;; amdgpu-corpus repo=pytorch/pytorch kind=compiled arch=gfx1250 opt=O3
	.amdgcn_target "amdgcn-amd-amdhsa--gfx1250"
	.amdhsa_code_object_version 6
	.section	.text._ZN2at6native29vectorized_elementwise_kernelILi16EZZZNS0_12_GLOBAL__N_117hardshrink_kernelERNS_18TensorIteratorBaseERKN3c106ScalarEENKUlvE_clEvENKUlvE_clEvEUldE_St5arrayIPcLm2EEEEviT0_T1_,"axG",@progbits,_ZN2at6native29vectorized_elementwise_kernelILi16EZZZNS0_12_GLOBAL__N_117hardshrink_kernelERNS_18TensorIteratorBaseERKN3c106ScalarEENKUlvE_clEvENKUlvE_clEvEUldE_St5arrayIPcLm2EEEEviT0_T1_,comdat
	.globl	_ZN2at6native29vectorized_elementwise_kernelILi16EZZZNS0_12_GLOBAL__N_117hardshrink_kernelERNS_18TensorIteratorBaseERKN3c106ScalarEENKUlvE_clEvENKUlvE_clEvEUldE_St5arrayIPcLm2EEEEviT0_T1_ ; -- Begin function _ZN2at6native29vectorized_elementwise_kernelILi16EZZZNS0_12_GLOBAL__N_117hardshrink_kernelERNS_18TensorIteratorBaseERKN3c106ScalarEENKUlvE_clEvENKUlvE_clEvEUldE_St5arrayIPcLm2EEEEviT0_T1_
	.p2align	8
	.type	_ZN2at6native29vectorized_elementwise_kernelILi16EZZZNS0_12_GLOBAL__N_117hardshrink_kernelERNS_18TensorIteratorBaseERKN3c106ScalarEENKUlvE_clEvENKUlvE_clEvEUldE_St5arrayIPcLm2EEEEviT0_T1_,@function
_ZN2at6native29vectorized_elementwise_kernelILi16EZZZNS0_12_GLOBAL__N_117hardshrink_kernelERNS_18TensorIteratorBaseERKN3c106ScalarEENKUlvE_clEvENKUlvE_clEvEUldE_St5arrayIPcLm2EEEEviT0_T1_: ; @_ZN2at6native29vectorized_elementwise_kernelILi16EZZZNS0_12_GLOBAL__N_117hardshrink_kernelERNS_18TensorIteratorBaseERKN3c106ScalarEENKUlvE_clEvENKUlvE_clEvEUldE_St5arrayIPcLm2EEEEviT0_T1_
; %bb.0:
	s_clause 0x2
	s_load_b32 s2, s[0:1], 0x0
	s_load_b128 s[8:11], s[0:1], 0x8
	s_load_b64 s[4:5], s[0:1], 0x18
	s_wait_xcnt 0x0
	s_bfe_u32 s0, ttmp6, 0x4000c
	s_and_b32 s1, ttmp6, 15
	s_add_co_i32 s0, s0, 1
	s_getreg_b32 s3, hwreg(HW_REG_IB_STS2, 6, 4)
	s_mul_i32 s0, ttmp9, s0
	s_delay_alu instid0(SALU_CYCLE_1) | instskip(SKIP_2) | instid1(SALU_CYCLE_1)
	s_add_co_i32 s1, s1, s0
	s_cmp_eq_u32 s3, 0
	s_cselect_b32 s0, ttmp9, s1
	s_lshl_b32 s12, s0, 10
	s_mov_b32 s0, -1
	s_wait_kmcnt 0x0
	s_sub_co_i32 s7, s2, s12
	s_delay_alu instid0(SALU_CYCLE_1)
	s_cmp_gt_i32 s7, 0x3ff
	s_cbranch_scc0 .LBB0_2
; %bb.1:
	s_ashr_i32 s13, s12, 31
	v_lshlrev_b32_e32 v1, 5, v0
	s_lshl_b64 s[14:15], s[12:13], 3
	s_delay_alu instid0(SALU_CYCLE_1)
	s_add_nc_u64 s[0:1], s[4:5], s[14:15]
	s_clause 0x1
	global_load_b128 v[2:5], v1, s[0:1]
	global_load_b128 v[6:9], v1, s[0:1] offset:16
	s_wait_loadcnt 0x1
	v_cmp_nge_f64_e64 s3, v[2:3], -s[8:9]
	v_cmp_nge_f64_e32 vcc_lo, s[8:9], v[2:3]
	v_cmp_nge_f64_e64 s6, v[4:5], -s[8:9]
	s_wait_xcnt 0x0
	v_cmp_nge_f64_e64 s0, s[8:9], v[4:5]
	s_wait_loadcnt 0x0
	v_cmp_nge_f64_e64 s16, v[8:9], -s[8:9]
	v_cmp_nge_f64_e64 s2, s[8:9], v[8:9]
	v_cmp_nge_f64_e64 s13, v[6:7], -s[8:9]
	v_cmp_nge_f64_e64 s1, s[8:9], v[6:7]
	s_or_b32 vcc_lo, s3, vcc_lo
	s_or_b32 s0, s6, s0
	v_cndmask_b32_e32 v3, 0, v3, vcc_lo
	s_or_b32 s2, s16, s2
	s_delay_alu instid0(SALU_CYCLE_1) | instskip(SKIP_1) | instid1(SALU_CYCLE_1)
	v_dual_cndmask_b32 v2, 0, v2, vcc_lo :: v_dual_cndmask_b32 v9, 0, v9, s2
	s_or_b32 s1, s13, s1
	v_dual_cndmask_b32 v5, 0, v5, s0 :: v_dual_cndmask_b32 v7, 0, v7, s1
	v_dual_cndmask_b32 v4, 0, v4, s0 :: v_dual_cndmask_b32 v6, 0, v6, s1
	v_cndmask_b32_e64 v8, 0, v8, s2
	s_add_nc_u64 s[2:3], s[10:11], s[14:15]
	s_mov_b32 s0, 0
	s_clause 0x1
	global_store_b128 v1, v[2:5], s[2:3]
	global_store_b128 v1, v[6:9], s[2:3] offset:16
.LBB0_2:
	s_and_not1_b32 vcc_lo, exec_lo, s0
	s_cbranch_vccnz .LBB0_16
; %bb.3:
	s_wait_xcnt 0x1
	v_mov_b64_e32 v[2:3], 0
	v_mov_b64_e32 v[4:5], 0
	v_cmp_gt_i32_e32 vcc_lo, s7, v0
	s_wait_xcnt 0x0
	v_dual_mov_b32 v10, v0 :: v_dual_bitop2_b32 v1, s12, v0 bitop3:0x54
	v_or_b32_e32 v14, 0x100, v0
	s_and_saveexec_b32 s0, vcc_lo
	s_cbranch_execz .LBB0_5
; %bb.4:
	global_load_b64 v[4:5], v1, s[4:5] scale_offset
	v_or_b32_e32 v10, 0x100, v0
.LBB0_5:
	s_wait_xcnt 0x0
	s_or_b32 exec_lo, exec_lo, s0
	s_delay_alu instid0(SALU_CYCLE_1) | instskip(NEXT) | instid1(VALU_DEP_1)
	s_mov_b32 s1, exec_lo
	v_cmpx_gt_i32_e64 s7, v10
	s_cbranch_execz .LBB0_7
; %bb.6:
	v_add_nc_u32_e32 v2, s12, v10
	v_add_nc_u32_e32 v10, 0x100, v10
	global_load_b64 v[2:3], v2, s[4:5] scale_offset
.LBB0_7:
	s_wait_xcnt 0x0
	s_or_b32 exec_lo, exec_lo, s1
	v_mov_b64_e32 v[6:7], 0
	v_mov_b64_e32 v[8:9], 0
	s_mov_b32 s1, exec_lo
	v_cmpx_gt_i32_e64 s7, v10
	s_cbranch_execz .LBB0_9
; %bb.8:
	v_add_nc_u32_e32 v8, s12, v10
	v_add_nc_u32_e32 v10, 0x100, v10
	global_load_b64 v[8:9], v8, s[4:5] scale_offset
.LBB0_9:
	s_wait_xcnt 0x0
	s_or_b32 exec_lo, exec_lo, s1
	s_delay_alu instid0(SALU_CYCLE_1)
	s_mov_b32 s1, exec_lo
	v_cmpx_gt_i32_e64 s7, v10
	s_cbranch_execz .LBB0_11
; %bb.10:
	v_add_nc_u32_e32 v6, s12, v10
	global_load_b64 v[6:7], v6, s[4:5] scale_offset
.LBB0_11:
	s_wait_xcnt 0x0
	s_or_b32 exec_lo, exec_lo, s1
	s_wait_loadcnt 0x0
	v_cmp_nge_f64_e64 s13, v[4:5], -s[8:9]
	v_cmp_nge_f64_e64 s0, s[8:9], v[4:5]
	v_cmp_nge_f64_e64 s14, v[2:3], -s[8:9]
	v_cmp_nge_f64_e64 s1, s[8:9], v[2:3]
	;; [unrolled: 2-line block ×4, first 2 shown]
	v_or_b32_e32 v10, 0x200, v0
	v_or_b32_e32 v11, 0x300, v0
	v_cmp_gt_i32_e64 s4, s7, v14
	s_delay_alu instid0(VALU_DEP_3) | instskip(NEXT) | instid1(VALU_DEP_3)
	v_cmp_gt_i32_e64 s5, s7, v10
	v_cmp_gt_i32_e64 s6, s7, v11
	s_or_b32 s0, s13, s0
	s_or_b32 s1, s14, s1
	s_and_b32 s0, vcc_lo, s0
	s_or_b32 s2, s15, s2
	s_and_b32 s1, s4, s1
	s_or_b32 s3, s16, s3
	s_and_b32 s2, s5, s2
	s_and_b32 s3, s6, s3
	v_dual_cndmask_b32 v13, 0, v5, s0 :: v_dual_cndmask_b32 v11, 0, v3, s1
	v_dual_cndmask_b32 v5, 0, v9, s2 :: v_dual_cndmask_b32 v3, 0, v7, s3
	;; [unrolled: 1-line block ×4, first 2 shown]
	s_and_saveexec_b32 s0, vcc_lo
	s_cbranch_execnz .LBB0_17
; %bb.12:
	s_or_b32 exec_lo, exec_lo, s0
	s_delay_alu instid0(SALU_CYCLE_1)
	s_mov_b32 s0, exec_lo
	v_cmpx_gt_i32_e64 s7, v0
	s_cbranch_execnz .LBB0_18
.LBB0_13:
	s_or_b32 exec_lo, exec_lo, s0
	s_delay_alu instid0(SALU_CYCLE_1)
	s_mov_b32 s0, exec_lo
	v_cmpx_gt_i32_e64 s7, v0
	s_cbranch_execnz .LBB0_19
.LBB0_14:
	s_or_b32 exec_lo, exec_lo, s0
	s_delay_alu instid0(SALU_CYCLE_1)
	s_mov_b32 s0, exec_lo
	v_cmpx_gt_i32_e64 s7, v0
	s_cbranch_execz .LBB0_16
.LBB0_15:
	v_add_nc_u32_e32 v0, s12, v0
	global_store_b64 v0, v[2:3], s[10:11] scale_offset
.LBB0_16:
	s_endpgm
.LBB0_17:
	v_mov_b32_e32 v0, v14
	global_store_b64 v1, v[12:13], s[10:11] scale_offset
	s_wait_xcnt 0x0
	s_or_b32 exec_lo, exec_lo, s0
	s_delay_alu instid0(SALU_CYCLE_1)
	s_mov_b32 s0, exec_lo
	v_cmpx_gt_i32_e64 s7, v0
	s_cbranch_execz .LBB0_13
.LBB0_18:
	v_add_nc_u32_e32 v1, s12, v0
	v_add_nc_u32_e32 v0, 0x100, v0
	global_store_b64 v1, v[10:11], s[10:11] scale_offset
	s_wait_xcnt 0x0
	s_or_b32 exec_lo, exec_lo, s0
	s_delay_alu instid0(SALU_CYCLE_1)
	s_mov_b32 s0, exec_lo
	v_cmpx_gt_i32_e64 s7, v0
	s_cbranch_execz .LBB0_14
.LBB0_19:
	v_add_nc_u32_e32 v1, s12, v0
	v_add_nc_u32_e32 v0, 0x100, v0
	global_store_b64 v1, v[4:5], s[10:11] scale_offset
	s_wait_xcnt 0x0
	s_or_b32 exec_lo, exec_lo, s0
	s_delay_alu instid0(SALU_CYCLE_1)
	s_mov_b32 s0, exec_lo
	v_cmpx_gt_i32_e64 s7, v0
	s_cbranch_execnz .LBB0_15
	s_branch .LBB0_16
	.section	.rodata,"a",@progbits
	.p2align	6, 0x0
	.amdhsa_kernel _ZN2at6native29vectorized_elementwise_kernelILi16EZZZNS0_12_GLOBAL__N_117hardshrink_kernelERNS_18TensorIteratorBaseERKN3c106ScalarEENKUlvE_clEvENKUlvE_clEvEUldE_St5arrayIPcLm2EEEEviT0_T1_
		.amdhsa_group_segment_fixed_size 0
		.amdhsa_private_segment_fixed_size 0
		.amdhsa_kernarg_size 32
		.amdhsa_user_sgpr_count 2
		.amdhsa_user_sgpr_dispatch_ptr 0
		.amdhsa_user_sgpr_queue_ptr 0
		.amdhsa_user_sgpr_kernarg_segment_ptr 1
		.amdhsa_user_sgpr_dispatch_id 0
		.amdhsa_user_sgpr_kernarg_preload_length 0
		.amdhsa_user_sgpr_kernarg_preload_offset 0
		.amdhsa_user_sgpr_private_segment_size 0
		.amdhsa_wavefront_size32 1
		.amdhsa_uses_dynamic_stack 0
		.amdhsa_enable_private_segment 0
		.amdhsa_system_sgpr_workgroup_id_x 1
		.amdhsa_system_sgpr_workgroup_id_y 0
		.amdhsa_system_sgpr_workgroup_id_z 0
		.amdhsa_system_sgpr_workgroup_info 0
		.amdhsa_system_vgpr_workitem_id 0
		.amdhsa_next_free_vgpr 15
		.amdhsa_next_free_sgpr 17
		.amdhsa_named_barrier_count 0
		.amdhsa_reserve_vcc 1
		.amdhsa_float_round_mode_32 0
		.amdhsa_float_round_mode_16_64 0
		.amdhsa_float_denorm_mode_32 3
		.amdhsa_float_denorm_mode_16_64 3
		.amdhsa_fp16_overflow 0
		.amdhsa_memory_ordered 1
		.amdhsa_forward_progress 1
		.amdhsa_inst_pref_size 8
		.amdhsa_round_robin_scheduling 0
		.amdhsa_exception_fp_ieee_invalid_op 0
		.amdhsa_exception_fp_denorm_src 0
		.amdhsa_exception_fp_ieee_div_zero 0
		.amdhsa_exception_fp_ieee_overflow 0
		.amdhsa_exception_fp_ieee_underflow 0
		.amdhsa_exception_fp_ieee_inexact 0
		.amdhsa_exception_int_div_zero 0
	.end_amdhsa_kernel
	.section	.text._ZN2at6native29vectorized_elementwise_kernelILi16EZZZNS0_12_GLOBAL__N_117hardshrink_kernelERNS_18TensorIteratorBaseERKN3c106ScalarEENKUlvE_clEvENKUlvE_clEvEUldE_St5arrayIPcLm2EEEEviT0_T1_,"axG",@progbits,_ZN2at6native29vectorized_elementwise_kernelILi16EZZZNS0_12_GLOBAL__N_117hardshrink_kernelERNS_18TensorIteratorBaseERKN3c106ScalarEENKUlvE_clEvENKUlvE_clEvEUldE_St5arrayIPcLm2EEEEviT0_T1_,comdat
.Lfunc_end0:
	.size	_ZN2at6native29vectorized_elementwise_kernelILi16EZZZNS0_12_GLOBAL__N_117hardshrink_kernelERNS_18TensorIteratorBaseERKN3c106ScalarEENKUlvE_clEvENKUlvE_clEvEUldE_St5arrayIPcLm2EEEEviT0_T1_, .Lfunc_end0-_ZN2at6native29vectorized_elementwise_kernelILi16EZZZNS0_12_GLOBAL__N_117hardshrink_kernelERNS_18TensorIteratorBaseERKN3c106ScalarEENKUlvE_clEvENKUlvE_clEvEUldE_St5arrayIPcLm2EEEEviT0_T1_
                                        ; -- End function
	.set _ZN2at6native29vectorized_elementwise_kernelILi16EZZZNS0_12_GLOBAL__N_117hardshrink_kernelERNS_18TensorIteratorBaseERKN3c106ScalarEENKUlvE_clEvENKUlvE_clEvEUldE_St5arrayIPcLm2EEEEviT0_T1_.num_vgpr, 15
	.set _ZN2at6native29vectorized_elementwise_kernelILi16EZZZNS0_12_GLOBAL__N_117hardshrink_kernelERNS_18TensorIteratorBaseERKN3c106ScalarEENKUlvE_clEvENKUlvE_clEvEUldE_St5arrayIPcLm2EEEEviT0_T1_.num_agpr, 0
	.set _ZN2at6native29vectorized_elementwise_kernelILi16EZZZNS0_12_GLOBAL__N_117hardshrink_kernelERNS_18TensorIteratorBaseERKN3c106ScalarEENKUlvE_clEvENKUlvE_clEvEUldE_St5arrayIPcLm2EEEEviT0_T1_.numbered_sgpr, 17
	.set _ZN2at6native29vectorized_elementwise_kernelILi16EZZZNS0_12_GLOBAL__N_117hardshrink_kernelERNS_18TensorIteratorBaseERKN3c106ScalarEENKUlvE_clEvENKUlvE_clEvEUldE_St5arrayIPcLm2EEEEviT0_T1_.num_named_barrier, 0
	.set _ZN2at6native29vectorized_elementwise_kernelILi16EZZZNS0_12_GLOBAL__N_117hardshrink_kernelERNS_18TensorIteratorBaseERKN3c106ScalarEENKUlvE_clEvENKUlvE_clEvEUldE_St5arrayIPcLm2EEEEviT0_T1_.private_seg_size, 0
	.set _ZN2at6native29vectorized_elementwise_kernelILi16EZZZNS0_12_GLOBAL__N_117hardshrink_kernelERNS_18TensorIteratorBaseERKN3c106ScalarEENKUlvE_clEvENKUlvE_clEvEUldE_St5arrayIPcLm2EEEEviT0_T1_.uses_vcc, 1
	.set _ZN2at6native29vectorized_elementwise_kernelILi16EZZZNS0_12_GLOBAL__N_117hardshrink_kernelERNS_18TensorIteratorBaseERKN3c106ScalarEENKUlvE_clEvENKUlvE_clEvEUldE_St5arrayIPcLm2EEEEviT0_T1_.uses_flat_scratch, 0
	.set _ZN2at6native29vectorized_elementwise_kernelILi16EZZZNS0_12_GLOBAL__N_117hardshrink_kernelERNS_18TensorIteratorBaseERKN3c106ScalarEENKUlvE_clEvENKUlvE_clEvEUldE_St5arrayIPcLm2EEEEviT0_T1_.has_dyn_sized_stack, 0
	.set _ZN2at6native29vectorized_elementwise_kernelILi16EZZZNS0_12_GLOBAL__N_117hardshrink_kernelERNS_18TensorIteratorBaseERKN3c106ScalarEENKUlvE_clEvENKUlvE_clEvEUldE_St5arrayIPcLm2EEEEviT0_T1_.has_recursion, 0
	.set _ZN2at6native29vectorized_elementwise_kernelILi16EZZZNS0_12_GLOBAL__N_117hardshrink_kernelERNS_18TensorIteratorBaseERKN3c106ScalarEENKUlvE_clEvENKUlvE_clEvEUldE_St5arrayIPcLm2EEEEviT0_T1_.has_indirect_call, 0
	.section	.AMDGPU.csdata,"",@progbits
; Kernel info:
; codeLenInByte = 1008
; TotalNumSgprs: 19
; NumVgprs: 15
; ScratchSize: 0
; MemoryBound: 0
; FloatMode: 240
; IeeeMode: 1
; LDSByteSize: 0 bytes/workgroup (compile time only)
; SGPRBlocks: 0
; VGPRBlocks: 0
; NumSGPRsForWavesPerEU: 19
; NumVGPRsForWavesPerEU: 15
; NamedBarCnt: 0
; Occupancy: 16
; WaveLimiterHint : 0
; COMPUTE_PGM_RSRC2:SCRATCH_EN: 0
; COMPUTE_PGM_RSRC2:USER_SGPR: 2
; COMPUTE_PGM_RSRC2:TRAP_HANDLER: 0
; COMPUTE_PGM_RSRC2:TGID_X_EN: 1
; COMPUTE_PGM_RSRC2:TGID_Y_EN: 0
; COMPUTE_PGM_RSRC2:TGID_Z_EN: 0
; COMPUTE_PGM_RSRC2:TIDIG_COMP_CNT: 0
	.section	.text._ZN2at6native29vectorized_elementwise_kernelILi8EZZZNS0_12_GLOBAL__N_117hardshrink_kernelERNS_18TensorIteratorBaseERKN3c106ScalarEENKUlvE_clEvENKUlvE_clEvEUldE_St5arrayIPcLm2EEEEviT0_T1_,"axG",@progbits,_ZN2at6native29vectorized_elementwise_kernelILi8EZZZNS0_12_GLOBAL__N_117hardshrink_kernelERNS_18TensorIteratorBaseERKN3c106ScalarEENKUlvE_clEvENKUlvE_clEvEUldE_St5arrayIPcLm2EEEEviT0_T1_,comdat
	.globl	_ZN2at6native29vectorized_elementwise_kernelILi8EZZZNS0_12_GLOBAL__N_117hardshrink_kernelERNS_18TensorIteratorBaseERKN3c106ScalarEENKUlvE_clEvENKUlvE_clEvEUldE_St5arrayIPcLm2EEEEviT0_T1_ ; -- Begin function _ZN2at6native29vectorized_elementwise_kernelILi8EZZZNS0_12_GLOBAL__N_117hardshrink_kernelERNS_18TensorIteratorBaseERKN3c106ScalarEENKUlvE_clEvENKUlvE_clEvEUldE_St5arrayIPcLm2EEEEviT0_T1_
	.p2align	8
	.type	_ZN2at6native29vectorized_elementwise_kernelILi8EZZZNS0_12_GLOBAL__N_117hardshrink_kernelERNS_18TensorIteratorBaseERKN3c106ScalarEENKUlvE_clEvENKUlvE_clEvEUldE_St5arrayIPcLm2EEEEviT0_T1_,@function
_ZN2at6native29vectorized_elementwise_kernelILi8EZZZNS0_12_GLOBAL__N_117hardshrink_kernelERNS_18TensorIteratorBaseERKN3c106ScalarEENKUlvE_clEvENKUlvE_clEvEUldE_St5arrayIPcLm2EEEEviT0_T1_: ; @_ZN2at6native29vectorized_elementwise_kernelILi8EZZZNS0_12_GLOBAL__N_117hardshrink_kernelERNS_18TensorIteratorBaseERKN3c106ScalarEENKUlvE_clEvENKUlvE_clEvEUldE_St5arrayIPcLm2EEEEviT0_T1_
; %bb.0:
	s_clause 0x2
	s_load_b32 s2, s[0:1], 0x0
	s_load_b128 s[8:11], s[0:1], 0x8
	s_load_b64 s[4:5], s[0:1], 0x18
	s_wait_xcnt 0x0
	s_bfe_u32 s0, ttmp6, 0x4000c
	s_and_b32 s1, ttmp6, 15
	s_add_co_i32 s0, s0, 1
	s_getreg_b32 s3, hwreg(HW_REG_IB_STS2, 6, 4)
	s_mul_i32 s0, ttmp9, s0
	s_delay_alu instid0(SALU_CYCLE_1) | instskip(SKIP_2) | instid1(SALU_CYCLE_1)
	s_add_co_i32 s1, s1, s0
	s_cmp_eq_u32 s3, 0
	s_cselect_b32 s0, ttmp9, s1
	s_lshl_b32 s12, s0, 10
	s_mov_b32 s0, -1
	s_wait_kmcnt 0x0
	s_sub_co_i32 s7, s2, s12
	s_delay_alu instid0(SALU_CYCLE_1)
	s_cmp_gt_i32 s7, 0x3ff
	s_cbranch_scc0 .LBB1_2
; %bb.1:
	s_ashr_i32 s13, s12, 31
	v_lshlrev_b32_e32 v1, 5, v0
	s_lshl_b64 s[14:15], s[12:13], 3
	s_delay_alu instid0(SALU_CYCLE_1)
	s_add_nc_u64 s[0:1], s[4:5], s[14:15]
	s_clause 0x1
	global_load_b128 v[2:5], v1, s[0:1]
	global_load_b128 v[6:9], v1, s[0:1] offset:16
	s_wait_loadcnt 0x1
	v_cmp_nge_f64_e64 s3, v[2:3], -s[8:9]
	v_cmp_nge_f64_e32 vcc_lo, s[8:9], v[2:3]
	v_cmp_nge_f64_e64 s6, v[4:5], -s[8:9]
	s_wait_xcnt 0x0
	v_cmp_nge_f64_e64 s0, s[8:9], v[4:5]
	s_wait_loadcnt 0x0
	v_cmp_nge_f64_e64 s16, v[8:9], -s[8:9]
	v_cmp_nge_f64_e64 s2, s[8:9], v[8:9]
	v_cmp_nge_f64_e64 s13, v[6:7], -s[8:9]
	v_cmp_nge_f64_e64 s1, s[8:9], v[6:7]
	s_or_b32 vcc_lo, s3, vcc_lo
	s_or_b32 s0, s6, s0
	v_cndmask_b32_e32 v3, 0, v3, vcc_lo
	s_or_b32 s2, s16, s2
	s_delay_alu instid0(SALU_CYCLE_1) | instskip(SKIP_1) | instid1(SALU_CYCLE_1)
	v_dual_cndmask_b32 v2, 0, v2, vcc_lo :: v_dual_cndmask_b32 v9, 0, v9, s2
	s_or_b32 s1, s13, s1
	v_dual_cndmask_b32 v5, 0, v5, s0 :: v_dual_cndmask_b32 v7, 0, v7, s1
	v_dual_cndmask_b32 v4, 0, v4, s0 :: v_dual_cndmask_b32 v6, 0, v6, s1
	v_cndmask_b32_e64 v8, 0, v8, s2
	s_add_nc_u64 s[2:3], s[10:11], s[14:15]
	s_mov_b32 s0, 0
	s_clause 0x1
	global_store_b128 v1, v[2:5], s[2:3]
	global_store_b128 v1, v[6:9], s[2:3] offset:16
.LBB1_2:
	s_and_not1_b32 vcc_lo, exec_lo, s0
	s_cbranch_vccnz .LBB1_16
; %bb.3:
	s_wait_xcnt 0x1
	v_mov_b64_e32 v[2:3], 0
	v_mov_b64_e32 v[4:5], 0
	v_cmp_gt_i32_e32 vcc_lo, s7, v0
	s_wait_xcnt 0x0
	v_dual_mov_b32 v10, v0 :: v_dual_bitop2_b32 v1, s12, v0 bitop3:0x54
	v_or_b32_e32 v14, 0x100, v0
	s_and_saveexec_b32 s0, vcc_lo
	s_cbranch_execz .LBB1_5
; %bb.4:
	global_load_b64 v[4:5], v1, s[4:5] scale_offset
	v_or_b32_e32 v10, 0x100, v0
.LBB1_5:
	s_wait_xcnt 0x0
	s_or_b32 exec_lo, exec_lo, s0
	s_delay_alu instid0(SALU_CYCLE_1) | instskip(NEXT) | instid1(VALU_DEP_1)
	s_mov_b32 s1, exec_lo
	v_cmpx_gt_i32_e64 s7, v10
	s_cbranch_execz .LBB1_7
; %bb.6:
	v_add_nc_u32_e32 v2, s12, v10
	v_add_nc_u32_e32 v10, 0x100, v10
	global_load_b64 v[2:3], v2, s[4:5] scale_offset
.LBB1_7:
	s_wait_xcnt 0x0
	s_or_b32 exec_lo, exec_lo, s1
	v_mov_b64_e32 v[6:7], 0
	v_mov_b64_e32 v[8:9], 0
	s_mov_b32 s1, exec_lo
	v_cmpx_gt_i32_e64 s7, v10
	s_cbranch_execz .LBB1_9
; %bb.8:
	v_add_nc_u32_e32 v8, s12, v10
	v_add_nc_u32_e32 v10, 0x100, v10
	global_load_b64 v[8:9], v8, s[4:5] scale_offset
.LBB1_9:
	s_wait_xcnt 0x0
	s_or_b32 exec_lo, exec_lo, s1
	s_delay_alu instid0(SALU_CYCLE_1)
	s_mov_b32 s1, exec_lo
	v_cmpx_gt_i32_e64 s7, v10
	s_cbranch_execz .LBB1_11
; %bb.10:
	v_add_nc_u32_e32 v6, s12, v10
	global_load_b64 v[6:7], v6, s[4:5] scale_offset
.LBB1_11:
	s_wait_xcnt 0x0
	s_or_b32 exec_lo, exec_lo, s1
	s_wait_loadcnt 0x0
	v_cmp_nge_f64_e64 s13, v[4:5], -s[8:9]
	v_cmp_nge_f64_e64 s0, s[8:9], v[4:5]
	v_cmp_nge_f64_e64 s14, v[2:3], -s[8:9]
	v_cmp_nge_f64_e64 s1, s[8:9], v[2:3]
	;; [unrolled: 2-line block ×4, first 2 shown]
	v_or_b32_e32 v10, 0x200, v0
	v_or_b32_e32 v11, 0x300, v0
	v_cmp_gt_i32_e64 s4, s7, v14
	s_delay_alu instid0(VALU_DEP_3) | instskip(NEXT) | instid1(VALU_DEP_3)
	v_cmp_gt_i32_e64 s5, s7, v10
	v_cmp_gt_i32_e64 s6, s7, v11
	s_or_b32 s0, s13, s0
	s_or_b32 s1, s14, s1
	s_and_b32 s0, vcc_lo, s0
	s_or_b32 s2, s15, s2
	s_and_b32 s1, s4, s1
	s_or_b32 s3, s16, s3
	s_and_b32 s2, s5, s2
	s_and_b32 s3, s6, s3
	v_dual_cndmask_b32 v13, 0, v5, s0 :: v_dual_cndmask_b32 v11, 0, v3, s1
	v_dual_cndmask_b32 v5, 0, v9, s2 :: v_dual_cndmask_b32 v3, 0, v7, s3
	;; [unrolled: 1-line block ×4, first 2 shown]
	s_and_saveexec_b32 s0, vcc_lo
	s_cbranch_execnz .LBB1_17
; %bb.12:
	s_or_b32 exec_lo, exec_lo, s0
	s_delay_alu instid0(SALU_CYCLE_1)
	s_mov_b32 s0, exec_lo
	v_cmpx_gt_i32_e64 s7, v0
	s_cbranch_execnz .LBB1_18
.LBB1_13:
	s_or_b32 exec_lo, exec_lo, s0
	s_delay_alu instid0(SALU_CYCLE_1)
	s_mov_b32 s0, exec_lo
	v_cmpx_gt_i32_e64 s7, v0
	s_cbranch_execnz .LBB1_19
.LBB1_14:
	s_or_b32 exec_lo, exec_lo, s0
	s_delay_alu instid0(SALU_CYCLE_1)
	s_mov_b32 s0, exec_lo
	v_cmpx_gt_i32_e64 s7, v0
	s_cbranch_execz .LBB1_16
.LBB1_15:
	v_add_nc_u32_e32 v0, s12, v0
	global_store_b64 v0, v[2:3], s[10:11] scale_offset
.LBB1_16:
	s_endpgm
.LBB1_17:
	v_mov_b32_e32 v0, v14
	global_store_b64 v1, v[12:13], s[10:11] scale_offset
	s_wait_xcnt 0x0
	s_or_b32 exec_lo, exec_lo, s0
	s_delay_alu instid0(SALU_CYCLE_1)
	s_mov_b32 s0, exec_lo
	v_cmpx_gt_i32_e64 s7, v0
	s_cbranch_execz .LBB1_13
.LBB1_18:
	v_add_nc_u32_e32 v1, s12, v0
	v_add_nc_u32_e32 v0, 0x100, v0
	global_store_b64 v1, v[10:11], s[10:11] scale_offset
	s_wait_xcnt 0x0
	s_or_b32 exec_lo, exec_lo, s0
	s_delay_alu instid0(SALU_CYCLE_1)
	s_mov_b32 s0, exec_lo
	v_cmpx_gt_i32_e64 s7, v0
	s_cbranch_execz .LBB1_14
.LBB1_19:
	v_add_nc_u32_e32 v1, s12, v0
	v_add_nc_u32_e32 v0, 0x100, v0
	global_store_b64 v1, v[4:5], s[10:11] scale_offset
	s_wait_xcnt 0x0
	s_or_b32 exec_lo, exec_lo, s0
	s_delay_alu instid0(SALU_CYCLE_1)
	s_mov_b32 s0, exec_lo
	v_cmpx_gt_i32_e64 s7, v0
	s_cbranch_execnz .LBB1_15
	s_branch .LBB1_16
	.section	.rodata,"a",@progbits
	.p2align	6, 0x0
	.amdhsa_kernel _ZN2at6native29vectorized_elementwise_kernelILi8EZZZNS0_12_GLOBAL__N_117hardshrink_kernelERNS_18TensorIteratorBaseERKN3c106ScalarEENKUlvE_clEvENKUlvE_clEvEUldE_St5arrayIPcLm2EEEEviT0_T1_
		.amdhsa_group_segment_fixed_size 0
		.amdhsa_private_segment_fixed_size 0
		.amdhsa_kernarg_size 32
		.amdhsa_user_sgpr_count 2
		.amdhsa_user_sgpr_dispatch_ptr 0
		.amdhsa_user_sgpr_queue_ptr 0
		.amdhsa_user_sgpr_kernarg_segment_ptr 1
		.amdhsa_user_sgpr_dispatch_id 0
		.amdhsa_user_sgpr_kernarg_preload_length 0
		.amdhsa_user_sgpr_kernarg_preload_offset 0
		.amdhsa_user_sgpr_private_segment_size 0
		.amdhsa_wavefront_size32 1
		.amdhsa_uses_dynamic_stack 0
		.amdhsa_enable_private_segment 0
		.amdhsa_system_sgpr_workgroup_id_x 1
		.amdhsa_system_sgpr_workgroup_id_y 0
		.amdhsa_system_sgpr_workgroup_id_z 0
		.amdhsa_system_sgpr_workgroup_info 0
		.amdhsa_system_vgpr_workitem_id 0
		.amdhsa_next_free_vgpr 15
		.amdhsa_next_free_sgpr 17
		.amdhsa_named_barrier_count 0
		.amdhsa_reserve_vcc 1
		.amdhsa_float_round_mode_32 0
		.amdhsa_float_round_mode_16_64 0
		.amdhsa_float_denorm_mode_32 3
		.amdhsa_float_denorm_mode_16_64 3
		.amdhsa_fp16_overflow 0
		.amdhsa_memory_ordered 1
		.amdhsa_forward_progress 1
		.amdhsa_inst_pref_size 8
		.amdhsa_round_robin_scheduling 0
		.amdhsa_exception_fp_ieee_invalid_op 0
		.amdhsa_exception_fp_denorm_src 0
		.amdhsa_exception_fp_ieee_div_zero 0
		.amdhsa_exception_fp_ieee_overflow 0
		.amdhsa_exception_fp_ieee_underflow 0
		.amdhsa_exception_fp_ieee_inexact 0
		.amdhsa_exception_int_div_zero 0
	.end_amdhsa_kernel
	.section	.text._ZN2at6native29vectorized_elementwise_kernelILi8EZZZNS0_12_GLOBAL__N_117hardshrink_kernelERNS_18TensorIteratorBaseERKN3c106ScalarEENKUlvE_clEvENKUlvE_clEvEUldE_St5arrayIPcLm2EEEEviT0_T1_,"axG",@progbits,_ZN2at6native29vectorized_elementwise_kernelILi8EZZZNS0_12_GLOBAL__N_117hardshrink_kernelERNS_18TensorIteratorBaseERKN3c106ScalarEENKUlvE_clEvENKUlvE_clEvEUldE_St5arrayIPcLm2EEEEviT0_T1_,comdat
.Lfunc_end1:
	.size	_ZN2at6native29vectorized_elementwise_kernelILi8EZZZNS0_12_GLOBAL__N_117hardshrink_kernelERNS_18TensorIteratorBaseERKN3c106ScalarEENKUlvE_clEvENKUlvE_clEvEUldE_St5arrayIPcLm2EEEEviT0_T1_, .Lfunc_end1-_ZN2at6native29vectorized_elementwise_kernelILi8EZZZNS0_12_GLOBAL__N_117hardshrink_kernelERNS_18TensorIteratorBaseERKN3c106ScalarEENKUlvE_clEvENKUlvE_clEvEUldE_St5arrayIPcLm2EEEEviT0_T1_
                                        ; -- End function
	.set _ZN2at6native29vectorized_elementwise_kernelILi8EZZZNS0_12_GLOBAL__N_117hardshrink_kernelERNS_18TensorIteratorBaseERKN3c106ScalarEENKUlvE_clEvENKUlvE_clEvEUldE_St5arrayIPcLm2EEEEviT0_T1_.num_vgpr, 15
	.set _ZN2at6native29vectorized_elementwise_kernelILi8EZZZNS0_12_GLOBAL__N_117hardshrink_kernelERNS_18TensorIteratorBaseERKN3c106ScalarEENKUlvE_clEvENKUlvE_clEvEUldE_St5arrayIPcLm2EEEEviT0_T1_.num_agpr, 0
	.set _ZN2at6native29vectorized_elementwise_kernelILi8EZZZNS0_12_GLOBAL__N_117hardshrink_kernelERNS_18TensorIteratorBaseERKN3c106ScalarEENKUlvE_clEvENKUlvE_clEvEUldE_St5arrayIPcLm2EEEEviT0_T1_.numbered_sgpr, 17
	.set _ZN2at6native29vectorized_elementwise_kernelILi8EZZZNS0_12_GLOBAL__N_117hardshrink_kernelERNS_18TensorIteratorBaseERKN3c106ScalarEENKUlvE_clEvENKUlvE_clEvEUldE_St5arrayIPcLm2EEEEviT0_T1_.num_named_barrier, 0
	.set _ZN2at6native29vectorized_elementwise_kernelILi8EZZZNS0_12_GLOBAL__N_117hardshrink_kernelERNS_18TensorIteratorBaseERKN3c106ScalarEENKUlvE_clEvENKUlvE_clEvEUldE_St5arrayIPcLm2EEEEviT0_T1_.private_seg_size, 0
	.set _ZN2at6native29vectorized_elementwise_kernelILi8EZZZNS0_12_GLOBAL__N_117hardshrink_kernelERNS_18TensorIteratorBaseERKN3c106ScalarEENKUlvE_clEvENKUlvE_clEvEUldE_St5arrayIPcLm2EEEEviT0_T1_.uses_vcc, 1
	.set _ZN2at6native29vectorized_elementwise_kernelILi8EZZZNS0_12_GLOBAL__N_117hardshrink_kernelERNS_18TensorIteratorBaseERKN3c106ScalarEENKUlvE_clEvENKUlvE_clEvEUldE_St5arrayIPcLm2EEEEviT0_T1_.uses_flat_scratch, 0
	.set _ZN2at6native29vectorized_elementwise_kernelILi8EZZZNS0_12_GLOBAL__N_117hardshrink_kernelERNS_18TensorIteratorBaseERKN3c106ScalarEENKUlvE_clEvENKUlvE_clEvEUldE_St5arrayIPcLm2EEEEviT0_T1_.has_dyn_sized_stack, 0
	.set _ZN2at6native29vectorized_elementwise_kernelILi8EZZZNS0_12_GLOBAL__N_117hardshrink_kernelERNS_18TensorIteratorBaseERKN3c106ScalarEENKUlvE_clEvENKUlvE_clEvEUldE_St5arrayIPcLm2EEEEviT0_T1_.has_recursion, 0
	.set _ZN2at6native29vectorized_elementwise_kernelILi8EZZZNS0_12_GLOBAL__N_117hardshrink_kernelERNS_18TensorIteratorBaseERKN3c106ScalarEENKUlvE_clEvENKUlvE_clEvEUldE_St5arrayIPcLm2EEEEviT0_T1_.has_indirect_call, 0
	.section	.AMDGPU.csdata,"",@progbits
; Kernel info:
; codeLenInByte = 1008
; TotalNumSgprs: 19
; NumVgprs: 15
; ScratchSize: 0
; MemoryBound: 0
; FloatMode: 240
; IeeeMode: 1
; LDSByteSize: 0 bytes/workgroup (compile time only)
; SGPRBlocks: 0
; VGPRBlocks: 0
; NumSGPRsForWavesPerEU: 19
; NumVGPRsForWavesPerEU: 15
; NamedBarCnt: 0
; Occupancy: 16
; WaveLimiterHint : 0
; COMPUTE_PGM_RSRC2:SCRATCH_EN: 0
; COMPUTE_PGM_RSRC2:USER_SGPR: 2
; COMPUTE_PGM_RSRC2:TRAP_HANDLER: 0
; COMPUTE_PGM_RSRC2:TGID_X_EN: 1
; COMPUTE_PGM_RSRC2:TGID_Y_EN: 0
; COMPUTE_PGM_RSRC2:TGID_Z_EN: 0
; COMPUTE_PGM_RSRC2:TIDIG_COMP_CNT: 0
	.section	.text._ZN2at6native29vectorized_elementwise_kernelILi4EZZZNS0_12_GLOBAL__N_117hardshrink_kernelERNS_18TensorIteratorBaseERKN3c106ScalarEENKUlvE_clEvENKUlvE_clEvEUldE_St5arrayIPcLm2EEEEviT0_T1_,"axG",@progbits,_ZN2at6native29vectorized_elementwise_kernelILi4EZZZNS0_12_GLOBAL__N_117hardshrink_kernelERNS_18TensorIteratorBaseERKN3c106ScalarEENKUlvE_clEvENKUlvE_clEvEUldE_St5arrayIPcLm2EEEEviT0_T1_,comdat
	.globl	_ZN2at6native29vectorized_elementwise_kernelILi4EZZZNS0_12_GLOBAL__N_117hardshrink_kernelERNS_18TensorIteratorBaseERKN3c106ScalarEENKUlvE_clEvENKUlvE_clEvEUldE_St5arrayIPcLm2EEEEviT0_T1_ ; -- Begin function _ZN2at6native29vectorized_elementwise_kernelILi4EZZZNS0_12_GLOBAL__N_117hardshrink_kernelERNS_18TensorIteratorBaseERKN3c106ScalarEENKUlvE_clEvENKUlvE_clEvEUldE_St5arrayIPcLm2EEEEviT0_T1_
	.p2align	8
	.type	_ZN2at6native29vectorized_elementwise_kernelILi4EZZZNS0_12_GLOBAL__N_117hardshrink_kernelERNS_18TensorIteratorBaseERKN3c106ScalarEENKUlvE_clEvENKUlvE_clEvEUldE_St5arrayIPcLm2EEEEviT0_T1_,@function
_ZN2at6native29vectorized_elementwise_kernelILi4EZZZNS0_12_GLOBAL__N_117hardshrink_kernelERNS_18TensorIteratorBaseERKN3c106ScalarEENKUlvE_clEvENKUlvE_clEvEUldE_St5arrayIPcLm2EEEEviT0_T1_: ; @_ZN2at6native29vectorized_elementwise_kernelILi4EZZZNS0_12_GLOBAL__N_117hardshrink_kernelERNS_18TensorIteratorBaseERKN3c106ScalarEENKUlvE_clEvENKUlvE_clEvEUldE_St5arrayIPcLm2EEEEviT0_T1_
; %bb.0:
	s_clause 0x2
	s_load_b32 s2, s[0:1], 0x0
	s_load_b128 s[8:11], s[0:1], 0x8
	s_load_b64 s[4:5], s[0:1], 0x18
	s_wait_xcnt 0x0
	s_bfe_u32 s0, ttmp6, 0x4000c
	s_and_b32 s1, ttmp6, 15
	s_add_co_i32 s0, s0, 1
	s_getreg_b32 s3, hwreg(HW_REG_IB_STS2, 6, 4)
	s_mul_i32 s0, ttmp9, s0
	s_delay_alu instid0(SALU_CYCLE_1) | instskip(SKIP_2) | instid1(SALU_CYCLE_1)
	s_add_co_i32 s1, s1, s0
	s_cmp_eq_u32 s3, 0
	s_cselect_b32 s0, ttmp9, s1
	s_lshl_b32 s12, s0, 10
	s_mov_b32 s0, -1
	s_wait_kmcnt 0x0
	s_sub_co_i32 s7, s2, s12
	s_delay_alu instid0(SALU_CYCLE_1)
	s_cmp_gt_i32 s7, 0x3ff
	s_cbranch_scc0 .LBB2_2
; %bb.1:
	s_ashr_i32 s13, s12, 31
	v_lshlrev_b32_e32 v1, 5, v0
	s_lshl_b64 s[14:15], s[12:13], 3
	s_delay_alu instid0(SALU_CYCLE_1)
	s_add_nc_u64 s[0:1], s[4:5], s[14:15]
	s_clause 0x1
	global_load_b128 v[2:5], v1, s[0:1]
	global_load_b128 v[6:9], v1, s[0:1] offset:16
	s_wait_loadcnt 0x1
	v_cmp_nge_f64_e64 s3, v[2:3], -s[8:9]
	v_cmp_nge_f64_e32 vcc_lo, s[8:9], v[2:3]
	v_cmp_nge_f64_e64 s6, v[4:5], -s[8:9]
	s_wait_xcnt 0x0
	v_cmp_nge_f64_e64 s0, s[8:9], v[4:5]
	s_wait_loadcnt 0x0
	v_cmp_nge_f64_e64 s16, v[8:9], -s[8:9]
	v_cmp_nge_f64_e64 s2, s[8:9], v[8:9]
	v_cmp_nge_f64_e64 s13, v[6:7], -s[8:9]
	v_cmp_nge_f64_e64 s1, s[8:9], v[6:7]
	s_or_b32 vcc_lo, s3, vcc_lo
	s_or_b32 s0, s6, s0
	v_cndmask_b32_e32 v3, 0, v3, vcc_lo
	s_or_b32 s2, s16, s2
	s_delay_alu instid0(SALU_CYCLE_1) | instskip(SKIP_1) | instid1(SALU_CYCLE_1)
	v_dual_cndmask_b32 v2, 0, v2, vcc_lo :: v_dual_cndmask_b32 v9, 0, v9, s2
	s_or_b32 s1, s13, s1
	v_dual_cndmask_b32 v5, 0, v5, s0 :: v_dual_cndmask_b32 v7, 0, v7, s1
	v_dual_cndmask_b32 v4, 0, v4, s0 :: v_dual_cndmask_b32 v6, 0, v6, s1
	v_cndmask_b32_e64 v8, 0, v8, s2
	s_add_nc_u64 s[2:3], s[10:11], s[14:15]
	s_mov_b32 s0, 0
	s_clause 0x1
	global_store_b128 v1, v[2:5], s[2:3]
	global_store_b128 v1, v[6:9], s[2:3] offset:16
.LBB2_2:
	s_and_not1_b32 vcc_lo, exec_lo, s0
	s_cbranch_vccnz .LBB2_16
; %bb.3:
	s_wait_xcnt 0x1
	v_mov_b64_e32 v[2:3], 0
	v_mov_b64_e32 v[4:5], 0
	v_cmp_gt_i32_e32 vcc_lo, s7, v0
	s_wait_xcnt 0x0
	v_dual_mov_b32 v10, v0 :: v_dual_bitop2_b32 v1, s12, v0 bitop3:0x54
	v_or_b32_e32 v14, 0x100, v0
	s_and_saveexec_b32 s0, vcc_lo
	s_cbranch_execz .LBB2_5
; %bb.4:
	global_load_b64 v[4:5], v1, s[4:5] scale_offset
	v_or_b32_e32 v10, 0x100, v0
.LBB2_5:
	s_wait_xcnt 0x0
	s_or_b32 exec_lo, exec_lo, s0
	s_delay_alu instid0(SALU_CYCLE_1) | instskip(NEXT) | instid1(VALU_DEP_1)
	s_mov_b32 s1, exec_lo
	v_cmpx_gt_i32_e64 s7, v10
	s_cbranch_execz .LBB2_7
; %bb.6:
	v_add_nc_u32_e32 v2, s12, v10
	v_add_nc_u32_e32 v10, 0x100, v10
	global_load_b64 v[2:3], v2, s[4:5] scale_offset
.LBB2_7:
	s_wait_xcnt 0x0
	s_or_b32 exec_lo, exec_lo, s1
	v_mov_b64_e32 v[6:7], 0
	v_mov_b64_e32 v[8:9], 0
	s_mov_b32 s1, exec_lo
	v_cmpx_gt_i32_e64 s7, v10
	s_cbranch_execz .LBB2_9
; %bb.8:
	v_add_nc_u32_e32 v8, s12, v10
	v_add_nc_u32_e32 v10, 0x100, v10
	global_load_b64 v[8:9], v8, s[4:5] scale_offset
.LBB2_9:
	s_wait_xcnt 0x0
	s_or_b32 exec_lo, exec_lo, s1
	s_delay_alu instid0(SALU_CYCLE_1)
	s_mov_b32 s1, exec_lo
	v_cmpx_gt_i32_e64 s7, v10
	s_cbranch_execz .LBB2_11
; %bb.10:
	v_add_nc_u32_e32 v6, s12, v10
	global_load_b64 v[6:7], v6, s[4:5] scale_offset
.LBB2_11:
	s_wait_xcnt 0x0
	s_or_b32 exec_lo, exec_lo, s1
	s_wait_loadcnt 0x0
	v_cmp_nge_f64_e64 s13, v[4:5], -s[8:9]
	v_cmp_nge_f64_e64 s0, s[8:9], v[4:5]
	v_cmp_nge_f64_e64 s14, v[2:3], -s[8:9]
	v_cmp_nge_f64_e64 s1, s[8:9], v[2:3]
	;; [unrolled: 2-line block ×4, first 2 shown]
	v_or_b32_e32 v10, 0x200, v0
	v_or_b32_e32 v11, 0x300, v0
	v_cmp_gt_i32_e64 s4, s7, v14
	s_delay_alu instid0(VALU_DEP_3) | instskip(NEXT) | instid1(VALU_DEP_3)
	v_cmp_gt_i32_e64 s5, s7, v10
	v_cmp_gt_i32_e64 s6, s7, v11
	s_or_b32 s0, s13, s0
	s_or_b32 s1, s14, s1
	s_and_b32 s0, vcc_lo, s0
	s_or_b32 s2, s15, s2
	s_and_b32 s1, s4, s1
	s_or_b32 s3, s16, s3
	s_and_b32 s2, s5, s2
	s_and_b32 s3, s6, s3
	v_dual_cndmask_b32 v13, 0, v5, s0 :: v_dual_cndmask_b32 v11, 0, v3, s1
	v_dual_cndmask_b32 v5, 0, v9, s2 :: v_dual_cndmask_b32 v3, 0, v7, s3
	;; [unrolled: 1-line block ×4, first 2 shown]
	s_and_saveexec_b32 s0, vcc_lo
	s_cbranch_execnz .LBB2_17
; %bb.12:
	s_or_b32 exec_lo, exec_lo, s0
	s_delay_alu instid0(SALU_CYCLE_1)
	s_mov_b32 s0, exec_lo
	v_cmpx_gt_i32_e64 s7, v0
	s_cbranch_execnz .LBB2_18
.LBB2_13:
	s_or_b32 exec_lo, exec_lo, s0
	s_delay_alu instid0(SALU_CYCLE_1)
	s_mov_b32 s0, exec_lo
	v_cmpx_gt_i32_e64 s7, v0
	s_cbranch_execnz .LBB2_19
.LBB2_14:
	s_or_b32 exec_lo, exec_lo, s0
	s_delay_alu instid0(SALU_CYCLE_1)
	s_mov_b32 s0, exec_lo
	v_cmpx_gt_i32_e64 s7, v0
	s_cbranch_execz .LBB2_16
.LBB2_15:
	v_add_nc_u32_e32 v0, s12, v0
	global_store_b64 v0, v[2:3], s[10:11] scale_offset
.LBB2_16:
	s_endpgm
.LBB2_17:
	v_mov_b32_e32 v0, v14
	global_store_b64 v1, v[12:13], s[10:11] scale_offset
	s_wait_xcnt 0x0
	s_or_b32 exec_lo, exec_lo, s0
	s_delay_alu instid0(SALU_CYCLE_1)
	s_mov_b32 s0, exec_lo
	v_cmpx_gt_i32_e64 s7, v0
	s_cbranch_execz .LBB2_13
.LBB2_18:
	v_add_nc_u32_e32 v1, s12, v0
	v_add_nc_u32_e32 v0, 0x100, v0
	global_store_b64 v1, v[10:11], s[10:11] scale_offset
	s_wait_xcnt 0x0
	s_or_b32 exec_lo, exec_lo, s0
	s_delay_alu instid0(SALU_CYCLE_1)
	s_mov_b32 s0, exec_lo
	v_cmpx_gt_i32_e64 s7, v0
	s_cbranch_execz .LBB2_14
.LBB2_19:
	v_add_nc_u32_e32 v1, s12, v0
	v_add_nc_u32_e32 v0, 0x100, v0
	global_store_b64 v1, v[4:5], s[10:11] scale_offset
	s_wait_xcnt 0x0
	s_or_b32 exec_lo, exec_lo, s0
	s_delay_alu instid0(SALU_CYCLE_1)
	s_mov_b32 s0, exec_lo
	v_cmpx_gt_i32_e64 s7, v0
	s_cbranch_execnz .LBB2_15
	s_branch .LBB2_16
	.section	.rodata,"a",@progbits
	.p2align	6, 0x0
	.amdhsa_kernel _ZN2at6native29vectorized_elementwise_kernelILi4EZZZNS0_12_GLOBAL__N_117hardshrink_kernelERNS_18TensorIteratorBaseERKN3c106ScalarEENKUlvE_clEvENKUlvE_clEvEUldE_St5arrayIPcLm2EEEEviT0_T1_
		.amdhsa_group_segment_fixed_size 0
		.amdhsa_private_segment_fixed_size 0
		.amdhsa_kernarg_size 32
		.amdhsa_user_sgpr_count 2
		.amdhsa_user_sgpr_dispatch_ptr 0
		.amdhsa_user_sgpr_queue_ptr 0
		.amdhsa_user_sgpr_kernarg_segment_ptr 1
		.amdhsa_user_sgpr_dispatch_id 0
		.amdhsa_user_sgpr_kernarg_preload_length 0
		.amdhsa_user_sgpr_kernarg_preload_offset 0
		.amdhsa_user_sgpr_private_segment_size 0
		.amdhsa_wavefront_size32 1
		.amdhsa_uses_dynamic_stack 0
		.amdhsa_enable_private_segment 0
		.amdhsa_system_sgpr_workgroup_id_x 1
		.amdhsa_system_sgpr_workgroup_id_y 0
		.amdhsa_system_sgpr_workgroup_id_z 0
		.amdhsa_system_sgpr_workgroup_info 0
		.amdhsa_system_vgpr_workitem_id 0
		.amdhsa_next_free_vgpr 15
		.amdhsa_next_free_sgpr 17
		.amdhsa_named_barrier_count 0
		.amdhsa_reserve_vcc 1
		.amdhsa_float_round_mode_32 0
		.amdhsa_float_round_mode_16_64 0
		.amdhsa_float_denorm_mode_32 3
		.amdhsa_float_denorm_mode_16_64 3
		.amdhsa_fp16_overflow 0
		.amdhsa_memory_ordered 1
		.amdhsa_forward_progress 1
		.amdhsa_inst_pref_size 8
		.amdhsa_round_robin_scheduling 0
		.amdhsa_exception_fp_ieee_invalid_op 0
		.amdhsa_exception_fp_denorm_src 0
		.amdhsa_exception_fp_ieee_div_zero 0
		.amdhsa_exception_fp_ieee_overflow 0
		.amdhsa_exception_fp_ieee_underflow 0
		.amdhsa_exception_fp_ieee_inexact 0
		.amdhsa_exception_int_div_zero 0
	.end_amdhsa_kernel
	.section	.text._ZN2at6native29vectorized_elementwise_kernelILi4EZZZNS0_12_GLOBAL__N_117hardshrink_kernelERNS_18TensorIteratorBaseERKN3c106ScalarEENKUlvE_clEvENKUlvE_clEvEUldE_St5arrayIPcLm2EEEEviT0_T1_,"axG",@progbits,_ZN2at6native29vectorized_elementwise_kernelILi4EZZZNS0_12_GLOBAL__N_117hardshrink_kernelERNS_18TensorIteratorBaseERKN3c106ScalarEENKUlvE_clEvENKUlvE_clEvEUldE_St5arrayIPcLm2EEEEviT0_T1_,comdat
.Lfunc_end2:
	.size	_ZN2at6native29vectorized_elementwise_kernelILi4EZZZNS0_12_GLOBAL__N_117hardshrink_kernelERNS_18TensorIteratorBaseERKN3c106ScalarEENKUlvE_clEvENKUlvE_clEvEUldE_St5arrayIPcLm2EEEEviT0_T1_, .Lfunc_end2-_ZN2at6native29vectorized_elementwise_kernelILi4EZZZNS0_12_GLOBAL__N_117hardshrink_kernelERNS_18TensorIteratorBaseERKN3c106ScalarEENKUlvE_clEvENKUlvE_clEvEUldE_St5arrayIPcLm2EEEEviT0_T1_
                                        ; -- End function
	.set _ZN2at6native29vectorized_elementwise_kernelILi4EZZZNS0_12_GLOBAL__N_117hardshrink_kernelERNS_18TensorIteratorBaseERKN3c106ScalarEENKUlvE_clEvENKUlvE_clEvEUldE_St5arrayIPcLm2EEEEviT0_T1_.num_vgpr, 15
	.set _ZN2at6native29vectorized_elementwise_kernelILi4EZZZNS0_12_GLOBAL__N_117hardshrink_kernelERNS_18TensorIteratorBaseERKN3c106ScalarEENKUlvE_clEvENKUlvE_clEvEUldE_St5arrayIPcLm2EEEEviT0_T1_.num_agpr, 0
	.set _ZN2at6native29vectorized_elementwise_kernelILi4EZZZNS0_12_GLOBAL__N_117hardshrink_kernelERNS_18TensorIteratorBaseERKN3c106ScalarEENKUlvE_clEvENKUlvE_clEvEUldE_St5arrayIPcLm2EEEEviT0_T1_.numbered_sgpr, 17
	.set _ZN2at6native29vectorized_elementwise_kernelILi4EZZZNS0_12_GLOBAL__N_117hardshrink_kernelERNS_18TensorIteratorBaseERKN3c106ScalarEENKUlvE_clEvENKUlvE_clEvEUldE_St5arrayIPcLm2EEEEviT0_T1_.num_named_barrier, 0
	.set _ZN2at6native29vectorized_elementwise_kernelILi4EZZZNS0_12_GLOBAL__N_117hardshrink_kernelERNS_18TensorIteratorBaseERKN3c106ScalarEENKUlvE_clEvENKUlvE_clEvEUldE_St5arrayIPcLm2EEEEviT0_T1_.private_seg_size, 0
	.set _ZN2at6native29vectorized_elementwise_kernelILi4EZZZNS0_12_GLOBAL__N_117hardshrink_kernelERNS_18TensorIteratorBaseERKN3c106ScalarEENKUlvE_clEvENKUlvE_clEvEUldE_St5arrayIPcLm2EEEEviT0_T1_.uses_vcc, 1
	.set _ZN2at6native29vectorized_elementwise_kernelILi4EZZZNS0_12_GLOBAL__N_117hardshrink_kernelERNS_18TensorIteratorBaseERKN3c106ScalarEENKUlvE_clEvENKUlvE_clEvEUldE_St5arrayIPcLm2EEEEviT0_T1_.uses_flat_scratch, 0
	.set _ZN2at6native29vectorized_elementwise_kernelILi4EZZZNS0_12_GLOBAL__N_117hardshrink_kernelERNS_18TensorIteratorBaseERKN3c106ScalarEENKUlvE_clEvENKUlvE_clEvEUldE_St5arrayIPcLm2EEEEviT0_T1_.has_dyn_sized_stack, 0
	.set _ZN2at6native29vectorized_elementwise_kernelILi4EZZZNS0_12_GLOBAL__N_117hardshrink_kernelERNS_18TensorIteratorBaseERKN3c106ScalarEENKUlvE_clEvENKUlvE_clEvEUldE_St5arrayIPcLm2EEEEviT0_T1_.has_recursion, 0
	.set _ZN2at6native29vectorized_elementwise_kernelILi4EZZZNS0_12_GLOBAL__N_117hardshrink_kernelERNS_18TensorIteratorBaseERKN3c106ScalarEENKUlvE_clEvENKUlvE_clEvEUldE_St5arrayIPcLm2EEEEviT0_T1_.has_indirect_call, 0
	.section	.AMDGPU.csdata,"",@progbits
; Kernel info:
; codeLenInByte = 1008
; TotalNumSgprs: 19
; NumVgprs: 15
; ScratchSize: 0
; MemoryBound: 0
; FloatMode: 240
; IeeeMode: 1
; LDSByteSize: 0 bytes/workgroup (compile time only)
; SGPRBlocks: 0
; VGPRBlocks: 0
; NumSGPRsForWavesPerEU: 19
; NumVGPRsForWavesPerEU: 15
; NamedBarCnt: 0
; Occupancy: 16
; WaveLimiterHint : 0
; COMPUTE_PGM_RSRC2:SCRATCH_EN: 0
; COMPUTE_PGM_RSRC2:USER_SGPR: 2
; COMPUTE_PGM_RSRC2:TRAP_HANDLER: 0
; COMPUTE_PGM_RSRC2:TGID_X_EN: 1
; COMPUTE_PGM_RSRC2:TGID_Y_EN: 0
; COMPUTE_PGM_RSRC2:TGID_Z_EN: 0
; COMPUTE_PGM_RSRC2:TIDIG_COMP_CNT: 0
	.section	.text._ZN2at6native29vectorized_elementwise_kernelILi2EZZZNS0_12_GLOBAL__N_117hardshrink_kernelERNS_18TensorIteratorBaseERKN3c106ScalarEENKUlvE_clEvENKUlvE_clEvEUldE_St5arrayIPcLm2EEEEviT0_T1_,"axG",@progbits,_ZN2at6native29vectorized_elementwise_kernelILi2EZZZNS0_12_GLOBAL__N_117hardshrink_kernelERNS_18TensorIteratorBaseERKN3c106ScalarEENKUlvE_clEvENKUlvE_clEvEUldE_St5arrayIPcLm2EEEEviT0_T1_,comdat
	.globl	_ZN2at6native29vectorized_elementwise_kernelILi2EZZZNS0_12_GLOBAL__N_117hardshrink_kernelERNS_18TensorIteratorBaseERKN3c106ScalarEENKUlvE_clEvENKUlvE_clEvEUldE_St5arrayIPcLm2EEEEviT0_T1_ ; -- Begin function _ZN2at6native29vectorized_elementwise_kernelILi2EZZZNS0_12_GLOBAL__N_117hardshrink_kernelERNS_18TensorIteratorBaseERKN3c106ScalarEENKUlvE_clEvENKUlvE_clEvEUldE_St5arrayIPcLm2EEEEviT0_T1_
	.p2align	8
	.type	_ZN2at6native29vectorized_elementwise_kernelILi2EZZZNS0_12_GLOBAL__N_117hardshrink_kernelERNS_18TensorIteratorBaseERKN3c106ScalarEENKUlvE_clEvENKUlvE_clEvEUldE_St5arrayIPcLm2EEEEviT0_T1_,@function
_ZN2at6native29vectorized_elementwise_kernelILi2EZZZNS0_12_GLOBAL__N_117hardshrink_kernelERNS_18TensorIteratorBaseERKN3c106ScalarEENKUlvE_clEvENKUlvE_clEvEUldE_St5arrayIPcLm2EEEEviT0_T1_: ; @_ZN2at6native29vectorized_elementwise_kernelILi2EZZZNS0_12_GLOBAL__N_117hardshrink_kernelERNS_18TensorIteratorBaseERKN3c106ScalarEENKUlvE_clEvENKUlvE_clEvEUldE_St5arrayIPcLm2EEEEviT0_T1_
; %bb.0:
	s_clause 0x2
	s_load_b32 s2, s[0:1], 0x0
	s_load_b128 s[8:11], s[0:1], 0x8
	s_load_b64 s[4:5], s[0:1], 0x18
	s_wait_xcnt 0x0
	s_bfe_u32 s0, ttmp6, 0x4000c
	s_and_b32 s1, ttmp6, 15
	s_add_co_i32 s0, s0, 1
	s_getreg_b32 s3, hwreg(HW_REG_IB_STS2, 6, 4)
	s_mul_i32 s0, ttmp9, s0
	s_delay_alu instid0(SALU_CYCLE_1) | instskip(SKIP_2) | instid1(SALU_CYCLE_1)
	s_add_co_i32 s1, s1, s0
	s_cmp_eq_u32 s3, 0
	s_cselect_b32 s0, ttmp9, s1
	s_lshl_b32 s12, s0, 10
	s_mov_b32 s0, -1
	s_wait_kmcnt 0x0
	s_sub_co_i32 s7, s2, s12
	s_delay_alu instid0(SALU_CYCLE_1)
	s_cmp_gt_i32 s7, 0x3ff
	s_cbranch_scc0 .LBB3_2
; %bb.1:
	s_ashr_i32 s13, s12, 31
	s_delay_alu instid0(SALU_CYCLE_1) | instskip(NEXT) | instid1(SALU_CYCLE_1)
	s_lshl_b64 s[14:15], s[12:13], 3
	s_add_nc_u64 s[0:1], s[4:5], s[14:15]
	s_clause 0x1
	global_load_b128 v[2:5], v0, s[0:1] scale_offset
	global_load_b128 v[6:9], v0, s[0:1] offset:4096 scale_offset
	s_wait_loadcnt 0x1
	v_cmp_nge_f64_e64 s3, v[2:3], -s[8:9]
	v_cmp_nge_f64_e32 vcc_lo, s[8:9], v[2:3]
	v_cmp_nge_f64_e64 s6, v[4:5], -s[8:9]
	s_wait_xcnt 0x0
	v_cmp_nge_f64_e64 s0, s[8:9], v[4:5]
	s_wait_loadcnt 0x0
	v_cmp_nge_f64_e64 s13, v[6:7], -s[8:9]
	v_cmp_nge_f64_e64 s1, s[8:9], v[6:7]
	v_cmp_nge_f64_e64 s16, v[8:9], -s[8:9]
	v_cmp_nge_f64_e64 s2, s[8:9], v[8:9]
	s_or_b32 vcc_lo, s3, vcc_lo
	s_or_b32 s0, s6, s0
	s_delay_alu instid0(SALU_CYCLE_1)
	v_dual_cndmask_b32 v3, 0, v3, vcc_lo :: v_dual_cndmask_b32 v5, 0, v5, s0
	s_or_b32 s1, s13, s1
	s_or_b32 s2, s16, s2
	v_dual_cndmask_b32 v2, 0, v2, vcc_lo :: v_dual_cndmask_b32 v4, 0, v4, s0
	v_dual_cndmask_b32 v7, 0, v7, s1 :: v_dual_cndmask_b32 v9, 0, v9, s2
	v_dual_cndmask_b32 v6, 0, v6, s1 :: v_dual_cndmask_b32 v8, 0, v8, s2
	s_add_nc_u64 s[2:3], s[10:11], s[14:15]
	s_mov_b32 s0, 0
	s_clause 0x1
	global_store_b128 v0, v[2:5], s[2:3] scale_offset
	global_store_b128 v0, v[6:9], s[2:3] offset:4096 scale_offset
.LBB3_2:
	s_and_not1_b32 vcc_lo, exec_lo, s0
	s_cbranch_vccnz .LBB3_16
; %bb.3:
	s_wait_xcnt 0x1
	v_mov_b64_e32 v[2:3], 0
	v_mov_b64_e32 v[4:5], 0
	v_cmp_gt_i32_e32 vcc_lo, s7, v0
	v_dual_mov_b32 v10, v0 :: v_dual_bitop2_b32 v1, s12, v0 bitop3:0x54
	v_or_b32_e32 v14, 0x100, v0
	s_wait_xcnt 0x0
	s_and_saveexec_b32 s0, vcc_lo
	s_cbranch_execz .LBB3_5
; %bb.4:
	global_load_b64 v[4:5], v1, s[4:5] scale_offset
	v_or_b32_e32 v10, 0x100, v0
.LBB3_5:
	s_wait_xcnt 0x0
	s_or_b32 exec_lo, exec_lo, s0
	s_delay_alu instid0(SALU_CYCLE_1) | instskip(NEXT) | instid1(VALU_DEP_1)
	s_mov_b32 s1, exec_lo
	v_cmpx_gt_i32_e64 s7, v10
	s_cbranch_execz .LBB3_7
; %bb.6:
	v_add_nc_u32_e32 v2, s12, v10
	v_add_nc_u32_e32 v10, 0x100, v10
	global_load_b64 v[2:3], v2, s[4:5] scale_offset
.LBB3_7:
	s_wait_xcnt 0x0
	s_or_b32 exec_lo, exec_lo, s1
	v_mov_b64_e32 v[6:7], 0
	v_mov_b64_e32 v[8:9], 0
	s_mov_b32 s1, exec_lo
	v_cmpx_gt_i32_e64 s7, v10
	s_cbranch_execz .LBB3_9
; %bb.8:
	v_add_nc_u32_e32 v8, s12, v10
	v_add_nc_u32_e32 v10, 0x100, v10
	global_load_b64 v[8:9], v8, s[4:5] scale_offset
.LBB3_9:
	s_wait_xcnt 0x0
	s_or_b32 exec_lo, exec_lo, s1
	s_delay_alu instid0(SALU_CYCLE_1)
	s_mov_b32 s1, exec_lo
	v_cmpx_gt_i32_e64 s7, v10
	s_cbranch_execz .LBB3_11
; %bb.10:
	v_add_nc_u32_e32 v6, s12, v10
	global_load_b64 v[6:7], v6, s[4:5] scale_offset
.LBB3_11:
	s_wait_xcnt 0x0
	s_or_b32 exec_lo, exec_lo, s1
	s_wait_loadcnt 0x0
	v_cmp_nge_f64_e64 s13, v[4:5], -s[8:9]
	v_cmp_nge_f64_e64 s0, s[8:9], v[4:5]
	v_cmp_nge_f64_e64 s14, v[2:3], -s[8:9]
	v_cmp_nge_f64_e64 s1, s[8:9], v[2:3]
	;; [unrolled: 2-line block ×4, first 2 shown]
	v_or_b32_e32 v10, 0x200, v0
	v_or_b32_e32 v11, 0x300, v0
	v_cmp_gt_i32_e64 s4, s7, v14
	s_delay_alu instid0(VALU_DEP_3) | instskip(NEXT) | instid1(VALU_DEP_3)
	v_cmp_gt_i32_e64 s5, s7, v10
	v_cmp_gt_i32_e64 s6, s7, v11
	s_or_b32 s0, s13, s0
	s_or_b32 s1, s14, s1
	s_and_b32 s0, vcc_lo, s0
	s_or_b32 s2, s15, s2
	s_and_b32 s1, s4, s1
	s_or_b32 s3, s16, s3
	s_and_b32 s2, s5, s2
	s_and_b32 s3, s6, s3
	v_dual_cndmask_b32 v13, 0, v5, s0 :: v_dual_cndmask_b32 v11, 0, v3, s1
	v_dual_cndmask_b32 v5, 0, v9, s2 :: v_dual_cndmask_b32 v3, 0, v7, s3
	v_dual_cndmask_b32 v12, 0, v4, s0 :: v_dual_cndmask_b32 v10, 0, v2, s1
	v_dual_cndmask_b32 v4, 0, v8, s2 :: v_dual_cndmask_b32 v2, 0, v6, s3
	s_and_saveexec_b32 s0, vcc_lo
	s_cbranch_execnz .LBB3_17
; %bb.12:
	s_or_b32 exec_lo, exec_lo, s0
	s_delay_alu instid0(SALU_CYCLE_1)
	s_mov_b32 s0, exec_lo
	v_cmpx_gt_i32_e64 s7, v0
	s_cbranch_execnz .LBB3_18
.LBB3_13:
	s_or_b32 exec_lo, exec_lo, s0
	s_delay_alu instid0(SALU_CYCLE_1)
	s_mov_b32 s0, exec_lo
	v_cmpx_gt_i32_e64 s7, v0
	s_cbranch_execnz .LBB3_19
.LBB3_14:
	s_or_b32 exec_lo, exec_lo, s0
	s_delay_alu instid0(SALU_CYCLE_1)
	s_mov_b32 s0, exec_lo
	v_cmpx_gt_i32_e64 s7, v0
	s_cbranch_execz .LBB3_16
.LBB3_15:
	v_add_nc_u32_e32 v0, s12, v0
	global_store_b64 v0, v[2:3], s[10:11] scale_offset
.LBB3_16:
	s_endpgm
.LBB3_17:
	v_mov_b32_e32 v0, v14
	global_store_b64 v1, v[12:13], s[10:11] scale_offset
	s_wait_xcnt 0x0
	s_or_b32 exec_lo, exec_lo, s0
	s_delay_alu instid0(SALU_CYCLE_1)
	s_mov_b32 s0, exec_lo
	v_cmpx_gt_i32_e64 s7, v0
	s_cbranch_execz .LBB3_13
.LBB3_18:
	v_add_nc_u32_e32 v1, s12, v0
	v_add_nc_u32_e32 v0, 0x100, v0
	global_store_b64 v1, v[10:11], s[10:11] scale_offset
	s_wait_xcnt 0x0
	s_or_b32 exec_lo, exec_lo, s0
	s_delay_alu instid0(SALU_CYCLE_1)
	s_mov_b32 s0, exec_lo
	v_cmpx_gt_i32_e64 s7, v0
	s_cbranch_execz .LBB3_14
.LBB3_19:
	v_add_nc_u32_e32 v1, s12, v0
	v_add_nc_u32_e32 v0, 0x100, v0
	global_store_b64 v1, v[4:5], s[10:11] scale_offset
	s_wait_xcnt 0x0
	s_or_b32 exec_lo, exec_lo, s0
	s_delay_alu instid0(SALU_CYCLE_1)
	s_mov_b32 s0, exec_lo
	v_cmpx_gt_i32_e64 s7, v0
	s_cbranch_execnz .LBB3_15
	s_branch .LBB3_16
	.section	.rodata,"a",@progbits
	.p2align	6, 0x0
	.amdhsa_kernel _ZN2at6native29vectorized_elementwise_kernelILi2EZZZNS0_12_GLOBAL__N_117hardshrink_kernelERNS_18TensorIteratorBaseERKN3c106ScalarEENKUlvE_clEvENKUlvE_clEvEUldE_St5arrayIPcLm2EEEEviT0_T1_
		.amdhsa_group_segment_fixed_size 0
		.amdhsa_private_segment_fixed_size 0
		.amdhsa_kernarg_size 32
		.amdhsa_user_sgpr_count 2
		.amdhsa_user_sgpr_dispatch_ptr 0
		.amdhsa_user_sgpr_queue_ptr 0
		.amdhsa_user_sgpr_kernarg_segment_ptr 1
		.amdhsa_user_sgpr_dispatch_id 0
		.amdhsa_user_sgpr_kernarg_preload_length 0
		.amdhsa_user_sgpr_kernarg_preload_offset 0
		.amdhsa_user_sgpr_private_segment_size 0
		.amdhsa_wavefront_size32 1
		.amdhsa_uses_dynamic_stack 0
		.amdhsa_enable_private_segment 0
		.amdhsa_system_sgpr_workgroup_id_x 1
		.amdhsa_system_sgpr_workgroup_id_y 0
		.amdhsa_system_sgpr_workgroup_id_z 0
		.amdhsa_system_sgpr_workgroup_info 0
		.amdhsa_system_vgpr_workitem_id 0
		.amdhsa_next_free_vgpr 15
		.amdhsa_next_free_sgpr 17
		.amdhsa_named_barrier_count 0
		.amdhsa_reserve_vcc 1
		.amdhsa_float_round_mode_32 0
		.amdhsa_float_round_mode_16_64 0
		.amdhsa_float_denorm_mode_32 3
		.amdhsa_float_denorm_mode_16_64 3
		.amdhsa_fp16_overflow 0
		.amdhsa_memory_ordered 1
		.amdhsa_forward_progress 1
		.amdhsa_inst_pref_size 8
		.amdhsa_round_robin_scheduling 0
		.amdhsa_exception_fp_ieee_invalid_op 0
		.amdhsa_exception_fp_denorm_src 0
		.amdhsa_exception_fp_ieee_div_zero 0
		.amdhsa_exception_fp_ieee_overflow 0
		.amdhsa_exception_fp_ieee_underflow 0
		.amdhsa_exception_fp_ieee_inexact 0
		.amdhsa_exception_int_div_zero 0
	.end_amdhsa_kernel
	.section	.text._ZN2at6native29vectorized_elementwise_kernelILi2EZZZNS0_12_GLOBAL__N_117hardshrink_kernelERNS_18TensorIteratorBaseERKN3c106ScalarEENKUlvE_clEvENKUlvE_clEvEUldE_St5arrayIPcLm2EEEEviT0_T1_,"axG",@progbits,_ZN2at6native29vectorized_elementwise_kernelILi2EZZZNS0_12_GLOBAL__N_117hardshrink_kernelERNS_18TensorIteratorBaseERKN3c106ScalarEENKUlvE_clEvENKUlvE_clEvEUldE_St5arrayIPcLm2EEEEviT0_T1_,comdat
.Lfunc_end3:
	.size	_ZN2at6native29vectorized_elementwise_kernelILi2EZZZNS0_12_GLOBAL__N_117hardshrink_kernelERNS_18TensorIteratorBaseERKN3c106ScalarEENKUlvE_clEvENKUlvE_clEvEUldE_St5arrayIPcLm2EEEEviT0_T1_, .Lfunc_end3-_ZN2at6native29vectorized_elementwise_kernelILi2EZZZNS0_12_GLOBAL__N_117hardshrink_kernelERNS_18TensorIteratorBaseERKN3c106ScalarEENKUlvE_clEvENKUlvE_clEvEUldE_St5arrayIPcLm2EEEEviT0_T1_
                                        ; -- End function
	.set _ZN2at6native29vectorized_elementwise_kernelILi2EZZZNS0_12_GLOBAL__N_117hardshrink_kernelERNS_18TensorIteratorBaseERKN3c106ScalarEENKUlvE_clEvENKUlvE_clEvEUldE_St5arrayIPcLm2EEEEviT0_T1_.num_vgpr, 15
	.set _ZN2at6native29vectorized_elementwise_kernelILi2EZZZNS0_12_GLOBAL__N_117hardshrink_kernelERNS_18TensorIteratorBaseERKN3c106ScalarEENKUlvE_clEvENKUlvE_clEvEUldE_St5arrayIPcLm2EEEEviT0_T1_.num_agpr, 0
	.set _ZN2at6native29vectorized_elementwise_kernelILi2EZZZNS0_12_GLOBAL__N_117hardshrink_kernelERNS_18TensorIteratorBaseERKN3c106ScalarEENKUlvE_clEvENKUlvE_clEvEUldE_St5arrayIPcLm2EEEEviT0_T1_.numbered_sgpr, 17
	.set _ZN2at6native29vectorized_elementwise_kernelILi2EZZZNS0_12_GLOBAL__N_117hardshrink_kernelERNS_18TensorIteratorBaseERKN3c106ScalarEENKUlvE_clEvENKUlvE_clEvEUldE_St5arrayIPcLm2EEEEviT0_T1_.num_named_barrier, 0
	.set _ZN2at6native29vectorized_elementwise_kernelILi2EZZZNS0_12_GLOBAL__N_117hardshrink_kernelERNS_18TensorIteratorBaseERKN3c106ScalarEENKUlvE_clEvENKUlvE_clEvEUldE_St5arrayIPcLm2EEEEviT0_T1_.private_seg_size, 0
	.set _ZN2at6native29vectorized_elementwise_kernelILi2EZZZNS0_12_GLOBAL__N_117hardshrink_kernelERNS_18TensorIteratorBaseERKN3c106ScalarEENKUlvE_clEvENKUlvE_clEvEUldE_St5arrayIPcLm2EEEEviT0_T1_.uses_vcc, 1
	.set _ZN2at6native29vectorized_elementwise_kernelILi2EZZZNS0_12_GLOBAL__N_117hardshrink_kernelERNS_18TensorIteratorBaseERKN3c106ScalarEENKUlvE_clEvENKUlvE_clEvEUldE_St5arrayIPcLm2EEEEviT0_T1_.uses_flat_scratch, 0
	.set _ZN2at6native29vectorized_elementwise_kernelILi2EZZZNS0_12_GLOBAL__N_117hardshrink_kernelERNS_18TensorIteratorBaseERKN3c106ScalarEENKUlvE_clEvENKUlvE_clEvEUldE_St5arrayIPcLm2EEEEviT0_T1_.has_dyn_sized_stack, 0
	.set _ZN2at6native29vectorized_elementwise_kernelILi2EZZZNS0_12_GLOBAL__N_117hardshrink_kernelERNS_18TensorIteratorBaseERKN3c106ScalarEENKUlvE_clEvENKUlvE_clEvEUldE_St5arrayIPcLm2EEEEviT0_T1_.has_recursion, 0
	.set _ZN2at6native29vectorized_elementwise_kernelILi2EZZZNS0_12_GLOBAL__N_117hardshrink_kernelERNS_18TensorIteratorBaseERKN3c106ScalarEENKUlvE_clEvENKUlvE_clEvEUldE_St5arrayIPcLm2EEEEviT0_T1_.has_indirect_call, 0
	.section	.AMDGPU.csdata,"",@progbits
; Kernel info:
; codeLenInByte = 1004
; TotalNumSgprs: 19
; NumVgprs: 15
; ScratchSize: 0
; MemoryBound: 0
; FloatMode: 240
; IeeeMode: 1
; LDSByteSize: 0 bytes/workgroup (compile time only)
; SGPRBlocks: 0
; VGPRBlocks: 0
; NumSGPRsForWavesPerEU: 19
; NumVGPRsForWavesPerEU: 15
; NamedBarCnt: 0
; Occupancy: 16
; WaveLimiterHint : 1
; COMPUTE_PGM_RSRC2:SCRATCH_EN: 0
; COMPUTE_PGM_RSRC2:USER_SGPR: 2
; COMPUTE_PGM_RSRC2:TRAP_HANDLER: 0
; COMPUTE_PGM_RSRC2:TGID_X_EN: 1
; COMPUTE_PGM_RSRC2:TGID_Y_EN: 0
; COMPUTE_PGM_RSRC2:TGID_Z_EN: 0
; COMPUTE_PGM_RSRC2:TIDIG_COMP_CNT: 0
	.section	.text._ZN2at6native27unrolled_elementwise_kernelIZZZNS0_12_GLOBAL__N_117hardshrink_kernelERNS_18TensorIteratorBaseERKN3c106ScalarEENKUlvE_clEvENKUlvE_clEvEUldE_St5arrayIPcLm2EELi4E23TrivialOffsetCalculatorILi1EjESG_NS0_6memory15LoadWithoutCastENSH_16StoreWithoutCastEEEviT_T0_T2_T3_T4_T5_,"axG",@progbits,_ZN2at6native27unrolled_elementwise_kernelIZZZNS0_12_GLOBAL__N_117hardshrink_kernelERNS_18TensorIteratorBaseERKN3c106ScalarEENKUlvE_clEvENKUlvE_clEvEUldE_St5arrayIPcLm2EELi4E23TrivialOffsetCalculatorILi1EjESG_NS0_6memory15LoadWithoutCastENSH_16StoreWithoutCastEEEviT_T0_T2_T3_T4_T5_,comdat
	.globl	_ZN2at6native27unrolled_elementwise_kernelIZZZNS0_12_GLOBAL__N_117hardshrink_kernelERNS_18TensorIteratorBaseERKN3c106ScalarEENKUlvE_clEvENKUlvE_clEvEUldE_St5arrayIPcLm2EELi4E23TrivialOffsetCalculatorILi1EjESG_NS0_6memory15LoadWithoutCastENSH_16StoreWithoutCastEEEviT_T0_T2_T3_T4_T5_ ; -- Begin function _ZN2at6native27unrolled_elementwise_kernelIZZZNS0_12_GLOBAL__N_117hardshrink_kernelERNS_18TensorIteratorBaseERKN3c106ScalarEENKUlvE_clEvENKUlvE_clEvEUldE_St5arrayIPcLm2EELi4E23TrivialOffsetCalculatorILi1EjESG_NS0_6memory15LoadWithoutCastENSH_16StoreWithoutCastEEEviT_T0_T2_T3_T4_T5_
	.p2align	8
	.type	_ZN2at6native27unrolled_elementwise_kernelIZZZNS0_12_GLOBAL__N_117hardshrink_kernelERNS_18TensorIteratorBaseERKN3c106ScalarEENKUlvE_clEvENKUlvE_clEvEUldE_St5arrayIPcLm2EELi4E23TrivialOffsetCalculatorILi1EjESG_NS0_6memory15LoadWithoutCastENSH_16StoreWithoutCastEEEviT_T0_T2_T3_T4_T5_,@function
_ZN2at6native27unrolled_elementwise_kernelIZZZNS0_12_GLOBAL__N_117hardshrink_kernelERNS_18TensorIteratorBaseERKN3c106ScalarEENKUlvE_clEvENKUlvE_clEvEUldE_St5arrayIPcLm2EELi4E23TrivialOffsetCalculatorILi1EjESG_NS0_6memory15LoadWithoutCastENSH_16StoreWithoutCastEEEviT_T0_T2_T3_T4_T5_: ; @_ZN2at6native27unrolled_elementwise_kernelIZZZNS0_12_GLOBAL__N_117hardshrink_kernelERNS_18TensorIteratorBaseERKN3c106ScalarEENKUlvE_clEvENKUlvE_clEvEUldE_St5arrayIPcLm2EELi4E23TrivialOffsetCalculatorILi1EjESG_NS0_6memory15LoadWithoutCastENSH_16StoreWithoutCastEEEviT_T0_T2_T3_T4_T5_
; %bb.0:
	s_clause 0x1
	s_load_b32 s4, s[0:1], 0x0
	s_load_b64 s[2:3], s[0:1], 0x18
	s_bfe_u32 s5, ttmp6, 0x4000c
	s_and_b32 s6, ttmp6, 15
	s_add_co_i32 s5, s5, 1
	s_getreg_b32 s7, hwreg(HW_REG_IB_STS2, 6, 4)
	s_mul_i32 s5, ttmp9, s5
	v_mov_b64_e32 v[2:3], 0
	s_add_co_i32 s6, s6, s5
	s_cmp_eq_u32 s7, 0
	v_mov_b64_e32 v[4:5], 0
	s_cselect_b32 s5, ttmp9, s6
	v_or_b32_e32 v1, 0x100, v0
	s_lshl_b32 s7, s5, 10
	s_delay_alu instid0(SALU_CYCLE_1) | instskip(SKIP_2) | instid1(SALU_CYCLE_1)
	v_dual_mov_b32 v10, v0 :: v_dual_bitop2_b32 v14, s7, v0 bitop3:0x54
	s_wait_kmcnt 0x0
	s_sub_co_i32 s12, s4, s7
	v_cmp_gt_i32_e32 vcc_lo, s12, v0
	s_and_saveexec_b32 s4, vcc_lo
	s_cbranch_execz .LBB4_2
; %bb.1:
	global_load_b64 v[4:5], v14, s[2:3] scale_offset
	v_or_b32_e32 v10, 0x100, v0
.LBB4_2:
	s_wait_xcnt 0x0
	s_or_b32 exec_lo, exec_lo, s4
	s_load_b128 s[8:11], s[0:1], 0x8
	s_wait_xcnt 0x0
	s_mov_b32 s1, exec_lo
	v_cmpx_gt_i32_e64 s12, v10
	s_cbranch_execz .LBB4_4
; %bb.3:
	v_add_nc_u32_e32 v2, s7, v10
	v_add_nc_u32_e32 v10, 0x100, v10
	global_load_b64 v[2:3], v2, s[2:3] scale_offset
.LBB4_4:
	s_wait_xcnt 0x0
	s_or_b32 exec_lo, exec_lo, s1
	v_mov_b64_e32 v[6:7], 0
	v_mov_b64_e32 v[8:9], 0
	s_mov_b32 s1, exec_lo
	v_cmpx_gt_i32_e64 s12, v10
	s_cbranch_execz .LBB4_6
; %bb.5:
	v_add_nc_u32_e32 v8, s7, v10
	v_add_nc_u32_e32 v10, 0x100, v10
	global_load_b64 v[8:9], v8, s[2:3] scale_offset
.LBB4_6:
	s_wait_xcnt 0x0
	s_or_b32 exec_lo, exec_lo, s1
	s_delay_alu instid0(SALU_CYCLE_1)
	s_mov_b32 s1, exec_lo
	v_cmpx_gt_i32_e64 s12, v10
	s_cbranch_execz .LBB4_8
; %bb.7:
	v_add_nc_u32_e32 v6, s7, v10
	global_load_b64 v[6:7], v6, s[2:3] scale_offset
.LBB4_8:
	s_wait_xcnt 0x0
	s_or_b32 exec_lo, exec_lo, s1
	s_wait_loadcnt 0x0
	s_wait_kmcnt 0x0
	v_cmp_nge_f64_e64 s13, v[4:5], -s[8:9]
	v_cmp_nge_f64_e64 s0, s[8:9], v[4:5]
	v_cmp_nge_f64_e64 s14, v[2:3], -s[8:9]
	v_cmp_nge_f64_e64 s1, s[8:9], v[2:3]
	;; [unrolled: 2-line block ×4, first 2 shown]
	v_or_b32_e32 v10, 0x200, v0
	v_or_b32_e32 v11, 0x300, v0
	v_cmp_gt_i32_e64 s4, s12, v1
	s_delay_alu instid0(VALU_DEP_3) | instskip(NEXT) | instid1(VALU_DEP_3)
	v_cmp_gt_i32_e64 s5, s12, v10
	v_cmp_gt_i32_e64 s6, s12, v11
	s_or_b32 s0, s13, s0
	s_or_b32 s1, s14, s1
	s_and_b32 s0, vcc_lo, s0
	s_or_b32 s2, s15, s2
	s_and_b32 s1, s4, s1
	s_or_b32 s3, s16, s3
	s_and_b32 s2, s5, s2
	s_and_b32 s3, s6, s3
	v_dual_cndmask_b32 v13, 0, v5, s0 :: v_dual_cndmask_b32 v11, 0, v3, s1
	v_dual_cndmask_b32 v5, 0, v9, s2 :: v_dual_cndmask_b32 v3, 0, v7, s3
	;; [unrolled: 1-line block ×4, first 2 shown]
	s_and_saveexec_b32 s0, vcc_lo
	s_cbranch_execnz .LBB4_13
; %bb.9:
	s_or_b32 exec_lo, exec_lo, s0
	s_delay_alu instid0(SALU_CYCLE_1)
	s_mov_b32 s0, exec_lo
	v_cmpx_gt_i32_e64 s12, v0
	s_cbranch_execnz .LBB4_14
.LBB4_10:
	s_or_b32 exec_lo, exec_lo, s0
	s_delay_alu instid0(SALU_CYCLE_1)
	s_mov_b32 s0, exec_lo
	v_cmpx_gt_i32_e64 s12, v0
	s_cbranch_execnz .LBB4_15
.LBB4_11:
	s_or_b32 exec_lo, exec_lo, s0
	s_delay_alu instid0(SALU_CYCLE_1)
	s_mov_b32 s0, exec_lo
	v_cmpx_gt_i32_e64 s12, v0
	s_cbranch_execnz .LBB4_16
.LBB4_12:
	s_endpgm
.LBB4_13:
	v_mov_b32_e32 v0, v1
	global_store_b64 v14, v[12:13], s[10:11] scale_offset
	s_wait_xcnt 0x0
	s_or_b32 exec_lo, exec_lo, s0
	s_delay_alu instid0(SALU_CYCLE_1)
	s_mov_b32 s0, exec_lo
	v_cmpx_gt_i32_e64 s12, v0
	s_cbranch_execz .LBB4_10
.LBB4_14:
	v_add_nc_u32_e32 v1, 0x100, v0
	s_delay_alu instid0(VALU_DEP_1) | instskip(SKIP_3) | instid1(SALU_CYCLE_1)
	v_dual_add_nc_u32 v6, s7, v0 :: v_dual_mov_b32 v0, v1
	global_store_b64 v6, v[10:11], s[10:11] scale_offset
	s_wait_xcnt 0x0
	s_or_b32 exec_lo, exec_lo, s0
	s_mov_b32 s0, exec_lo
	v_cmpx_gt_i32_e64 s12, v0
	s_cbranch_execz .LBB4_11
.LBB4_15:
	v_add_nc_u32_e32 v1, 0x100, v0
	s_delay_alu instid0(VALU_DEP_1) | instskip(SKIP_3) | instid1(SALU_CYCLE_1)
	v_dual_add_nc_u32 v6, s7, v0 :: v_dual_mov_b32 v0, v1
	global_store_b64 v6, v[4:5], s[10:11] scale_offset
	s_wait_xcnt 0x0
	s_or_b32 exec_lo, exec_lo, s0
	s_mov_b32 s0, exec_lo
	v_cmpx_gt_i32_e64 s12, v0
	s_cbranch_execz .LBB4_12
.LBB4_16:
	v_add_nc_u32_e32 v0, s7, v0
	global_store_b64 v0, v[2:3], s[10:11] scale_offset
	s_endpgm
	.section	.rodata,"a",@progbits
	.p2align	6, 0x0
	.amdhsa_kernel _ZN2at6native27unrolled_elementwise_kernelIZZZNS0_12_GLOBAL__N_117hardshrink_kernelERNS_18TensorIteratorBaseERKN3c106ScalarEENKUlvE_clEvENKUlvE_clEvEUldE_St5arrayIPcLm2EELi4E23TrivialOffsetCalculatorILi1EjESG_NS0_6memory15LoadWithoutCastENSH_16StoreWithoutCastEEEviT_T0_T2_T3_T4_T5_
		.amdhsa_group_segment_fixed_size 0
		.amdhsa_private_segment_fixed_size 0
		.amdhsa_kernarg_size 36
		.amdhsa_user_sgpr_count 2
		.amdhsa_user_sgpr_dispatch_ptr 0
		.amdhsa_user_sgpr_queue_ptr 0
		.amdhsa_user_sgpr_kernarg_segment_ptr 1
		.amdhsa_user_sgpr_dispatch_id 0
		.amdhsa_user_sgpr_kernarg_preload_length 0
		.amdhsa_user_sgpr_kernarg_preload_offset 0
		.amdhsa_user_sgpr_private_segment_size 0
		.amdhsa_wavefront_size32 1
		.amdhsa_uses_dynamic_stack 0
		.amdhsa_enable_private_segment 0
		.amdhsa_system_sgpr_workgroup_id_x 1
		.amdhsa_system_sgpr_workgroup_id_y 0
		.amdhsa_system_sgpr_workgroup_id_z 0
		.amdhsa_system_sgpr_workgroup_info 0
		.amdhsa_system_vgpr_workitem_id 0
		.amdhsa_next_free_vgpr 15
		.amdhsa_next_free_sgpr 17
		.amdhsa_named_barrier_count 0
		.amdhsa_reserve_vcc 1
		.amdhsa_float_round_mode_32 0
		.amdhsa_float_round_mode_16_64 0
		.amdhsa_float_denorm_mode_32 3
		.amdhsa_float_denorm_mode_16_64 3
		.amdhsa_fp16_overflow 0
		.amdhsa_memory_ordered 1
		.amdhsa_forward_progress 1
		.amdhsa_inst_pref_size 6
		.amdhsa_round_robin_scheduling 0
		.amdhsa_exception_fp_ieee_invalid_op 0
		.amdhsa_exception_fp_denorm_src 0
		.amdhsa_exception_fp_ieee_div_zero 0
		.amdhsa_exception_fp_ieee_overflow 0
		.amdhsa_exception_fp_ieee_underflow 0
		.amdhsa_exception_fp_ieee_inexact 0
		.amdhsa_exception_int_div_zero 0
	.end_amdhsa_kernel
	.section	.text._ZN2at6native27unrolled_elementwise_kernelIZZZNS0_12_GLOBAL__N_117hardshrink_kernelERNS_18TensorIteratorBaseERKN3c106ScalarEENKUlvE_clEvENKUlvE_clEvEUldE_St5arrayIPcLm2EELi4E23TrivialOffsetCalculatorILi1EjESG_NS0_6memory15LoadWithoutCastENSH_16StoreWithoutCastEEEviT_T0_T2_T3_T4_T5_,"axG",@progbits,_ZN2at6native27unrolled_elementwise_kernelIZZZNS0_12_GLOBAL__N_117hardshrink_kernelERNS_18TensorIteratorBaseERKN3c106ScalarEENKUlvE_clEvENKUlvE_clEvEUldE_St5arrayIPcLm2EELi4E23TrivialOffsetCalculatorILi1EjESG_NS0_6memory15LoadWithoutCastENSH_16StoreWithoutCastEEEviT_T0_T2_T3_T4_T5_,comdat
.Lfunc_end4:
	.size	_ZN2at6native27unrolled_elementwise_kernelIZZZNS0_12_GLOBAL__N_117hardshrink_kernelERNS_18TensorIteratorBaseERKN3c106ScalarEENKUlvE_clEvENKUlvE_clEvEUldE_St5arrayIPcLm2EELi4E23TrivialOffsetCalculatorILi1EjESG_NS0_6memory15LoadWithoutCastENSH_16StoreWithoutCastEEEviT_T0_T2_T3_T4_T5_, .Lfunc_end4-_ZN2at6native27unrolled_elementwise_kernelIZZZNS0_12_GLOBAL__N_117hardshrink_kernelERNS_18TensorIteratorBaseERKN3c106ScalarEENKUlvE_clEvENKUlvE_clEvEUldE_St5arrayIPcLm2EELi4E23TrivialOffsetCalculatorILi1EjESG_NS0_6memory15LoadWithoutCastENSH_16StoreWithoutCastEEEviT_T0_T2_T3_T4_T5_
                                        ; -- End function
	.set _ZN2at6native27unrolled_elementwise_kernelIZZZNS0_12_GLOBAL__N_117hardshrink_kernelERNS_18TensorIteratorBaseERKN3c106ScalarEENKUlvE_clEvENKUlvE_clEvEUldE_St5arrayIPcLm2EELi4E23TrivialOffsetCalculatorILi1EjESG_NS0_6memory15LoadWithoutCastENSH_16StoreWithoutCastEEEviT_T0_T2_T3_T4_T5_.num_vgpr, 15
	.set _ZN2at6native27unrolled_elementwise_kernelIZZZNS0_12_GLOBAL__N_117hardshrink_kernelERNS_18TensorIteratorBaseERKN3c106ScalarEENKUlvE_clEvENKUlvE_clEvEUldE_St5arrayIPcLm2EELi4E23TrivialOffsetCalculatorILi1EjESG_NS0_6memory15LoadWithoutCastENSH_16StoreWithoutCastEEEviT_T0_T2_T3_T4_T5_.num_agpr, 0
	.set _ZN2at6native27unrolled_elementwise_kernelIZZZNS0_12_GLOBAL__N_117hardshrink_kernelERNS_18TensorIteratorBaseERKN3c106ScalarEENKUlvE_clEvENKUlvE_clEvEUldE_St5arrayIPcLm2EELi4E23TrivialOffsetCalculatorILi1EjESG_NS0_6memory15LoadWithoutCastENSH_16StoreWithoutCastEEEviT_T0_T2_T3_T4_T5_.numbered_sgpr, 17
	.set _ZN2at6native27unrolled_elementwise_kernelIZZZNS0_12_GLOBAL__N_117hardshrink_kernelERNS_18TensorIteratorBaseERKN3c106ScalarEENKUlvE_clEvENKUlvE_clEvEUldE_St5arrayIPcLm2EELi4E23TrivialOffsetCalculatorILi1EjESG_NS0_6memory15LoadWithoutCastENSH_16StoreWithoutCastEEEviT_T0_T2_T3_T4_T5_.num_named_barrier, 0
	.set _ZN2at6native27unrolled_elementwise_kernelIZZZNS0_12_GLOBAL__N_117hardshrink_kernelERNS_18TensorIteratorBaseERKN3c106ScalarEENKUlvE_clEvENKUlvE_clEvEUldE_St5arrayIPcLm2EELi4E23TrivialOffsetCalculatorILi1EjESG_NS0_6memory15LoadWithoutCastENSH_16StoreWithoutCastEEEviT_T0_T2_T3_T4_T5_.private_seg_size, 0
	.set _ZN2at6native27unrolled_elementwise_kernelIZZZNS0_12_GLOBAL__N_117hardshrink_kernelERNS_18TensorIteratorBaseERKN3c106ScalarEENKUlvE_clEvENKUlvE_clEvEUldE_St5arrayIPcLm2EELi4E23TrivialOffsetCalculatorILi1EjESG_NS0_6memory15LoadWithoutCastENSH_16StoreWithoutCastEEEviT_T0_T2_T3_T4_T5_.uses_vcc, 1
	.set _ZN2at6native27unrolled_elementwise_kernelIZZZNS0_12_GLOBAL__N_117hardshrink_kernelERNS_18TensorIteratorBaseERKN3c106ScalarEENKUlvE_clEvENKUlvE_clEvEUldE_St5arrayIPcLm2EELi4E23TrivialOffsetCalculatorILi1EjESG_NS0_6memory15LoadWithoutCastENSH_16StoreWithoutCastEEEviT_T0_T2_T3_T4_T5_.uses_flat_scratch, 0
	.set _ZN2at6native27unrolled_elementwise_kernelIZZZNS0_12_GLOBAL__N_117hardshrink_kernelERNS_18TensorIteratorBaseERKN3c106ScalarEENKUlvE_clEvENKUlvE_clEvEUldE_St5arrayIPcLm2EELi4E23TrivialOffsetCalculatorILi1EjESG_NS0_6memory15LoadWithoutCastENSH_16StoreWithoutCastEEEviT_T0_T2_T3_T4_T5_.has_dyn_sized_stack, 0
	.set _ZN2at6native27unrolled_elementwise_kernelIZZZNS0_12_GLOBAL__N_117hardshrink_kernelERNS_18TensorIteratorBaseERKN3c106ScalarEENKUlvE_clEvENKUlvE_clEvEUldE_St5arrayIPcLm2EELi4E23TrivialOffsetCalculatorILi1EjESG_NS0_6memory15LoadWithoutCastENSH_16StoreWithoutCastEEEviT_T0_T2_T3_T4_T5_.has_recursion, 0
	.set _ZN2at6native27unrolled_elementwise_kernelIZZZNS0_12_GLOBAL__N_117hardshrink_kernelERNS_18TensorIteratorBaseERKN3c106ScalarEENKUlvE_clEvENKUlvE_clEvEUldE_St5arrayIPcLm2EELi4E23TrivialOffsetCalculatorILi1EjESG_NS0_6memory15LoadWithoutCastENSH_16StoreWithoutCastEEEviT_T0_T2_T3_T4_T5_.has_indirect_call, 0
	.section	.AMDGPU.csdata,"",@progbits
; Kernel info:
; codeLenInByte = 764
; TotalNumSgprs: 19
; NumVgprs: 15
; ScratchSize: 0
; MemoryBound: 0
; FloatMode: 240
; IeeeMode: 1
; LDSByteSize: 0 bytes/workgroup (compile time only)
; SGPRBlocks: 0
; VGPRBlocks: 0
; NumSGPRsForWavesPerEU: 19
; NumVGPRsForWavesPerEU: 15
; NamedBarCnt: 0
; Occupancy: 16
; WaveLimiterHint : 0
; COMPUTE_PGM_RSRC2:SCRATCH_EN: 0
; COMPUTE_PGM_RSRC2:USER_SGPR: 2
; COMPUTE_PGM_RSRC2:TRAP_HANDLER: 0
; COMPUTE_PGM_RSRC2:TGID_X_EN: 1
; COMPUTE_PGM_RSRC2:TGID_Y_EN: 0
; COMPUTE_PGM_RSRC2:TGID_Z_EN: 0
; COMPUTE_PGM_RSRC2:TIDIG_COMP_CNT: 0
	.section	.text._ZN2at6native32elementwise_kernel_manual_unrollILi128ELi4EZNS0_22gpu_kernel_impl_nocastIZZZNS0_12_GLOBAL__N_117hardshrink_kernelERNS_18TensorIteratorBaseERKN3c106ScalarEENKUlvE_clEvENKUlvE_clEvEUldE_EEvS5_RKT_EUlibE_EEviT1_,"axG",@progbits,_ZN2at6native32elementwise_kernel_manual_unrollILi128ELi4EZNS0_22gpu_kernel_impl_nocastIZZZNS0_12_GLOBAL__N_117hardshrink_kernelERNS_18TensorIteratorBaseERKN3c106ScalarEENKUlvE_clEvENKUlvE_clEvEUldE_EEvS5_RKT_EUlibE_EEviT1_,comdat
	.globl	_ZN2at6native32elementwise_kernel_manual_unrollILi128ELi4EZNS0_22gpu_kernel_impl_nocastIZZZNS0_12_GLOBAL__N_117hardshrink_kernelERNS_18TensorIteratorBaseERKN3c106ScalarEENKUlvE_clEvENKUlvE_clEvEUldE_EEvS5_RKT_EUlibE_EEviT1_ ; -- Begin function _ZN2at6native32elementwise_kernel_manual_unrollILi128ELi4EZNS0_22gpu_kernel_impl_nocastIZZZNS0_12_GLOBAL__N_117hardshrink_kernelERNS_18TensorIteratorBaseERKN3c106ScalarEENKUlvE_clEvENKUlvE_clEvEUldE_EEvS5_RKT_EUlibE_EEviT1_
	.p2align	8
	.type	_ZN2at6native32elementwise_kernel_manual_unrollILi128ELi4EZNS0_22gpu_kernel_impl_nocastIZZZNS0_12_GLOBAL__N_117hardshrink_kernelERNS_18TensorIteratorBaseERKN3c106ScalarEENKUlvE_clEvENKUlvE_clEvEUldE_EEvS5_RKT_EUlibE_EEviT1_,@function
_ZN2at6native32elementwise_kernel_manual_unrollILi128ELi4EZNS0_22gpu_kernel_impl_nocastIZZZNS0_12_GLOBAL__N_117hardshrink_kernelERNS_18TensorIteratorBaseERKN3c106ScalarEENKUlvE_clEvENKUlvE_clEvEUldE_EEvS5_RKT_EUlibE_EEviT1_: ; @_ZN2at6native32elementwise_kernel_manual_unrollILi128ELi4EZNS0_22gpu_kernel_impl_nocastIZZZNS0_12_GLOBAL__N_117hardshrink_kernelERNS_18TensorIteratorBaseERKN3c106ScalarEENKUlvE_clEvENKUlvE_clEvEUldE_EEvS5_RKT_EUlibE_EEviT1_
; %bb.0:
	s_clause 0x1
	s_load_b32 s30, s[0:1], 0x8
	s_load_b32 s36, s[0:1], 0x0
	s_bfe_u32 s2, ttmp6, 0x4000c
	s_and_b32 s3, ttmp6, 15
	s_add_co_i32 s2, s2, 1
	s_getreg_b32 s4, hwreg(HW_REG_IB_STS2, 6, 4)
	s_mul_i32 s2, ttmp9, s2
	s_add_nc_u64 s[12:13], s[0:1], 8
	s_add_co_i32 s3, s3, s2
	s_cmp_eq_u32 s4, 0
	s_mov_b32 s19, 0
	s_cselect_b32 s2, ttmp9, s3
	s_wait_xcnt 0x0
	s_mov_b32 s0, exec_lo
	v_lshl_or_b32 v0, s2, 9, v0
	s_delay_alu instid0(VALU_DEP_1) | instskip(SKIP_2) | instid1(SALU_CYCLE_1)
	v_or_b32_e32 v8, 0x180, v0
	s_wait_kmcnt 0x0
	s_add_co_i32 s31, s30, -1
	s_cmp_gt_u32 s31, 1
	s_cselect_b32 s33, -1, 0
	v_cmpx_le_i32_e64 s36, v8
	s_xor_b32 s34, exec_lo, s0
	s_cbranch_execz .LBB5_7
; %bb.1:
	s_clause 0x4
	s_load_b128 s[4:7], s[12:13], 0x4
	s_load_b64 s[16:17], s[12:13], 0x14
	s_load_b64 s[14:15], s[12:13], 0x158
	s_load_b128 s[8:11], s[12:13], 0xc4
	s_load_b128 s[0:3], s[12:13], 0x148
	s_cmp_lg_u32 s30, 0
	s_add_nc_u64 s[22:23], s[12:13], 0xc4
	s_cselect_b32 s38, -1, 0
	s_min_u32 s37, s31, 15
	s_cmp_gt_u32 s30, 1
	s_mov_b32 s21, s19
	s_cselect_b32 s35, -1, 0
	s_wait_kmcnt 0x0
	s_mov_b32 s18, s5
	s_mov_b32 s20, s16
	s_mov_b32 s5, exec_lo
	v_cmpx_gt_i32_e64 s36, v0
	s_cbranch_execz .LBB5_14
; %bb.2:
	s_and_not1_b32 vcc_lo, exec_lo, s33
	s_cbranch_vccnz .LBB5_21
; %bb.3:
	s_and_not1_b32 vcc_lo, exec_lo, s38
	s_cbranch_vccnz .LBB5_73
; %bb.4:
	s_add_co_i32 s16, s37, 1
	s_cmp_eq_u32 s31, 2
	s_cbranch_scc1 .LBB5_75
; %bb.5:
	v_dual_mov_b32 v2, 0 :: v_dual_mov_b32 v3, 0
	v_mov_b32_e32 v1, v0
	s_and_b32 s24, s16, 28
	s_mov_b32 s25, 0
	s_mov_b64 s[26:27], s[12:13]
	s_mov_b64 s[28:29], s[22:23]
.LBB5_6:                                ; =>This Inner Loop Header: Depth=1
	s_clause 0x1
	s_load_b256 s[40:47], s[26:27], 0x4
	s_load_b128 s[56:59], s[26:27], 0x24
	s_load_b256 s[48:55], s[28:29], 0x0
	s_add_co_i32 s25, s25, 4
	s_wait_xcnt 0x0
	s_add_nc_u64 s[26:27], s[26:27], 48
	s_cmp_lg_u32 s24, s25
	s_add_nc_u64 s[28:29], s[28:29], 32
	s_wait_kmcnt 0x0
	v_mul_hi_u32 v4, s41, v1
	s_delay_alu instid0(VALU_DEP_1) | instskip(NEXT) | instid1(VALU_DEP_1)
	v_add_nc_u32_e32 v4, v1, v4
	v_lshrrev_b32_e32 v4, s42, v4
	s_delay_alu instid0(VALU_DEP_1) | instskip(NEXT) | instid1(VALU_DEP_1)
	v_mul_hi_u32 v5, s44, v4
	v_add_nc_u32_e32 v5, v4, v5
	s_delay_alu instid0(VALU_DEP_1) | instskip(NEXT) | instid1(VALU_DEP_1)
	v_lshrrev_b32_e32 v5, s45, v5
	v_mul_hi_u32 v6, s47, v5
	s_delay_alu instid0(VALU_DEP_1) | instskip(SKIP_1) | instid1(VALU_DEP_1)
	v_add_nc_u32_e32 v6, v5, v6
	v_mul_lo_u32 v7, v4, s40
	v_sub_nc_u32_e32 v1, v1, v7
	v_mul_lo_u32 v7, v5, s43
	s_delay_alu instid0(VALU_DEP_4) | instskip(NEXT) | instid1(VALU_DEP_3)
	v_lshrrev_b32_e32 v6, s56, v6
	v_mad_u32 v3, v1, s49, v3
	v_mad_u32 v1, v1, s48, v2
	s_delay_alu instid0(VALU_DEP_4) | instskip(NEXT) | instid1(VALU_DEP_4)
	v_sub_nc_u32_e32 v2, v4, v7
	v_mul_hi_u32 v8, s58, v6
	v_mul_lo_u32 v4, v6, s46
	s_delay_alu instid0(VALU_DEP_3) | instskip(SKIP_1) | instid1(VALU_DEP_4)
	v_mad_u32 v3, v2, s51, v3
	v_mad_u32 v2, v2, s50, v1
	v_add_nc_u32_e32 v7, v6, v8
	s_delay_alu instid0(VALU_DEP_1) | instskip(NEXT) | instid1(VALU_DEP_1)
	v_dual_sub_nc_u32 v4, v5, v4 :: v_dual_lshrrev_b32 v1, s59, v7
	v_mad_u32 v3, v4, s53, v3
	s_delay_alu instid0(VALU_DEP_4) | instskip(NEXT) | instid1(VALU_DEP_3)
	v_mad_u32 v2, v4, s52, v2
	v_mul_lo_u32 v5, v1, s57
	s_delay_alu instid0(VALU_DEP_1) | instskip(NEXT) | instid1(VALU_DEP_1)
	v_sub_nc_u32_e32 v4, v6, v5
	v_mad_u32 v3, v4, s55, v3
	s_delay_alu instid0(VALU_DEP_4)
	v_mad_u32 v2, v4, s54, v2
	s_cbranch_scc1 .LBB5_6
	s_branch .LBB5_76
.LBB5_7:
	s_and_not1_saveexec_b32 s0, s34
	s_cbranch_execz .LBB5_101
.LBB5_8:
	v_cndmask_b32_e64 v6, 0, 1, s33
	s_and_not1_b32 vcc_lo, exec_lo, s33
	s_cbranch_vccnz .LBB5_20
; %bb.9:
	s_cmp_lg_u32 s30, 0
	s_mov_b32 s6, 0
	s_cbranch_scc0 .LBB5_23
; %bb.10:
	s_min_u32 s1, s31, 15
	s_delay_alu instid0(SALU_CYCLE_1)
	s_add_co_i32 s1, s1, 1
	s_cmp_eq_u32 s31, 2
	s_cbranch_scc1 .LBB5_24
; %bb.11:
	v_dual_mov_b32 v2, 0 :: v_dual_mov_b32 v3, 0
	v_mov_b32_e32 v1, v0
	s_and_b32 s0, s1, 28
	s_add_nc_u64 s[2:3], s[12:13], 0xc4
	s_mov_b32 s7, 0
	s_mov_b64 s[4:5], s[12:13]
.LBB5_12:                               ; =>This Inner Loop Header: Depth=1
	s_clause 0x1
	s_load_b256 s[16:23], s[4:5], 0x4
	s_load_b128 s[8:11], s[4:5], 0x24
	s_load_b256 s[36:43], s[2:3], 0x0
	s_add_co_i32 s7, s7, 4
	s_wait_xcnt 0x0
	s_add_nc_u64 s[4:5], s[4:5], 48
	s_cmp_lg_u32 s0, s7
	s_add_nc_u64 s[2:3], s[2:3], 32
	s_wait_kmcnt 0x0
	v_mul_hi_u32 v4, s17, v1
	s_delay_alu instid0(VALU_DEP_1) | instskip(NEXT) | instid1(VALU_DEP_1)
	v_add_nc_u32_e32 v4, v1, v4
	v_lshrrev_b32_e32 v4, s18, v4
	s_delay_alu instid0(VALU_DEP_1) | instskip(NEXT) | instid1(VALU_DEP_1)
	v_mul_hi_u32 v5, s20, v4
	v_add_nc_u32_e32 v5, v4, v5
	s_delay_alu instid0(VALU_DEP_1) | instskip(NEXT) | instid1(VALU_DEP_1)
	v_lshrrev_b32_e32 v5, s21, v5
	v_mul_hi_u32 v7, s23, v5
	s_delay_alu instid0(VALU_DEP_1) | instskip(SKIP_1) | instid1(VALU_DEP_2)
	v_add_nc_u32_e32 v7, v5, v7
	v_mul_lo_u32 v9, v4, s16
	v_lshrrev_b32_e32 v7, s8, v7
	s_delay_alu instid0(VALU_DEP_1) | instskip(NEXT) | instid1(VALU_DEP_3)
	v_mul_hi_u32 v10, s10, v7
	v_sub_nc_u32_e32 v1, v1, v9
	v_mul_lo_u32 v9, v5, s19
	s_delay_alu instid0(VALU_DEP_2) | instskip(SKIP_1) | instid1(VALU_DEP_3)
	v_mad_u32 v3, v1, s37, v3
	v_mad_u32 v1, v1, s36, v2
	v_sub_nc_u32_e32 v2, v4, v9
	v_mul_lo_u32 v4, v7, s22
	v_add_nc_u32_e32 v9, v7, v10
	s_delay_alu instid0(VALU_DEP_3) | instskip(SKIP_1) | instid1(VALU_DEP_3)
	v_mad_u32 v3, v2, s39, v3
	v_mad_u32 v2, v2, s38, v1
	v_dual_sub_nc_u32 v4, v5, v4 :: v_dual_lshrrev_b32 v1, s11, v9
	s_delay_alu instid0(VALU_DEP_1) | instskip(NEXT) | instid1(VALU_DEP_2)
	v_mad_u32 v3, v4, s41, v3
	v_mul_lo_u32 v5, v1, s9
	s_delay_alu instid0(VALU_DEP_4) | instskip(NEXT) | instid1(VALU_DEP_2)
	v_mad_u32 v2, v4, s40, v2
	v_sub_nc_u32_e32 v4, v7, v5
	s_delay_alu instid0(VALU_DEP_1) | instskip(NEXT) | instid1(VALU_DEP_3)
	v_mad_u32 v3, v4, s43, v3
	v_mad_u32 v2, v4, s42, v2
	s_cbranch_scc1 .LBB5_12
; %bb.13:
	s_and_b32 s4, s1, 3
	s_mov_b32 s1, 0
	s_cmp_eq_u32 s4, 0
	s_cbranch_scc0 .LBB5_25
	s_branch .LBB5_27
.LBB5_14:
	s_or_b32 exec_lo, exec_lo, s5
	s_delay_alu instid0(SALU_CYCLE_1)
	s_mov_b32 s5, exec_lo
	v_cmpx_gt_i32_e64 s36, v0
	s_cbranch_execz .LBB5_83
.LBB5_15:
	s_and_not1_b32 vcc_lo, exec_lo, s33
	s_cbranch_vccnz .LBB5_22
; %bb.16:
	s_and_not1_b32 vcc_lo, exec_lo, s38
	s_cbranch_vccnz .LBB5_74
; %bb.17:
	s_add_co_i32 s16, s37, 1
	s_cmp_eq_u32 s31, 2
	s_cbranch_scc1 .LBB5_91
; %bb.18:
	v_dual_mov_b32 v2, 0 :: v_dual_mov_b32 v3, 0
	v_mov_b32_e32 v1, v0
	s_and_b32 s24, s16, 28
	s_mov_b32 s25, 0
	s_mov_b64 s[26:27], s[12:13]
	s_mov_b64 s[28:29], s[22:23]
.LBB5_19:                               ; =>This Inner Loop Header: Depth=1
	s_clause 0x1
	s_load_b256 s[40:47], s[26:27], 0x4
	s_load_b128 s[56:59], s[26:27], 0x24
	s_load_b256 s[48:55], s[28:29], 0x0
	s_add_co_i32 s25, s25, 4
	s_wait_xcnt 0x0
	s_add_nc_u64 s[26:27], s[26:27], 48
	s_cmp_eq_u32 s24, s25
	s_add_nc_u64 s[28:29], s[28:29], 32
	s_wait_kmcnt 0x0
	v_mul_hi_u32 v4, s41, v1
	s_delay_alu instid0(VALU_DEP_1) | instskip(NEXT) | instid1(VALU_DEP_1)
	v_add_nc_u32_e32 v4, v1, v4
	v_lshrrev_b32_e32 v4, s42, v4
	s_delay_alu instid0(VALU_DEP_1) | instskip(NEXT) | instid1(VALU_DEP_1)
	v_mul_hi_u32 v5, s44, v4
	v_add_nc_u32_e32 v5, v4, v5
	s_delay_alu instid0(VALU_DEP_1) | instskip(NEXT) | instid1(VALU_DEP_1)
	v_lshrrev_b32_e32 v5, s45, v5
	v_mul_hi_u32 v6, s47, v5
	s_delay_alu instid0(VALU_DEP_1) | instskip(SKIP_1) | instid1(VALU_DEP_1)
	v_add_nc_u32_e32 v6, v5, v6
	v_mul_lo_u32 v7, v4, s40
	v_sub_nc_u32_e32 v1, v1, v7
	v_mul_lo_u32 v7, v5, s43
	s_delay_alu instid0(VALU_DEP_4) | instskip(NEXT) | instid1(VALU_DEP_3)
	v_lshrrev_b32_e32 v6, s56, v6
	v_mad_u32 v3, v1, s49, v3
	v_mad_u32 v1, v1, s48, v2
	s_delay_alu instid0(VALU_DEP_4) | instskip(NEXT) | instid1(VALU_DEP_4)
	v_sub_nc_u32_e32 v2, v4, v7
	v_mul_hi_u32 v8, s58, v6
	v_mul_lo_u32 v4, v6, s46
	s_delay_alu instid0(VALU_DEP_3) | instskip(SKIP_1) | instid1(VALU_DEP_4)
	v_mad_u32 v3, v2, s51, v3
	v_mad_u32 v2, v2, s50, v1
	v_add_nc_u32_e32 v7, v6, v8
	s_delay_alu instid0(VALU_DEP_1) | instskip(NEXT) | instid1(VALU_DEP_1)
	v_dual_sub_nc_u32 v4, v5, v4 :: v_dual_lshrrev_b32 v1, s59, v7
	v_mad_u32 v3, v4, s53, v3
	s_delay_alu instid0(VALU_DEP_4) | instskip(NEXT) | instid1(VALU_DEP_3)
	v_mad_u32 v2, v4, s52, v2
	v_mul_lo_u32 v5, v1, s57
	s_delay_alu instid0(VALU_DEP_1) | instskip(NEXT) | instid1(VALU_DEP_1)
	v_sub_nc_u32_e32 v4, v6, v5
	v_mad_u32 v3, v4, s55, v3
	s_delay_alu instid0(VALU_DEP_4)
	v_mad_u32 v2, v4, s54, v2
	s_cbranch_scc0 .LBB5_19
	s_branch .LBB5_92
.LBB5_20:
	s_mov_b32 s6, -1
                                        ; implicit-def: $vgpr3
	s_branch .LBB5_27
.LBB5_21:
                                        ; implicit-def: $vgpr3
	s_branch .LBB5_80
.LBB5_22:
                                        ; implicit-def: $vgpr3
	s_branch .LBB5_96
.LBB5_23:
	v_dual_mov_b32 v3, 0 :: v_dual_mov_b32 v2, 0
	s_branch .LBB5_27
.LBB5_24:
	v_mov_b64_e32 v[2:3], 0
	v_mov_b32_e32 v1, v0
	s_mov_b32 s0, 0
	s_and_b32 s4, s1, 3
	s_mov_b32 s1, 0
	s_cmp_eq_u32 s4, 0
	s_cbranch_scc1 .LBB5_27
.LBB5_25:
	s_lshl_b32 s2, s0, 3
	s_mov_b32 s3, s1
	s_mul_u64 s[8:9], s[0:1], 12
	s_add_nc_u64 s[2:3], s[12:13], s[2:3]
	s_delay_alu instid0(SALU_CYCLE_1)
	s_add_nc_u64 s[0:1], s[2:3], 0xc4
	s_add_nc_u64 s[2:3], s[12:13], s[8:9]
.LBB5_26:                               ; =>This Inner Loop Header: Depth=1
	s_load_b96 s[8:10], s[2:3], 0x4
	s_add_co_i32 s4, s4, -1
	s_wait_xcnt 0x0
	s_add_nc_u64 s[2:3], s[2:3], 12
	s_cmp_lg_u32 s4, 0
	s_wait_kmcnt 0x0
	v_mul_hi_u32 v4, s9, v1
	s_delay_alu instid0(VALU_DEP_1) | instskip(NEXT) | instid1(VALU_DEP_1)
	v_add_nc_u32_e32 v4, v1, v4
	v_lshrrev_b32_e32 v4, s10, v4
	s_load_b64 s[10:11], s[0:1], 0x0
	s_wait_xcnt 0x0
	s_add_nc_u64 s[0:1], s[0:1], 8
	s_delay_alu instid0(VALU_DEP_1) | instskip(NEXT) | instid1(VALU_DEP_1)
	v_mul_lo_u32 v5, v4, s8
	v_sub_nc_u32_e32 v1, v1, v5
	s_wait_kmcnt 0x0
	s_delay_alu instid0(VALU_DEP_1)
	v_mad_u32 v3, v1, s11, v3
	v_mad_u32 v2, v1, s10, v2
	v_mov_b32_e32 v1, v4
	s_cbranch_scc1 .LBB5_26
.LBB5_27:
	s_and_not1_b32 vcc_lo, exec_lo, s6
	s_cbranch_vccnz .LBB5_30
; %bb.28:
	s_clause 0x1
	s_load_b96 s[0:2], s[12:13], 0x4
	s_load_b64 s[4:5], s[12:13], 0xc4
	s_cmp_lt_u32 s30, 2
	s_wait_kmcnt 0x0
	v_mul_hi_u32 v1, s1, v0
	s_delay_alu instid0(VALU_DEP_1) | instskip(NEXT) | instid1(VALU_DEP_1)
	v_add_nc_u32_e32 v1, v0, v1
	v_lshrrev_b32_e32 v1, s2, v1
	s_delay_alu instid0(VALU_DEP_1) | instskip(NEXT) | instid1(VALU_DEP_1)
	v_mul_lo_u32 v2, v1, s0
	v_sub_nc_u32_e32 v2, v0, v2
	s_delay_alu instid0(VALU_DEP_1)
	v_mul_lo_u32 v3, v2, s5
	v_mul_lo_u32 v2, v2, s4
	s_cbranch_scc1 .LBB5_30
; %bb.29:
	s_clause 0x1
	s_load_b96 s[0:2], s[12:13], 0x10
	s_load_b64 s[4:5], s[12:13], 0xcc
	s_wait_kmcnt 0x0
	v_mul_hi_u32 v4, s1, v1
	s_delay_alu instid0(VALU_DEP_1) | instskip(NEXT) | instid1(VALU_DEP_1)
	v_add_nc_u32_e32 v4, v1, v4
	v_lshrrev_b32_e32 v4, s2, v4
	s_delay_alu instid0(VALU_DEP_1) | instskip(NEXT) | instid1(VALU_DEP_1)
	v_mul_lo_u32 v4, v4, s0
	v_sub_nc_u32_e32 v1, v1, v4
	s_delay_alu instid0(VALU_DEP_1)
	v_mad_u32 v2, v1, s4, v2
	v_mad_u32 v3, v1, s5, v3
.LBB5_30:
	v_cmp_ne_u32_e32 vcc_lo, 1, v6
	v_add_nc_u32_e32 v1, 0x80, v0
	s_cbranch_vccnz .LBB5_36
; %bb.31:
	s_cmp_lg_u32 s30, 0
	s_mov_b32 s6, 0
	s_cbranch_scc0 .LBB5_37
; %bb.32:
	s_min_u32 s1, s31, 15
	s_delay_alu instid0(SALU_CYCLE_1)
	s_add_co_i32 s1, s1, 1
	s_cmp_eq_u32 s31, 2
	s_cbranch_scc1 .LBB5_38
; %bb.33:
	v_dual_mov_b32 v4, 0 :: v_dual_mov_b32 v5, 0
	v_mov_b32_e32 v7, v1
	s_and_b32 s0, s1, 28
	s_add_nc_u64 s[2:3], s[12:13], 0xc4
	s_mov_b32 s7, 0
	s_mov_b64 s[4:5], s[12:13]
.LBB5_34:                               ; =>This Inner Loop Header: Depth=1
	s_clause 0x1
	s_load_b256 s[16:23], s[4:5], 0x4
	s_load_b128 s[8:11], s[4:5], 0x24
	s_load_b256 s[36:43], s[2:3], 0x0
	s_add_co_i32 s7, s7, 4
	s_wait_xcnt 0x0
	s_add_nc_u64 s[4:5], s[4:5], 48
	s_cmp_lg_u32 s0, s7
	s_add_nc_u64 s[2:3], s[2:3], 32
	s_wait_kmcnt 0x0
	v_mul_hi_u32 v9, s17, v7
	s_delay_alu instid0(VALU_DEP_1) | instskip(NEXT) | instid1(VALU_DEP_1)
	v_add_nc_u32_e32 v9, v7, v9
	v_lshrrev_b32_e32 v9, s18, v9
	s_delay_alu instid0(VALU_DEP_1) | instskip(NEXT) | instid1(VALU_DEP_1)
	v_mul_hi_u32 v10, s20, v9
	v_add_nc_u32_e32 v10, v9, v10
	s_delay_alu instid0(VALU_DEP_1) | instskip(NEXT) | instid1(VALU_DEP_1)
	v_lshrrev_b32_e32 v10, s21, v10
	v_mul_hi_u32 v11, s23, v10
	s_delay_alu instid0(VALU_DEP_1) | instskip(SKIP_1) | instid1(VALU_DEP_1)
	v_add_nc_u32_e32 v11, v10, v11
	v_mul_lo_u32 v12, v9, s16
	v_sub_nc_u32_e32 v7, v7, v12
	v_mul_lo_u32 v12, v10, s19
	s_delay_alu instid0(VALU_DEP_4) | instskip(NEXT) | instid1(VALU_DEP_3)
	v_lshrrev_b32_e32 v11, s8, v11
	v_mad_u32 v5, v7, s37, v5
	v_mad_u32 v4, v7, s36, v4
	s_delay_alu instid0(VALU_DEP_4) | instskip(NEXT) | instid1(VALU_DEP_4)
	v_sub_nc_u32_e32 v7, v9, v12
	v_mul_hi_u32 v13, s10, v11
	v_mul_lo_u32 v9, v11, s22
	s_delay_alu instid0(VALU_DEP_3) | instskip(SKIP_1) | instid1(VALU_DEP_4)
	v_mad_u32 v5, v7, s39, v5
	v_mad_u32 v4, v7, s38, v4
	v_add_nc_u32_e32 v12, v11, v13
	s_delay_alu instid0(VALU_DEP_1) | instskip(NEXT) | instid1(VALU_DEP_1)
	v_dual_sub_nc_u32 v9, v10, v9 :: v_dual_lshrrev_b32 v7, s11, v12
	v_mad_u32 v5, v9, s41, v5
	s_delay_alu instid0(VALU_DEP_4) | instskip(NEXT) | instid1(VALU_DEP_3)
	v_mad_u32 v4, v9, s40, v4
	v_mul_lo_u32 v10, v7, s9
	s_delay_alu instid0(VALU_DEP_1) | instskip(NEXT) | instid1(VALU_DEP_1)
	v_sub_nc_u32_e32 v9, v11, v10
	v_mad_u32 v5, v9, s43, v5
	s_delay_alu instid0(VALU_DEP_4)
	v_mad_u32 v4, v9, s42, v4
	s_cbranch_scc1 .LBB5_34
; %bb.35:
	s_and_b32 s4, s1, 3
	s_mov_b32 s1, 0
	s_cmp_eq_u32 s4, 0
	s_cbranch_scc0 .LBB5_39
	s_branch .LBB5_41
.LBB5_36:
	s_mov_b32 s6, -1
                                        ; implicit-def: $vgpr5
	s_branch .LBB5_41
.LBB5_37:
	v_dual_mov_b32 v5, 0 :: v_dual_mov_b32 v4, 0
	s_branch .LBB5_41
.LBB5_38:
	v_mov_b64_e32 v[4:5], 0
	v_mov_b32_e32 v7, v1
	s_mov_b32 s0, 0
	s_and_b32 s4, s1, 3
	s_mov_b32 s1, 0
	s_cmp_eq_u32 s4, 0
	s_cbranch_scc1 .LBB5_41
.LBB5_39:
	s_lshl_b32 s2, s0, 3
	s_mov_b32 s3, s1
	s_mul_u64 s[8:9], s[0:1], 12
	s_add_nc_u64 s[2:3], s[12:13], s[2:3]
	s_delay_alu instid0(SALU_CYCLE_1)
	s_add_nc_u64 s[0:1], s[2:3], 0xc4
	s_add_nc_u64 s[2:3], s[12:13], s[8:9]
.LBB5_40:                               ; =>This Inner Loop Header: Depth=1
	s_load_b96 s[8:10], s[2:3], 0x4
	s_add_co_i32 s4, s4, -1
	s_wait_xcnt 0x0
	s_add_nc_u64 s[2:3], s[2:3], 12
	s_cmp_lg_u32 s4, 0
	s_wait_kmcnt 0x0
	v_mul_hi_u32 v9, s9, v7
	s_delay_alu instid0(VALU_DEP_1) | instskip(NEXT) | instid1(VALU_DEP_1)
	v_add_nc_u32_e32 v9, v7, v9
	v_lshrrev_b32_e32 v9, s10, v9
	s_load_b64 s[10:11], s[0:1], 0x0
	s_wait_xcnt 0x0
	s_add_nc_u64 s[0:1], s[0:1], 8
	s_delay_alu instid0(VALU_DEP_1) | instskip(NEXT) | instid1(VALU_DEP_1)
	v_mul_lo_u32 v10, v9, s8
	v_sub_nc_u32_e32 v7, v7, v10
	s_wait_kmcnt 0x0
	s_delay_alu instid0(VALU_DEP_1)
	v_mad_u32 v5, v7, s11, v5
	v_mad_u32 v4, v7, s10, v4
	v_mov_b32_e32 v7, v9
	s_cbranch_scc1 .LBB5_40
.LBB5_41:
	s_and_not1_b32 vcc_lo, exec_lo, s6
	s_cbranch_vccnz .LBB5_44
; %bb.42:
	s_clause 0x1
	s_load_b96 s[0:2], s[12:13], 0x4
	s_load_b64 s[4:5], s[12:13], 0xc4
	s_cmp_lt_u32 s30, 2
	s_wait_kmcnt 0x0
	v_mul_hi_u32 v4, s1, v1
	s_delay_alu instid0(VALU_DEP_1) | instskip(NEXT) | instid1(VALU_DEP_1)
	v_add_nc_u32_e32 v4, v1, v4
	v_lshrrev_b32_e32 v7, s2, v4
	s_delay_alu instid0(VALU_DEP_1) | instskip(NEXT) | instid1(VALU_DEP_1)
	v_mul_lo_u32 v4, v7, s0
	v_sub_nc_u32_e32 v1, v1, v4
	s_delay_alu instid0(VALU_DEP_1)
	v_mul_lo_u32 v5, v1, s5
	v_mul_lo_u32 v4, v1, s4
	s_cbranch_scc1 .LBB5_44
; %bb.43:
	s_clause 0x1
	s_load_b96 s[0:2], s[12:13], 0x10
	s_load_b64 s[4:5], s[12:13], 0xcc
	s_wait_kmcnt 0x0
	v_mul_hi_u32 v1, s1, v7
	s_delay_alu instid0(VALU_DEP_1) | instskip(NEXT) | instid1(VALU_DEP_1)
	v_add_nc_u32_e32 v1, v7, v1
	v_lshrrev_b32_e32 v1, s2, v1
	s_delay_alu instid0(VALU_DEP_1) | instskip(NEXT) | instid1(VALU_DEP_1)
	v_mul_lo_u32 v1, v1, s0
	v_sub_nc_u32_e32 v1, v7, v1
	s_delay_alu instid0(VALU_DEP_1)
	v_mad_u32 v4, v1, s4, v4
	v_mad_u32 v5, v1, s5, v5
.LBB5_44:
	v_cmp_ne_u32_e32 vcc_lo, 1, v6
	v_add_nc_u32_e32 v7, 0x100, v0
	s_cbranch_vccnz .LBB5_50
; %bb.45:
	s_cmp_lg_u32 s30, 0
	s_mov_b32 s6, 0
	s_cbranch_scc0 .LBB5_51
; %bb.46:
	s_min_u32 s1, s31, 15
	s_delay_alu instid0(SALU_CYCLE_1)
	s_add_co_i32 s1, s1, 1
	s_cmp_eq_u32 s31, 2
	s_cbranch_scc1 .LBB5_52
; %bb.47:
	v_dual_mov_b32 v0, 0 :: v_dual_mov_b32 v1, 0
	v_mov_b32_e32 v9, v7
	s_and_b32 s0, s1, 28
	s_add_nc_u64 s[2:3], s[12:13], 0xc4
	s_mov_b32 s7, 0
	s_mov_b64 s[4:5], s[12:13]
.LBB5_48:                               ; =>This Inner Loop Header: Depth=1
	s_clause 0x1
	s_load_b256 s[16:23], s[4:5], 0x4
	s_load_b128 s[8:11], s[4:5], 0x24
	s_load_b256 s[36:43], s[2:3], 0x0
	s_add_co_i32 s7, s7, 4
	s_wait_xcnt 0x0
	s_add_nc_u64 s[4:5], s[4:5], 48
	s_cmp_lg_u32 s0, s7
	s_add_nc_u64 s[2:3], s[2:3], 32
	s_wait_kmcnt 0x0
	v_mul_hi_u32 v10, s17, v9
	s_delay_alu instid0(VALU_DEP_1) | instskip(NEXT) | instid1(VALU_DEP_1)
	v_add_nc_u32_e32 v10, v9, v10
	v_lshrrev_b32_e32 v10, s18, v10
	s_delay_alu instid0(VALU_DEP_1) | instskip(NEXT) | instid1(VALU_DEP_1)
	v_mul_hi_u32 v11, s20, v10
	v_add_nc_u32_e32 v11, v10, v11
	s_delay_alu instid0(VALU_DEP_1) | instskip(NEXT) | instid1(VALU_DEP_1)
	v_lshrrev_b32_e32 v11, s21, v11
	v_mul_hi_u32 v12, s23, v11
	s_delay_alu instid0(VALU_DEP_1) | instskip(SKIP_1) | instid1(VALU_DEP_1)
	v_add_nc_u32_e32 v12, v11, v12
	v_mul_lo_u32 v13, v10, s16
	v_sub_nc_u32_e32 v9, v9, v13
	v_mul_lo_u32 v13, v11, s19
	s_delay_alu instid0(VALU_DEP_4) | instskip(NEXT) | instid1(VALU_DEP_3)
	v_lshrrev_b32_e32 v12, s8, v12
	v_mad_u32 v1, v9, s37, v1
	v_mad_u32 v0, v9, s36, v0
	s_delay_alu instid0(VALU_DEP_4) | instskip(NEXT) | instid1(VALU_DEP_4)
	v_sub_nc_u32_e32 v9, v10, v13
	v_mul_hi_u32 v14, s10, v12
	v_mul_lo_u32 v10, v12, s22
	s_delay_alu instid0(VALU_DEP_3) | instskip(SKIP_1) | instid1(VALU_DEP_4)
	v_mad_u32 v1, v9, s39, v1
	v_mad_u32 v0, v9, s38, v0
	v_add_nc_u32_e32 v13, v12, v14
	s_delay_alu instid0(VALU_DEP_1) | instskip(NEXT) | instid1(VALU_DEP_1)
	v_dual_sub_nc_u32 v10, v11, v10 :: v_dual_lshrrev_b32 v9, s11, v13
	v_mad_u32 v1, v10, s41, v1
	s_delay_alu instid0(VALU_DEP_4) | instskip(NEXT) | instid1(VALU_DEP_3)
	v_mad_u32 v0, v10, s40, v0
	v_mul_lo_u32 v11, v9, s9
	s_delay_alu instid0(VALU_DEP_1) | instskip(NEXT) | instid1(VALU_DEP_1)
	v_sub_nc_u32_e32 v10, v12, v11
	v_mad_u32 v1, v10, s43, v1
	s_delay_alu instid0(VALU_DEP_4)
	v_mad_u32 v0, v10, s42, v0
	s_cbranch_scc1 .LBB5_48
; %bb.49:
	s_and_b32 s4, s1, 3
	s_mov_b32 s1, 0
	s_cmp_eq_u32 s4, 0
	s_cbranch_scc0 .LBB5_53
	s_branch .LBB5_55
.LBB5_50:
	s_mov_b32 s6, -1
                                        ; implicit-def: $vgpr1
	s_branch .LBB5_55
.LBB5_51:
	v_dual_mov_b32 v1, 0 :: v_dual_mov_b32 v0, 0
	s_branch .LBB5_55
.LBB5_52:
	v_mov_b64_e32 v[0:1], 0
	v_mov_b32_e32 v9, v7
	s_mov_b32 s0, 0
	s_and_b32 s4, s1, 3
	s_mov_b32 s1, 0
	s_cmp_eq_u32 s4, 0
	s_cbranch_scc1 .LBB5_55
.LBB5_53:
	s_lshl_b32 s2, s0, 3
	s_mov_b32 s3, s1
	s_mul_u64 s[8:9], s[0:1], 12
	s_add_nc_u64 s[2:3], s[12:13], s[2:3]
	s_delay_alu instid0(SALU_CYCLE_1)
	s_add_nc_u64 s[0:1], s[2:3], 0xc4
	s_add_nc_u64 s[2:3], s[12:13], s[8:9]
.LBB5_54:                               ; =>This Inner Loop Header: Depth=1
	s_load_b96 s[8:10], s[2:3], 0x4
	s_add_co_i32 s4, s4, -1
	s_wait_xcnt 0x0
	s_add_nc_u64 s[2:3], s[2:3], 12
	s_cmp_lg_u32 s4, 0
	s_wait_kmcnt 0x0
	v_mul_hi_u32 v10, s9, v9
	s_delay_alu instid0(VALU_DEP_1) | instskip(NEXT) | instid1(VALU_DEP_1)
	v_add_nc_u32_e32 v10, v9, v10
	v_lshrrev_b32_e32 v10, s10, v10
	s_load_b64 s[10:11], s[0:1], 0x0
	s_wait_xcnt 0x0
	s_add_nc_u64 s[0:1], s[0:1], 8
	s_delay_alu instid0(VALU_DEP_1) | instskip(NEXT) | instid1(VALU_DEP_1)
	v_mul_lo_u32 v11, v10, s8
	v_sub_nc_u32_e32 v9, v9, v11
	s_wait_kmcnt 0x0
	s_delay_alu instid0(VALU_DEP_1)
	v_mad_u32 v1, v9, s11, v1
	v_mad_u32 v0, v9, s10, v0
	v_mov_b32_e32 v9, v10
	s_cbranch_scc1 .LBB5_54
.LBB5_55:
	s_and_not1_b32 vcc_lo, exec_lo, s6
	s_cbranch_vccnz .LBB5_58
; %bb.56:
	s_clause 0x1
	s_load_b96 s[0:2], s[12:13], 0x4
	s_load_b64 s[4:5], s[12:13], 0xc4
	s_cmp_lt_u32 s30, 2
	s_wait_kmcnt 0x0
	v_mul_hi_u32 v0, s1, v7
	s_delay_alu instid0(VALU_DEP_1) | instskip(NEXT) | instid1(VALU_DEP_1)
	v_add_nc_u32_e32 v0, v7, v0
	v_lshrrev_b32_e32 v9, s2, v0
	s_delay_alu instid0(VALU_DEP_1) | instskip(NEXT) | instid1(VALU_DEP_1)
	v_mul_lo_u32 v0, v9, s0
	v_sub_nc_u32_e32 v0, v7, v0
	s_delay_alu instid0(VALU_DEP_1)
	v_mul_lo_u32 v1, v0, s5
	v_mul_lo_u32 v0, v0, s4
	s_cbranch_scc1 .LBB5_58
; %bb.57:
	s_clause 0x1
	s_load_b96 s[0:2], s[12:13], 0x10
	s_load_b64 s[4:5], s[12:13], 0xcc
	s_wait_kmcnt 0x0
	v_mul_hi_u32 v7, s1, v9
	s_delay_alu instid0(VALU_DEP_1) | instskip(NEXT) | instid1(VALU_DEP_1)
	v_add_nc_u32_e32 v7, v9, v7
	v_lshrrev_b32_e32 v7, s2, v7
	s_delay_alu instid0(VALU_DEP_1) | instskip(NEXT) | instid1(VALU_DEP_1)
	v_mul_lo_u32 v7, v7, s0
	v_sub_nc_u32_e32 v7, v9, v7
	s_delay_alu instid0(VALU_DEP_1)
	v_mad_u32 v0, v7, s4, v0
	v_mad_u32 v1, v7, s5, v1
.LBB5_58:
	v_cmp_ne_u32_e32 vcc_lo, 1, v6
	s_cbranch_vccnz .LBB5_64
; %bb.59:
	s_cmp_lg_u32 s30, 0
	s_mov_b32 s6, 0
	s_cbranch_scc0 .LBB5_65
; %bb.60:
	s_min_u32 s1, s31, 15
	s_delay_alu instid0(SALU_CYCLE_1)
	s_add_co_i32 s1, s1, 1
	s_cmp_eq_u32 s31, 2
	s_cbranch_scc1 .LBB5_66
; %bb.61:
	v_dual_mov_b32 v6, 0 :: v_dual_mov_b32 v7, 0
	v_mov_b32_e32 v9, v8
	s_and_b32 s0, s1, 28
	s_add_nc_u64 s[2:3], s[12:13], 0xc4
	s_mov_b32 s7, 0
	s_mov_b64 s[4:5], s[12:13]
.LBB5_62:                               ; =>This Inner Loop Header: Depth=1
	s_clause 0x1
	s_load_b256 s[16:23], s[4:5], 0x4
	s_load_b128 s[8:11], s[4:5], 0x24
	s_load_b256 s[36:43], s[2:3], 0x0
	s_add_co_i32 s7, s7, 4
	s_wait_xcnt 0x0
	s_add_nc_u64 s[4:5], s[4:5], 48
	s_cmp_lg_u32 s0, s7
	s_add_nc_u64 s[2:3], s[2:3], 32
	s_wait_kmcnt 0x0
	v_mul_hi_u32 v10, s17, v9
	s_delay_alu instid0(VALU_DEP_1) | instskip(NEXT) | instid1(VALU_DEP_1)
	v_add_nc_u32_e32 v10, v9, v10
	v_lshrrev_b32_e32 v10, s18, v10
	s_delay_alu instid0(VALU_DEP_1) | instskip(NEXT) | instid1(VALU_DEP_1)
	v_mul_hi_u32 v11, s20, v10
	v_add_nc_u32_e32 v11, v10, v11
	s_delay_alu instid0(VALU_DEP_1) | instskip(NEXT) | instid1(VALU_DEP_1)
	v_lshrrev_b32_e32 v11, s21, v11
	v_mul_hi_u32 v12, s23, v11
	s_delay_alu instid0(VALU_DEP_1) | instskip(SKIP_1) | instid1(VALU_DEP_1)
	v_add_nc_u32_e32 v12, v11, v12
	v_mul_lo_u32 v13, v10, s16
	v_sub_nc_u32_e32 v9, v9, v13
	v_mul_lo_u32 v13, v11, s19
	s_delay_alu instid0(VALU_DEP_4) | instskip(NEXT) | instid1(VALU_DEP_3)
	v_lshrrev_b32_e32 v12, s8, v12
	v_mad_u32 v7, v9, s37, v7
	v_mad_u32 v6, v9, s36, v6
	s_delay_alu instid0(VALU_DEP_4) | instskip(NEXT) | instid1(VALU_DEP_4)
	v_sub_nc_u32_e32 v9, v10, v13
	v_mul_hi_u32 v14, s10, v12
	v_mul_lo_u32 v10, v12, s22
	s_delay_alu instid0(VALU_DEP_3) | instskip(SKIP_1) | instid1(VALU_DEP_4)
	v_mad_u32 v7, v9, s39, v7
	v_mad_u32 v6, v9, s38, v6
	v_add_nc_u32_e32 v13, v12, v14
	s_delay_alu instid0(VALU_DEP_1) | instskip(NEXT) | instid1(VALU_DEP_1)
	v_dual_sub_nc_u32 v10, v11, v10 :: v_dual_lshrrev_b32 v9, s11, v13
	v_mad_u32 v7, v10, s41, v7
	s_delay_alu instid0(VALU_DEP_4) | instskip(NEXT) | instid1(VALU_DEP_3)
	v_mad_u32 v6, v10, s40, v6
	v_mul_lo_u32 v11, v9, s9
	s_delay_alu instid0(VALU_DEP_1) | instskip(NEXT) | instid1(VALU_DEP_1)
	v_sub_nc_u32_e32 v10, v12, v11
	v_mad_u32 v7, v10, s43, v7
	s_delay_alu instid0(VALU_DEP_4)
	v_mad_u32 v6, v10, s42, v6
	s_cbranch_scc1 .LBB5_62
; %bb.63:
	s_and_b32 s4, s1, 3
	s_mov_b32 s1, 0
	s_cmp_eq_u32 s4, 0
	s_cbranch_scc0 .LBB5_67
	s_branch .LBB5_69
.LBB5_64:
	s_mov_b32 s6, -1
                                        ; implicit-def: $vgpr7
	s_branch .LBB5_69
.LBB5_65:
	v_dual_mov_b32 v7, 0 :: v_dual_mov_b32 v6, 0
	s_branch .LBB5_69
.LBB5_66:
	v_mov_b64_e32 v[6:7], 0
	v_mov_b32_e32 v9, v8
	s_mov_b32 s0, 0
	s_and_b32 s4, s1, 3
	s_mov_b32 s1, 0
	s_cmp_eq_u32 s4, 0
	s_cbranch_scc1 .LBB5_69
.LBB5_67:
	s_lshl_b32 s2, s0, 3
	s_mov_b32 s3, s1
	s_mul_u64 s[8:9], s[0:1], 12
	s_add_nc_u64 s[2:3], s[12:13], s[2:3]
	s_delay_alu instid0(SALU_CYCLE_1)
	s_add_nc_u64 s[0:1], s[2:3], 0xc4
	s_add_nc_u64 s[2:3], s[12:13], s[8:9]
.LBB5_68:                               ; =>This Inner Loop Header: Depth=1
	s_load_b96 s[8:10], s[2:3], 0x4
	s_add_co_i32 s4, s4, -1
	s_wait_xcnt 0x0
	s_add_nc_u64 s[2:3], s[2:3], 12
	s_cmp_lg_u32 s4, 0
	s_wait_kmcnt 0x0
	v_mul_hi_u32 v10, s9, v9
	s_delay_alu instid0(VALU_DEP_1) | instskip(NEXT) | instid1(VALU_DEP_1)
	v_add_nc_u32_e32 v10, v9, v10
	v_lshrrev_b32_e32 v10, s10, v10
	s_load_b64 s[10:11], s[0:1], 0x0
	s_wait_xcnt 0x0
	s_add_nc_u64 s[0:1], s[0:1], 8
	s_delay_alu instid0(VALU_DEP_1) | instskip(NEXT) | instid1(VALU_DEP_1)
	v_mul_lo_u32 v11, v10, s8
	v_sub_nc_u32_e32 v9, v9, v11
	s_wait_kmcnt 0x0
	s_delay_alu instid0(VALU_DEP_1)
	v_mad_u32 v7, v9, s11, v7
	v_mad_u32 v6, v9, s10, v6
	v_mov_b32_e32 v9, v10
	s_cbranch_scc1 .LBB5_68
.LBB5_69:
	s_and_not1_b32 vcc_lo, exec_lo, s6
	s_cbranch_vccnz .LBB5_72
; %bb.70:
	s_clause 0x1
	s_load_b96 s[0:2], s[12:13], 0x4
	s_load_b64 s[4:5], s[12:13], 0xc4
	s_cmp_lt_u32 s30, 2
	s_wait_kmcnt 0x0
	v_mul_hi_u32 v6, s1, v8
	s_delay_alu instid0(VALU_DEP_1) | instskip(NEXT) | instid1(VALU_DEP_1)
	v_add_nc_u32_e32 v6, v8, v6
	v_lshrrev_b32_e32 v9, s2, v6
	s_delay_alu instid0(VALU_DEP_1) | instskip(NEXT) | instid1(VALU_DEP_1)
	v_mul_lo_u32 v6, v9, s0
	v_sub_nc_u32_e32 v6, v8, v6
	s_delay_alu instid0(VALU_DEP_1)
	v_mul_lo_u32 v7, v6, s5
	v_mul_lo_u32 v6, v6, s4
	s_cbranch_scc1 .LBB5_72
; %bb.71:
	s_clause 0x1
	s_load_b96 s[0:2], s[12:13], 0x10
	s_load_b64 s[4:5], s[12:13], 0xcc
	s_wait_kmcnt 0x0
	v_mul_hi_u32 v8, s1, v9
	s_delay_alu instid0(VALU_DEP_1) | instskip(NEXT) | instid1(VALU_DEP_1)
	v_add_nc_u32_e32 v8, v9, v8
	v_lshrrev_b32_e32 v8, s2, v8
	s_delay_alu instid0(VALU_DEP_1) | instskip(NEXT) | instid1(VALU_DEP_1)
	v_mul_lo_u32 v8, v8, s0
	v_sub_nc_u32_e32 v8, v9, v8
	s_delay_alu instid0(VALU_DEP_1)
	v_mad_u32 v6, v8, s4, v6
	v_mad_u32 v7, v8, s5, v7
.LBB5_72:
	s_clause 0x1
	s_load_b128 s[4:7], s[12:13], 0x148
	s_load_b64 s[2:3], s[12:13], 0x158
	s_wait_kmcnt 0x0
	s_clause 0x3
	global_load_b64 v[8:9], v3, s[6:7]
	global_load_b64 v[10:11], v5, s[6:7]
	;; [unrolled: 1-line block ×4, first 2 shown]
	s_wait_loadcnt 0x3
	s_wait_xcnt 0x0
	v_cmp_nge_f64_e64 s6, v[8:9], -s[2:3]
	v_cmp_nge_f64_e32 vcc_lo, s[2:3], v[8:9]
	s_wait_loadcnt 0x2
	v_cmp_nge_f64_e64 s7, v[10:11], -s[2:3]
	v_cmp_nge_f64_e64 s0, s[2:3], v[10:11]
	s_wait_loadcnt 0x1
	v_cmp_nge_f64_e64 s8, v[12:13], -s[2:3]
	v_cmp_nge_f64_e64 s1, s[2:3], v[12:13]
	;; [unrolled: 3-line block ×3, first 2 shown]
	s_or_b32 vcc_lo, s6, vcc_lo
	s_or_b32 s0, s7, s0
	s_delay_alu instid0(SALU_CYCLE_1) | instskip(SKIP_3) | instid1(SALU_CYCLE_1)
	v_dual_cndmask_b32 v9, 0, v9, vcc_lo :: v_dual_cndmask_b32 v11, 0, v11, s0
	s_or_b32 s1, s8, s1
	v_dual_cndmask_b32 v8, 0, v8, vcc_lo :: v_dual_cndmask_b32 v10, 0, v10, s0
	s_or_b32 s2, s9, s2
	v_dual_cndmask_b32 v13, 0, v13, s1 :: v_dual_cndmask_b32 v15, 0, v15, s2
	v_dual_cndmask_b32 v12, 0, v12, s1 :: v_dual_cndmask_b32 v14, 0, v14, s2
	s_clause 0x3
	global_store_b64 v2, v[8:9], s[4:5]
	global_store_b64 v4, v[10:11], s[4:5]
	;; [unrolled: 1-line block ×4, first 2 shown]
	s_endpgm
.LBB5_73:
	v_dual_mov_b32 v3, 0 :: v_dual_mov_b32 v2, 0
	s_branch .LBB5_79
.LBB5_74:
	v_dual_mov_b32 v3, 0 :: v_dual_mov_b32 v2, 0
	s_branch .LBB5_95
.LBB5_75:
	v_mov_b64_e32 v[2:3], 0
	v_mov_b32_e32 v1, v0
	s_mov_b32 s24, 0
.LBB5_76:
	s_and_b32 s16, s16, 3
	s_mov_b32 s25, 0
	s_cmp_eq_u32 s16, 0
	s_cbranch_scc1 .LBB5_79
; %bb.77:
	s_lshl_b32 s26, s24, 3
	s_mov_b32 s27, s25
	s_mul_u64 s[28:29], s[24:25], 12
	s_add_nc_u64 s[26:27], s[12:13], s[26:27]
	s_delay_alu instid0(SALU_CYCLE_1)
	s_add_nc_u64 s[24:25], s[26:27], 0xc4
	s_add_nc_u64 s[26:27], s[12:13], s[28:29]
.LBB5_78:                               ; =>This Inner Loop Header: Depth=1
	s_load_b96 s[40:42], s[26:27], 0x4
	s_load_b64 s[28:29], s[24:25], 0x0
	s_add_co_i32 s16, s16, -1
	s_wait_xcnt 0x0
	s_add_nc_u64 s[26:27], s[26:27], 12
	s_cmp_lg_u32 s16, 0
	s_add_nc_u64 s[24:25], s[24:25], 8
	s_wait_kmcnt 0x0
	v_mul_hi_u32 v4, s41, v1
	s_delay_alu instid0(VALU_DEP_1) | instskip(NEXT) | instid1(VALU_DEP_1)
	v_add_nc_u32_e32 v4, v1, v4
	v_lshrrev_b32_e32 v4, s42, v4
	s_delay_alu instid0(VALU_DEP_1) | instskip(NEXT) | instid1(VALU_DEP_1)
	v_mul_lo_u32 v5, v4, s40
	v_sub_nc_u32_e32 v1, v1, v5
	s_delay_alu instid0(VALU_DEP_1)
	v_mad_u32 v3, v1, s29, v3
	v_mad_u32 v2, v1, s28, v2
	v_mov_b32_e32 v1, v4
	s_cbranch_scc1 .LBB5_78
.LBB5_79:
	s_cbranch_execnz .LBB5_82
.LBB5_80:
	v_mov_b32_e32 v1, 0
	s_and_not1_b32 vcc_lo, exec_lo, s35
	s_delay_alu instid0(VALU_DEP_1) | instskip(NEXT) | instid1(VALU_DEP_1)
	v_mul_u64_e32 v[2:3], s[18:19], v[0:1]
	v_add_nc_u32_e32 v2, v0, v3
	s_delay_alu instid0(VALU_DEP_1) | instskip(NEXT) | instid1(VALU_DEP_1)
	v_lshrrev_b32_e32 v4, s6, v2
	v_mul_lo_u32 v2, v4, s4
	s_delay_alu instid0(VALU_DEP_1) | instskip(NEXT) | instid1(VALU_DEP_1)
	v_sub_nc_u32_e32 v2, v0, v2
	v_mul_lo_u32 v3, v2, s9
	v_mul_lo_u32 v2, v2, s8
	s_cbranch_vccnz .LBB5_82
; %bb.81:
	v_mov_b32_e32 v5, v1
	s_delay_alu instid0(VALU_DEP_1) | instskip(NEXT) | instid1(VALU_DEP_1)
	v_mul_u64_e32 v[6:7], s[20:21], v[4:5]
	v_add_nc_u32_e32 v1, v4, v7
	s_delay_alu instid0(VALU_DEP_1) | instskip(NEXT) | instid1(VALU_DEP_1)
	v_lshrrev_b32_e32 v1, s17, v1
	v_mul_lo_u32 v1, v1, s7
	s_delay_alu instid0(VALU_DEP_1) | instskip(NEXT) | instid1(VALU_DEP_1)
	v_sub_nc_u32_e32 v1, v4, v1
	v_mad_u32 v2, v1, s10, v2
	v_mad_u32 v3, v1, s11, v3
.LBB5_82:
	global_load_b64 v[4:5], v3, s[2:3]
	v_add_nc_u32_e32 v0, 0x80, v0
	s_wait_loadcnt 0x0
	v_cmp_nge_f64_e64 s16, v[4:5], -s[14:15]
	v_cmp_nge_f64_e32 vcc_lo, s[14:15], v[4:5]
	s_or_b32 vcc_lo, s16, vcc_lo
	v_dual_cndmask_b32 v5, 0, v5 :: v_dual_cndmask_b32 v4, 0, v4
	global_store_b64 v2, v[4:5], s[0:1]
	s_wait_xcnt 0x0
	s_or_b32 exec_lo, exec_lo, s5
	s_delay_alu instid0(SALU_CYCLE_1)
	s_mov_b32 s5, exec_lo
	v_cmpx_gt_i32_e64 s36, v0
	s_cbranch_execnz .LBB5_15
.LBB5_83:
	s_or_b32 exec_lo, exec_lo, s5
	s_delay_alu instid0(SALU_CYCLE_1)
	s_mov_b32 s5, exec_lo
	v_cmpx_gt_i32_e64 s36, v0
	s_cbranch_execz .LBB5_99
.LBB5_84:
	s_and_not1_b32 vcc_lo, exec_lo, s33
	s_cbranch_vccnz .LBB5_89
; %bb.85:
	s_and_not1_b32 vcc_lo, exec_lo, s38
	s_cbranch_vccnz .LBB5_90
; %bb.86:
	s_add_co_i32 s16, s37, 1
	s_cmp_eq_u32 s31, 2
	s_cbranch_scc1 .LBB5_102
; %bb.87:
	v_dual_mov_b32 v2, 0 :: v_dual_mov_b32 v3, 0
	v_mov_b32_e32 v1, v0
	s_and_b32 s24, s16, 28
	s_mov_b32 s25, 0
	s_mov_b64 s[26:27], s[12:13]
	s_mov_b64 s[28:29], s[22:23]
.LBB5_88:                               ; =>This Inner Loop Header: Depth=1
	s_clause 0x1
	s_load_b256 s[40:47], s[26:27], 0x4
	s_load_b128 s[56:59], s[26:27], 0x24
	s_load_b256 s[48:55], s[28:29], 0x0
	s_add_co_i32 s25, s25, 4
	s_wait_xcnt 0x0
	s_add_nc_u64 s[26:27], s[26:27], 48
	s_cmp_eq_u32 s24, s25
	s_add_nc_u64 s[28:29], s[28:29], 32
	s_wait_kmcnt 0x0
	v_mul_hi_u32 v4, s41, v1
	s_delay_alu instid0(VALU_DEP_1) | instskip(NEXT) | instid1(VALU_DEP_1)
	v_add_nc_u32_e32 v4, v1, v4
	v_lshrrev_b32_e32 v4, s42, v4
	s_delay_alu instid0(VALU_DEP_1) | instskip(NEXT) | instid1(VALU_DEP_1)
	v_mul_hi_u32 v5, s44, v4
	v_add_nc_u32_e32 v5, v4, v5
	s_delay_alu instid0(VALU_DEP_1) | instskip(NEXT) | instid1(VALU_DEP_1)
	v_lshrrev_b32_e32 v5, s45, v5
	v_mul_hi_u32 v6, s47, v5
	s_delay_alu instid0(VALU_DEP_1) | instskip(SKIP_1) | instid1(VALU_DEP_1)
	v_add_nc_u32_e32 v6, v5, v6
	v_mul_lo_u32 v7, v4, s40
	v_sub_nc_u32_e32 v1, v1, v7
	v_mul_lo_u32 v7, v5, s43
	s_delay_alu instid0(VALU_DEP_4) | instskip(NEXT) | instid1(VALU_DEP_3)
	v_lshrrev_b32_e32 v6, s56, v6
	v_mad_u32 v3, v1, s49, v3
	v_mad_u32 v1, v1, s48, v2
	s_delay_alu instid0(VALU_DEP_4) | instskip(NEXT) | instid1(VALU_DEP_4)
	v_sub_nc_u32_e32 v2, v4, v7
	v_mul_hi_u32 v8, s58, v6
	v_mul_lo_u32 v4, v6, s46
	s_delay_alu instid0(VALU_DEP_3) | instskip(SKIP_1) | instid1(VALU_DEP_4)
	v_mad_u32 v3, v2, s51, v3
	v_mad_u32 v2, v2, s50, v1
	v_add_nc_u32_e32 v7, v6, v8
	s_delay_alu instid0(VALU_DEP_1) | instskip(NEXT) | instid1(VALU_DEP_1)
	v_dual_sub_nc_u32 v4, v5, v4 :: v_dual_lshrrev_b32 v1, s59, v7
	v_mad_u32 v3, v4, s53, v3
	s_delay_alu instid0(VALU_DEP_4) | instskip(NEXT) | instid1(VALU_DEP_3)
	v_mad_u32 v2, v4, s52, v2
	v_mul_lo_u32 v5, v1, s57
	s_delay_alu instid0(VALU_DEP_1) | instskip(NEXT) | instid1(VALU_DEP_1)
	v_sub_nc_u32_e32 v4, v6, v5
	v_mad_u32 v3, v4, s55, v3
	s_delay_alu instid0(VALU_DEP_4)
	v_mad_u32 v2, v4, s54, v2
	s_cbranch_scc0 .LBB5_88
	s_branch .LBB5_103
.LBB5_89:
                                        ; implicit-def: $vgpr3
	s_branch .LBB5_107
.LBB5_90:
	v_dual_mov_b32 v3, 0 :: v_dual_mov_b32 v2, 0
	s_branch .LBB5_106
.LBB5_91:
	v_mov_b64_e32 v[2:3], 0
	v_mov_b32_e32 v1, v0
	s_mov_b32 s24, 0
.LBB5_92:
	s_and_b32 s16, s16, 3
	s_mov_b32 s25, 0
	s_cmp_eq_u32 s16, 0
	s_cbranch_scc1 .LBB5_95
; %bb.93:
	s_lshl_b32 s26, s24, 3
	s_mov_b32 s27, s25
	s_mul_u64 s[28:29], s[24:25], 12
	s_add_nc_u64 s[26:27], s[12:13], s[26:27]
	s_delay_alu instid0(SALU_CYCLE_1)
	s_add_nc_u64 s[24:25], s[26:27], 0xc4
	s_add_nc_u64 s[26:27], s[12:13], s[28:29]
.LBB5_94:                               ; =>This Inner Loop Header: Depth=1
	s_load_b96 s[40:42], s[26:27], 0x4
	s_load_b64 s[28:29], s[24:25], 0x0
	s_add_co_i32 s16, s16, -1
	s_wait_xcnt 0x0
	s_add_nc_u64 s[26:27], s[26:27], 12
	s_cmp_lg_u32 s16, 0
	s_add_nc_u64 s[24:25], s[24:25], 8
	s_wait_kmcnt 0x0
	v_mul_hi_u32 v4, s41, v1
	s_delay_alu instid0(VALU_DEP_1) | instskip(NEXT) | instid1(VALU_DEP_1)
	v_add_nc_u32_e32 v4, v1, v4
	v_lshrrev_b32_e32 v4, s42, v4
	s_delay_alu instid0(VALU_DEP_1) | instskip(NEXT) | instid1(VALU_DEP_1)
	v_mul_lo_u32 v5, v4, s40
	v_sub_nc_u32_e32 v1, v1, v5
	s_delay_alu instid0(VALU_DEP_1)
	v_mad_u32 v3, v1, s29, v3
	v_mad_u32 v2, v1, s28, v2
	v_mov_b32_e32 v1, v4
	s_cbranch_scc1 .LBB5_94
.LBB5_95:
	s_cbranch_execnz .LBB5_98
.LBB5_96:
	v_mov_b32_e32 v1, 0
	s_and_not1_b32 vcc_lo, exec_lo, s35
	s_delay_alu instid0(VALU_DEP_1) | instskip(NEXT) | instid1(VALU_DEP_1)
	v_mul_u64_e32 v[2:3], s[18:19], v[0:1]
	v_add_nc_u32_e32 v2, v0, v3
	s_delay_alu instid0(VALU_DEP_1) | instskip(NEXT) | instid1(VALU_DEP_1)
	v_lshrrev_b32_e32 v4, s6, v2
	v_mul_lo_u32 v2, v4, s4
	s_delay_alu instid0(VALU_DEP_1) | instskip(NEXT) | instid1(VALU_DEP_1)
	v_sub_nc_u32_e32 v2, v0, v2
	v_mul_lo_u32 v3, v2, s9
	v_mul_lo_u32 v2, v2, s8
	s_cbranch_vccnz .LBB5_98
; %bb.97:
	v_mov_b32_e32 v5, v1
	s_delay_alu instid0(VALU_DEP_1) | instskip(NEXT) | instid1(VALU_DEP_1)
	v_mul_u64_e32 v[6:7], s[20:21], v[4:5]
	v_add_nc_u32_e32 v1, v4, v7
	s_delay_alu instid0(VALU_DEP_1) | instskip(NEXT) | instid1(VALU_DEP_1)
	v_lshrrev_b32_e32 v1, s17, v1
	v_mul_lo_u32 v1, v1, s7
	s_delay_alu instid0(VALU_DEP_1) | instskip(NEXT) | instid1(VALU_DEP_1)
	v_sub_nc_u32_e32 v1, v4, v1
	v_mad_u32 v2, v1, s10, v2
	v_mad_u32 v3, v1, s11, v3
.LBB5_98:
	global_load_b64 v[4:5], v3, s[2:3]
	v_add_nc_u32_e32 v0, 0x80, v0
	s_wait_loadcnt 0x0
	v_cmp_nge_f64_e64 s16, v[4:5], -s[14:15]
	v_cmp_nge_f64_e32 vcc_lo, s[14:15], v[4:5]
	s_or_b32 vcc_lo, s16, vcc_lo
	v_dual_cndmask_b32 v5, 0, v5 :: v_dual_cndmask_b32 v4, 0, v4
	global_store_b64 v2, v[4:5], s[0:1]
	s_wait_xcnt 0x0
	s_or_b32 exec_lo, exec_lo, s5
	s_delay_alu instid0(SALU_CYCLE_1)
	s_mov_b32 s5, exec_lo
	v_cmpx_gt_i32_e64 s36, v0
	s_cbranch_execnz .LBB5_84
.LBB5_99:
	s_or_b32 exec_lo, exec_lo, s5
	s_delay_alu instid0(SALU_CYCLE_1)
	s_mov_b32 s5, exec_lo
	v_cmpx_gt_i32_e64 s36, v0
	s_cbranch_execnz .LBB5_110
.LBB5_100:
	s_or_b32 exec_lo, exec_lo, s5
                                        ; implicit-def: $vgpr8
                                        ; implicit-def: $vgpr0
	s_and_not1_saveexec_b32 s0, s34
	s_cbranch_execnz .LBB5_8
.LBB5_101:
	s_endpgm
.LBB5_102:
	v_mov_b64_e32 v[2:3], 0
	v_mov_b32_e32 v1, v0
	s_mov_b32 s24, 0
.LBB5_103:
	s_and_b32 s16, s16, 3
	s_mov_b32 s25, 0
	s_cmp_eq_u32 s16, 0
	s_cbranch_scc1 .LBB5_106
; %bb.104:
	s_lshl_b32 s26, s24, 3
	s_mov_b32 s27, s25
	s_mul_u64 s[28:29], s[24:25], 12
	s_add_nc_u64 s[26:27], s[12:13], s[26:27]
	s_delay_alu instid0(SALU_CYCLE_1)
	s_add_nc_u64 s[24:25], s[26:27], 0xc4
	s_add_nc_u64 s[26:27], s[12:13], s[28:29]
.LBB5_105:                              ; =>This Inner Loop Header: Depth=1
	s_load_b96 s[40:42], s[26:27], 0x4
	s_load_b64 s[28:29], s[24:25], 0x0
	s_add_co_i32 s16, s16, -1
	s_wait_xcnt 0x0
	s_add_nc_u64 s[26:27], s[26:27], 12
	s_cmp_lg_u32 s16, 0
	s_add_nc_u64 s[24:25], s[24:25], 8
	s_wait_kmcnt 0x0
	v_mul_hi_u32 v4, s41, v1
	s_delay_alu instid0(VALU_DEP_1) | instskip(NEXT) | instid1(VALU_DEP_1)
	v_add_nc_u32_e32 v4, v1, v4
	v_lshrrev_b32_e32 v4, s42, v4
	s_delay_alu instid0(VALU_DEP_1) | instskip(NEXT) | instid1(VALU_DEP_1)
	v_mul_lo_u32 v5, v4, s40
	v_sub_nc_u32_e32 v1, v1, v5
	s_delay_alu instid0(VALU_DEP_1)
	v_mad_u32 v3, v1, s29, v3
	v_mad_u32 v2, v1, s28, v2
	v_mov_b32_e32 v1, v4
	s_cbranch_scc1 .LBB5_105
.LBB5_106:
	s_cbranch_execnz .LBB5_109
.LBB5_107:
	v_mov_b32_e32 v1, 0
	s_and_not1_b32 vcc_lo, exec_lo, s35
	s_delay_alu instid0(VALU_DEP_1) | instskip(NEXT) | instid1(VALU_DEP_1)
	v_mul_u64_e32 v[2:3], s[18:19], v[0:1]
	v_add_nc_u32_e32 v2, v0, v3
	s_delay_alu instid0(VALU_DEP_1) | instskip(NEXT) | instid1(VALU_DEP_1)
	v_lshrrev_b32_e32 v4, s6, v2
	v_mul_lo_u32 v2, v4, s4
	s_delay_alu instid0(VALU_DEP_1) | instskip(NEXT) | instid1(VALU_DEP_1)
	v_sub_nc_u32_e32 v2, v0, v2
	v_mul_lo_u32 v3, v2, s9
	v_mul_lo_u32 v2, v2, s8
	s_cbranch_vccnz .LBB5_109
; %bb.108:
	v_mov_b32_e32 v5, v1
	s_delay_alu instid0(VALU_DEP_1) | instskip(NEXT) | instid1(VALU_DEP_1)
	v_mul_u64_e32 v[6:7], s[20:21], v[4:5]
	v_add_nc_u32_e32 v1, v4, v7
	s_delay_alu instid0(VALU_DEP_1) | instskip(NEXT) | instid1(VALU_DEP_1)
	v_lshrrev_b32_e32 v1, s17, v1
	v_mul_lo_u32 v1, v1, s7
	s_delay_alu instid0(VALU_DEP_1) | instskip(NEXT) | instid1(VALU_DEP_1)
	v_sub_nc_u32_e32 v1, v4, v1
	v_mad_u32 v2, v1, s10, v2
	v_mad_u32 v3, v1, s11, v3
.LBB5_109:
	global_load_b64 v[4:5], v3, s[2:3]
	v_add_nc_u32_e32 v0, 0x80, v0
	s_wait_loadcnt 0x0
	v_cmp_nge_f64_e64 s16, v[4:5], -s[14:15]
	v_cmp_nge_f64_e32 vcc_lo, s[14:15], v[4:5]
	s_or_b32 vcc_lo, s16, vcc_lo
	v_dual_cndmask_b32 v5, 0, v5 :: v_dual_cndmask_b32 v4, 0, v4
	global_store_b64 v2, v[4:5], s[0:1]
	s_wait_xcnt 0x0
	s_or_b32 exec_lo, exec_lo, s5
	s_delay_alu instid0(SALU_CYCLE_1)
	s_mov_b32 s5, exec_lo
	v_cmpx_gt_i32_e64 s36, v0
	s_cbranch_execz .LBB5_100
.LBB5_110:
	s_and_not1_b32 vcc_lo, exec_lo, s33
	s_cbranch_vccnz .LBB5_115
; %bb.111:
	s_and_not1_b32 vcc_lo, exec_lo, s38
	s_cbranch_vccnz .LBB5_116
; %bb.112:
	s_add_co_i32 s37, s37, 1
	s_cmp_eq_u32 s31, 2
	s_cbranch_scc1 .LBB5_117
; %bb.113:
	v_dual_mov_b32 v2, 0 :: v_dual_mov_b32 v3, 0
	v_mov_b32_e32 v1, v0
	s_and_b32 s24, s37, 28
	s_mov_b32 s16, 0
	s_mov_b64 s[26:27], s[12:13]
.LBB5_114:                              ; =>This Inner Loop Header: Depth=1
	s_clause 0x1
	s_load_b256 s[40:47], s[26:27], 0x4
	s_load_b128 s[56:59], s[26:27], 0x24
	s_load_b256 s[48:55], s[22:23], 0x0
	s_add_co_i32 s16, s16, 4
	s_wait_xcnt 0x0
	s_add_nc_u64 s[26:27], s[26:27], 48
	s_cmp_eq_u32 s24, s16
	s_add_nc_u64 s[22:23], s[22:23], 32
	s_wait_kmcnt 0x0
	v_mul_hi_u32 v4, s41, v1
	s_delay_alu instid0(VALU_DEP_1) | instskip(NEXT) | instid1(VALU_DEP_1)
	v_add_nc_u32_e32 v4, v1, v4
	v_lshrrev_b32_e32 v4, s42, v4
	s_delay_alu instid0(VALU_DEP_1) | instskip(NEXT) | instid1(VALU_DEP_1)
	v_mul_hi_u32 v5, s44, v4
	v_add_nc_u32_e32 v5, v4, v5
	s_delay_alu instid0(VALU_DEP_1) | instskip(NEXT) | instid1(VALU_DEP_1)
	v_lshrrev_b32_e32 v5, s45, v5
	v_mul_hi_u32 v6, s47, v5
	s_delay_alu instid0(VALU_DEP_1) | instskip(SKIP_1) | instid1(VALU_DEP_1)
	v_add_nc_u32_e32 v6, v5, v6
	v_mul_lo_u32 v7, v4, s40
	v_sub_nc_u32_e32 v1, v1, v7
	v_mul_lo_u32 v7, v5, s43
	s_delay_alu instid0(VALU_DEP_4) | instskip(NEXT) | instid1(VALU_DEP_3)
	v_lshrrev_b32_e32 v6, s56, v6
	v_mad_u32 v3, v1, s49, v3
	v_mad_u32 v1, v1, s48, v2
	s_delay_alu instid0(VALU_DEP_4) | instskip(NEXT) | instid1(VALU_DEP_4)
	v_sub_nc_u32_e32 v2, v4, v7
	v_mul_hi_u32 v8, s58, v6
	v_mul_lo_u32 v4, v6, s46
	s_delay_alu instid0(VALU_DEP_3) | instskip(SKIP_1) | instid1(VALU_DEP_4)
	v_mad_u32 v3, v2, s51, v3
	v_mad_u32 v2, v2, s50, v1
	v_add_nc_u32_e32 v7, v6, v8
	s_delay_alu instid0(VALU_DEP_1) | instskip(NEXT) | instid1(VALU_DEP_1)
	v_dual_sub_nc_u32 v4, v5, v4 :: v_dual_lshrrev_b32 v1, s59, v7
	v_mad_u32 v3, v4, s53, v3
	s_delay_alu instid0(VALU_DEP_4) | instskip(NEXT) | instid1(VALU_DEP_3)
	v_mad_u32 v2, v4, s52, v2
	v_mul_lo_u32 v5, v1, s57
	s_delay_alu instid0(VALU_DEP_1) | instskip(NEXT) | instid1(VALU_DEP_1)
	v_sub_nc_u32_e32 v4, v6, v5
	v_mad_u32 v3, v4, s55, v3
	s_delay_alu instid0(VALU_DEP_4)
	v_mad_u32 v2, v4, s54, v2
	s_cbranch_scc0 .LBB5_114
	s_branch .LBB5_118
.LBB5_115:
                                        ; implicit-def: $vgpr3
	s_branch .LBB5_122
.LBB5_116:
	v_dual_mov_b32 v3, 0 :: v_dual_mov_b32 v2, 0
	s_branch .LBB5_121
.LBB5_117:
	v_mov_b64_e32 v[2:3], 0
	v_mov_b32_e32 v1, v0
	s_mov_b32 s24, 0
.LBB5_118:
	s_and_b32 s16, s37, 3
	s_mov_b32 s25, 0
	s_cmp_eq_u32 s16, 0
	s_cbranch_scc1 .LBB5_121
; %bb.119:
	s_lshl_b32 s22, s24, 3
	s_mov_b32 s23, s25
	s_mul_u64 s[24:25], s[24:25], 12
	s_add_nc_u64 s[22:23], s[12:13], s[22:23]
	s_add_nc_u64 s[24:25], s[12:13], s[24:25]
	;; [unrolled: 1-line block ×3, first 2 shown]
.LBB5_120:                              ; =>This Inner Loop Header: Depth=1
	s_load_b96 s[36:38], s[24:25], 0x4
	s_load_b64 s[26:27], s[22:23], 0x0
	s_add_co_i32 s16, s16, -1
	s_wait_xcnt 0x0
	s_add_nc_u64 s[24:25], s[24:25], 12
	s_cmp_lg_u32 s16, 0
	s_add_nc_u64 s[22:23], s[22:23], 8
	s_wait_kmcnt 0x0
	v_mul_hi_u32 v4, s37, v1
	s_delay_alu instid0(VALU_DEP_1) | instskip(NEXT) | instid1(VALU_DEP_1)
	v_add_nc_u32_e32 v4, v1, v4
	v_lshrrev_b32_e32 v4, s38, v4
	s_delay_alu instid0(VALU_DEP_1) | instskip(NEXT) | instid1(VALU_DEP_1)
	v_mul_lo_u32 v5, v4, s36
	v_sub_nc_u32_e32 v1, v1, v5
	s_delay_alu instid0(VALU_DEP_1)
	v_mad_u32 v3, v1, s27, v3
	v_mad_u32 v2, v1, s26, v2
	v_mov_b32_e32 v1, v4
	s_cbranch_scc1 .LBB5_120
.LBB5_121:
	s_cbranch_execnz .LBB5_124
.LBB5_122:
	v_mov_b32_e32 v1, 0
	s_and_not1_b32 vcc_lo, exec_lo, s35
	s_delay_alu instid0(VALU_DEP_1) | instskip(NEXT) | instid1(VALU_DEP_1)
	v_mul_u64_e32 v[2:3], s[18:19], v[0:1]
	v_add_nc_u32_e32 v2, v0, v3
	s_delay_alu instid0(VALU_DEP_1) | instskip(NEXT) | instid1(VALU_DEP_1)
	v_lshrrev_b32_e32 v4, s6, v2
	v_mul_lo_u32 v2, v4, s4
	s_delay_alu instid0(VALU_DEP_1) | instskip(NEXT) | instid1(VALU_DEP_1)
	v_sub_nc_u32_e32 v0, v0, v2
	v_mul_lo_u32 v3, v0, s9
	v_mul_lo_u32 v2, v0, s8
	s_cbranch_vccnz .LBB5_124
; %bb.123:
	v_mov_b32_e32 v5, v1
	s_delay_alu instid0(VALU_DEP_1) | instskip(NEXT) | instid1(VALU_DEP_1)
	v_mul_u64_e32 v[0:1], s[20:21], v[4:5]
	v_add_nc_u32_e32 v0, v4, v1
	s_delay_alu instid0(VALU_DEP_1) | instskip(NEXT) | instid1(VALU_DEP_1)
	v_lshrrev_b32_e32 v0, s17, v0
	v_mul_lo_u32 v0, v0, s7
	s_delay_alu instid0(VALU_DEP_1) | instskip(NEXT) | instid1(VALU_DEP_1)
	v_sub_nc_u32_e32 v0, v4, v0
	v_mad_u32 v2, v0, s10, v2
	v_mad_u32 v3, v0, s11, v3
.LBB5_124:
	global_load_b64 v[0:1], v3, s[2:3]
	s_wait_loadcnt 0x0
	v_cmp_nge_f64_e64 s2, v[0:1], -s[14:15]
	v_cmp_nge_f64_e32 vcc_lo, s[14:15], v[0:1]
	s_or_b32 vcc_lo, s2, vcc_lo
	v_dual_cndmask_b32 v1, 0, v1 :: v_dual_cndmask_b32 v0, 0, v0
	global_store_b64 v2, v[0:1], s[0:1]
	s_wait_xcnt 0x0
	s_or_b32 exec_lo, exec_lo, s5
                                        ; implicit-def: $vgpr8
                                        ; implicit-def: $vgpr0
	s_and_not1_saveexec_b32 s0, s34
	s_cbranch_execz .LBB5_101
	s_branch .LBB5_8
	.section	.rodata,"a",@progbits
	.p2align	6, 0x0
	.amdhsa_kernel _ZN2at6native32elementwise_kernel_manual_unrollILi128ELi4EZNS0_22gpu_kernel_impl_nocastIZZZNS0_12_GLOBAL__N_117hardshrink_kernelERNS_18TensorIteratorBaseERKN3c106ScalarEENKUlvE_clEvENKUlvE_clEvEUldE_EEvS5_RKT_EUlibE_EEviT1_
		.amdhsa_group_segment_fixed_size 0
		.amdhsa_private_segment_fixed_size 0
		.amdhsa_kernarg_size 360
		.amdhsa_user_sgpr_count 2
		.amdhsa_user_sgpr_dispatch_ptr 0
		.amdhsa_user_sgpr_queue_ptr 0
		.amdhsa_user_sgpr_kernarg_segment_ptr 1
		.amdhsa_user_sgpr_dispatch_id 0
		.amdhsa_user_sgpr_kernarg_preload_length 0
		.amdhsa_user_sgpr_kernarg_preload_offset 0
		.amdhsa_user_sgpr_private_segment_size 0
		.amdhsa_wavefront_size32 1
		.amdhsa_uses_dynamic_stack 0
		.amdhsa_enable_private_segment 0
		.amdhsa_system_sgpr_workgroup_id_x 1
		.amdhsa_system_sgpr_workgroup_id_y 0
		.amdhsa_system_sgpr_workgroup_id_z 0
		.amdhsa_system_sgpr_workgroup_info 0
		.amdhsa_system_vgpr_workitem_id 0
		.amdhsa_next_free_vgpr 16
		.amdhsa_next_free_sgpr 60
		.amdhsa_named_barrier_count 0
		.amdhsa_reserve_vcc 1
		.amdhsa_float_round_mode_32 0
		.amdhsa_float_round_mode_16_64 0
		.amdhsa_float_denorm_mode_32 3
		.amdhsa_float_denorm_mode_16_64 3
		.amdhsa_fp16_overflow 0
		.amdhsa_memory_ordered 1
		.amdhsa_forward_progress 1
		.amdhsa_inst_pref_size 51
		.amdhsa_round_robin_scheduling 0
		.amdhsa_exception_fp_ieee_invalid_op 0
		.amdhsa_exception_fp_denorm_src 0
		.amdhsa_exception_fp_ieee_div_zero 0
		.amdhsa_exception_fp_ieee_overflow 0
		.amdhsa_exception_fp_ieee_underflow 0
		.amdhsa_exception_fp_ieee_inexact 0
		.amdhsa_exception_int_div_zero 0
	.end_amdhsa_kernel
	.section	.text._ZN2at6native32elementwise_kernel_manual_unrollILi128ELi4EZNS0_22gpu_kernel_impl_nocastIZZZNS0_12_GLOBAL__N_117hardshrink_kernelERNS_18TensorIteratorBaseERKN3c106ScalarEENKUlvE_clEvENKUlvE_clEvEUldE_EEvS5_RKT_EUlibE_EEviT1_,"axG",@progbits,_ZN2at6native32elementwise_kernel_manual_unrollILi128ELi4EZNS0_22gpu_kernel_impl_nocastIZZZNS0_12_GLOBAL__N_117hardshrink_kernelERNS_18TensorIteratorBaseERKN3c106ScalarEENKUlvE_clEvENKUlvE_clEvEUldE_EEvS5_RKT_EUlibE_EEviT1_,comdat
.Lfunc_end5:
	.size	_ZN2at6native32elementwise_kernel_manual_unrollILi128ELi4EZNS0_22gpu_kernel_impl_nocastIZZZNS0_12_GLOBAL__N_117hardshrink_kernelERNS_18TensorIteratorBaseERKN3c106ScalarEENKUlvE_clEvENKUlvE_clEvEUldE_EEvS5_RKT_EUlibE_EEviT1_, .Lfunc_end5-_ZN2at6native32elementwise_kernel_manual_unrollILi128ELi4EZNS0_22gpu_kernel_impl_nocastIZZZNS0_12_GLOBAL__N_117hardshrink_kernelERNS_18TensorIteratorBaseERKN3c106ScalarEENKUlvE_clEvENKUlvE_clEvEUldE_EEvS5_RKT_EUlibE_EEviT1_
                                        ; -- End function
	.set _ZN2at6native32elementwise_kernel_manual_unrollILi128ELi4EZNS0_22gpu_kernel_impl_nocastIZZZNS0_12_GLOBAL__N_117hardshrink_kernelERNS_18TensorIteratorBaseERKN3c106ScalarEENKUlvE_clEvENKUlvE_clEvEUldE_EEvS5_RKT_EUlibE_EEviT1_.num_vgpr, 16
	.set _ZN2at6native32elementwise_kernel_manual_unrollILi128ELi4EZNS0_22gpu_kernel_impl_nocastIZZZNS0_12_GLOBAL__N_117hardshrink_kernelERNS_18TensorIteratorBaseERKN3c106ScalarEENKUlvE_clEvENKUlvE_clEvEUldE_EEvS5_RKT_EUlibE_EEviT1_.num_agpr, 0
	.set _ZN2at6native32elementwise_kernel_manual_unrollILi128ELi4EZNS0_22gpu_kernel_impl_nocastIZZZNS0_12_GLOBAL__N_117hardshrink_kernelERNS_18TensorIteratorBaseERKN3c106ScalarEENKUlvE_clEvENKUlvE_clEvEUldE_EEvS5_RKT_EUlibE_EEviT1_.numbered_sgpr, 60
	.set _ZN2at6native32elementwise_kernel_manual_unrollILi128ELi4EZNS0_22gpu_kernel_impl_nocastIZZZNS0_12_GLOBAL__N_117hardshrink_kernelERNS_18TensorIteratorBaseERKN3c106ScalarEENKUlvE_clEvENKUlvE_clEvEUldE_EEvS5_RKT_EUlibE_EEviT1_.num_named_barrier, 0
	.set _ZN2at6native32elementwise_kernel_manual_unrollILi128ELi4EZNS0_22gpu_kernel_impl_nocastIZZZNS0_12_GLOBAL__N_117hardshrink_kernelERNS_18TensorIteratorBaseERKN3c106ScalarEENKUlvE_clEvENKUlvE_clEvEUldE_EEvS5_RKT_EUlibE_EEviT1_.private_seg_size, 0
	.set _ZN2at6native32elementwise_kernel_manual_unrollILi128ELi4EZNS0_22gpu_kernel_impl_nocastIZZZNS0_12_GLOBAL__N_117hardshrink_kernelERNS_18TensorIteratorBaseERKN3c106ScalarEENKUlvE_clEvENKUlvE_clEvEUldE_EEvS5_RKT_EUlibE_EEviT1_.uses_vcc, 1
	.set _ZN2at6native32elementwise_kernel_manual_unrollILi128ELi4EZNS0_22gpu_kernel_impl_nocastIZZZNS0_12_GLOBAL__N_117hardshrink_kernelERNS_18TensorIteratorBaseERKN3c106ScalarEENKUlvE_clEvENKUlvE_clEvEUldE_EEvS5_RKT_EUlibE_EEviT1_.uses_flat_scratch, 0
	.set _ZN2at6native32elementwise_kernel_manual_unrollILi128ELi4EZNS0_22gpu_kernel_impl_nocastIZZZNS0_12_GLOBAL__N_117hardshrink_kernelERNS_18TensorIteratorBaseERKN3c106ScalarEENKUlvE_clEvENKUlvE_clEvEUldE_EEvS5_RKT_EUlibE_EEviT1_.has_dyn_sized_stack, 0
	.set _ZN2at6native32elementwise_kernel_manual_unrollILi128ELi4EZNS0_22gpu_kernel_impl_nocastIZZZNS0_12_GLOBAL__N_117hardshrink_kernelERNS_18TensorIteratorBaseERKN3c106ScalarEENKUlvE_clEvENKUlvE_clEvEUldE_EEvS5_RKT_EUlibE_EEviT1_.has_recursion, 0
	.set _ZN2at6native32elementwise_kernel_manual_unrollILi128ELi4EZNS0_22gpu_kernel_impl_nocastIZZZNS0_12_GLOBAL__N_117hardshrink_kernelERNS_18TensorIteratorBaseERKN3c106ScalarEENKUlvE_clEvENKUlvE_clEvEUldE_EEvS5_RKT_EUlibE_EEviT1_.has_indirect_call, 0
	.section	.AMDGPU.csdata,"",@progbits
; Kernel info:
; codeLenInByte = 6488
; TotalNumSgprs: 62
; NumVgprs: 16
; ScratchSize: 0
; MemoryBound: 0
; FloatMode: 240
; IeeeMode: 1
; LDSByteSize: 0 bytes/workgroup (compile time only)
; SGPRBlocks: 0
; VGPRBlocks: 0
; NumSGPRsForWavesPerEU: 62
; NumVGPRsForWavesPerEU: 16
; NamedBarCnt: 0
; Occupancy: 16
; WaveLimiterHint : 1
; COMPUTE_PGM_RSRC2:SCRATCH_EN: 0
; COMPUTE_PGM_RSRC2:USER_SGPR: 2
; COMPUTE_PGM_RSRC2:TRAP_HANDLER: 0
; COMPUTE_PGM_RSRC2:TGID_X_EN: 1
; COMPUTE_PGM_RSRC2:TGID_Y_EN: 0
; COMPUTE_PGM_RSRC2:TGID_Z_EN: 0
; COMPUTE_PGM_RSRC2:TIDIG_COMP_CNT: 0
	.section	.text._ZN2at6native32elementwise_kernel_manual_unrollILi128ELi4EZNS0_15gpu_kernel_implIZZZNS0_12_GLOBAL__N_117hardshrink_kernelERNS_18TensorIteratorBaseERKN3c106ScalarEENKUlvE_clEvENKUlvE_clEvEUldE_EEvS5_RKT_EUlibE_EEviT1_,"axG",@progbits,_ZN2at6native32elementwise_kernel_manual_unrollILi128ELi4EZNS0_15gpu_kernel_implIZZZNS0_12_GLOBAL__N_117hardshrink_kernelERNS_18TensorIteratorBaseERKN3c106ScalarEENKUlvE_clEvENKUlvE_clEvEUldE_EEvS5_RKT_EUlibE_EEviT1_,comdat
	.globl	_ZN2at6native32elementwise_kernel_manual_unrollILi128ELi4EZNS0_15gpu_kernel_implIZZZNS0_12_GLOBAL__N_117hardshrink_kernelERNS_18TensorIteratorBaseERKN3c106ScalarEENKUlvE_clEvENKUlvE_clEvEUldE_EEvS5_RKT_EUlibE_EEviT1_ ; -- Begin function _ZN2at6native32elementwise_kernel_manual_unrollILi128ELi4EZNS0_15gpu_kernel_implIZZZNS0_12_GLOBAL__N_117hardshrink_kernelERNS_18TensorIteratorBaseERKN3c106ScalarEENKUlvE_clEvENKUlvE_clEvEUldE_EEvS5_RKT_EUlibE_EEviT1_
	.p2align	8
	.type	_ZN2at6native32elementwise_kernel_manual_unrollILi128ELi4EZNS0_15gpu_kernel_implIZZZNS0_12_GLOBAL__N_117hardshrink_kernelERNS_18TensorIteratorBaseERKN3c106ScalarEENKUlvE_clEvENKUlvE_clEvEUldE_EEvS5_RKT_EUlibE_EEviT1_,@function
_ZN2at6native32elementwise_kernel_manual_unrollILi128ELi4EZNS0_15gpu_kernel_implIZZZNS0_12_GLOBAL__N_117hardshrink_kernelERNS_18TensorIteratorBaseERKN3c106ScalarEENKUlvE_clEvENKUlvE_clEvEUldE_EEvS5_RKT_EUlibE_EEviT1_: ; @_ZN2at6native32elementwise_kernel_manual_unrollILi128ELi4EZNS0_15gpu_kernel_implIZZZNS0_12_GLOBAL__N_117hardshrink_kernelERNS_18TensorIteratorBaseERKN3c106ScalarEENKUlvE_clEvENKUlvE_clEvEUldE_EEvS5_RKT_EUlibE_EEviT1_
; %bb.0:
	s_load_b32 s2, s[0:1], 0x28
	s_bfe_u32 s3, ttmp6, 0x4000c
	s_clause 0x1
	s_load_b32 s14, s[0:1], 0x0
	s_load_b256 s[4:11], s[0:1], 0x8
	s_add_co_i32 s3, s3, 1
	s_and_b32 s12, ttmp6, 15
	s_wait_xcnt 0x0
	s_mul_i32 s0, ttmp9, s3
	s_getreg_b32 s13, hwreg(HW_REG_IB_STS2, 6, 4)
	s_add_co_i32 s12, s12, s0
	s_mov_b32 s1, 0
	s_wait_kmcnt 0x0
	s_bfe_u32 s3, s2, 0x80008
	s_cmp_eq_u32 s13, 0
	s_mov_b32 s13, 0
	s_cselect_b32 s0, ttmp9, s12
	s_delay_alu instid0(SALU_CYCLE_1) | instskip(SKIP_1) | instid1(VALU_DEP_1)
	v_lshl_or_b32 v10, s0, 9, v0
	s_mov_b32 s0, exec_lo
	v_or_b32_e32 v0, 0x180, v10
	s_delay_alu instid0(VALU_DEP_1)
	v_cmpx_le_i32_e64 s14, v0
	s_xor_b32 s12, exec_lo, s0
	s_cbranch_execz .LBB6_1028
; %bb.1:
	s_mov_b32 s19, -1
	s_mov_b32 s17, 0
	s_mov_b32 s15, 0
	s_mov_b32 s16, exec_lo
	v_cmpx_gt_i32_e64 s14, v10
	s_cbranch_execz .LBB6_252
; %bb.2:
	v_mul_lo_u32 v0, v10, s9
	s_and_b32 s0, 0xffff, s3
	s_delay_alu instid0(SALU_CYCLE_1) | instskip(NEXT) | instid1(VALU_DEP_1)
	s_cmp_lt_i32 s0, 11
	v_ashrrev_i32_e32 v1, 31, v0
	s_delay_alu instid0(VALU_DEP_1)
	v_add_nc_u64_e32 v[0:1], s[6:7], v[0:1]
	s_cbranch_scc1 .LBB6_9
; %bb.3:
	s_cmp_gt_i32 s0, 25
	s_cbranch_scc0 .LBB6_57
; %bb.4:
	s_cmp_gt_i32 s0, 28
	s_cbranch_scc0 .LBB6_58
	;; [unrolled: 3-line block ×4, first 2 shown]
; %bb.7:
	s_cmp_eq_u32 s0, 46
	s_mov_b32 s18, 0
	s_cbranch_scc0 .LBB6_64
; %bb.8:
	global_load_b32 v2, v[0:1], off
	s_mov_b32 s13, -1
	s_wait_loadcnt 0x0
	v_lshlrev_b32_e32 v2, 16, v2
	s_delay_alu instid0(VALU_DEP_1)
	v_cvt_f64_f32_e32 v[2:3], v2
	s_branch .LBB6_66
.LBB6_9:
                                        ; implicit-def: $vgpr2_vgpr3
	s_cbranch_execnz .LBB6_202
.LBB6_10:
	s_and_not1_b32 vcc_lo, exec_lo, s13
	s_cbranch_vccnz .LBB6_249
.LBB6_11:
	s_wait_loadcnt 0x0
	s_delay_alu instid0(VALU_DEP_1)
	v_cmp_nge_f64_e64 s13, v[2:3], -s[10:11]
	v_cmp_nge_f64_e32 vcc_lo, s[10:11], v[2:3]
	v_mul_lo_u32 v0, v10, s8
	s_mov_b32 s0, 0
	s_mov_b32 s18, -1
	s_mov_b32 s19, 0
	s_or_b32 vcc_lo, s13, vcc_lo
	s_delay_alu instid0(VALU_DEP_1) | instskip(SKIP_1) | instid1(SALU_CYCLE_1)
	v_ashrrev_i32_e32 v1, 31, v0
	s_and_b32 s13, s2, 0xff
	s_cmp_lt_i32 s13, 11
	s_delay_alu instid0(VALU_DEP_1)
	v_add_nc_u64_e32 v[4:5], s[4:5], v[0:1]
	v_dual_cndmask_b32 v1, 0, v3 :: v_dual_cndmask_b32 v0, 0, v2
	s_cbranch_scc1 .LBB6_18
; %bb.12:
	s_and_b32 s18, 0xffff, s13
	s_delay_alu instid0(SALU_CYCLE_1)
	s_cmp_gt_i32 s18, 25
	s_cbranch_scc0 .LBB6_59
; %bb.13:
	s_cmp_gt_i32 s18, 28
	s_cbranch_scc0 .LBB6_61
; %bb.14:
	;; [unrolled: 3-line block ×4, first 2 shown]
	s_mov_b32 s20, 0
	s_mov_b32 s0, -1
	s_cmp_eq_u32 s18, 46
	s_cbranch_scc0 .LBB6_70
; %bb.17:
	v_cvt_f32_f64_e32 v2, v[0:1]
	s_mov_b32 s19, -1
	s_mov_b32 s0, 0
	s_delay_alu instid0(VALU_DEP_1) | instskip(SKIP_1) | instid1(VALU_DEP_2)
	v_bfe_u32 v3, v2, 16, 1
	v_cmp_o_f32_e32 vcc_lo, v2, v2
	v_add3_u32 v3, v2, v3, 0x7fff
	s_delay_alu instid0(VALU_DEP_1) | instskip(NEXT) | instid1(VALU_DEP_1)
	v_lshrrev_b32_e32 v3, 16, v3
	v_cndmask_b32_e32 v2, 0x7fc0, v3, vcc_lo
	global_store_b32 v[4:5], v2, off
	s_branch .LBB6_70
.LBB6_18:
	s_and_b32 vcc_lo, exec_lo, s18
	s_cbranch_vccz .LBB6_139
; %bb.19:
	s_and_b32 s13, 0xffff, s13
	s_mov_b32 s18, -1
	s_cmp_lt_i32 s13, 5
	s_cbranch_scc1 .LBB6_40
; %bb.20:
	s_cmp_lt_i32 s13, 8
	s_cbranch_scc1 .LBB6_30
; %bb.21:
	;; [unrolled: 3-line block ×3, first 2 shown]
	s_cmp_gt_i32 s13, 9
	s_cbranch_scc0 .LBB6_24
; %bb.23:
	s_wait_xcnt 0x0
	v_mov_b32_e32 v2, 0
	s_mov_b32 s18, 0
	s_delay_alu instid0(VALU_DEP_1)
	v_mov_b32_e32 v3, v2
	global_store_b128 v[4:5], v[0:3], off
.LBB6_24:
	s_and_not1_b32 vcc_lo, exec_lo, s18
	s_cbranch_vccnz .LBB6_26
; %bb.25:
	s_wait_xcnt 0x0
	v_cvt_f32_f64_e32 v2, v[0:1]
	v_mov_b32_e32 v3, 0
	global_store_b64 v[4:5], v[2:3], off
.LBB6_26:
	s_mov_b32 s18, 0
.LBB6_27:
	s_delay_alu instid0(SALU_CYCLE_1)
	s_and_not1_b32 vcc_lo, exec_lo, s18
	s_cbranch_vccnz .LBB6_29
; %bb.28:
	s_wait_xcnt 0x0
	v_and_or_b32 v2, 0x1ff, v1, v0
	v_lshrrev_b32_e32 v3, 8, v1
	v_bfe_u32 v6, v1, 20, 11
	s_delay_alu instid0(VALU_DEP_3) | instskip(NEXT) | instid1(VALU_DEP_2)
	v_cmp_ne_u32_e32 vcc_lo, 0, v2
	v_sub_nc_u32_e32 v7, 0x3f1, v6
	v_cndmask_b32_e64 v2, 0, 1, vcc_lo
	s_delay_alu instid0(VALU_DEP_1) | instskip(NEXT) | instid1(VALU_DEP_3)
	v_and_or_b32 v2, 0xffe, v3, v2
	v_med3_i32 v3, v7, 0, 13
	s_delay_alu instid0(VALU_DEP_2) | instskip(NEXT) | instid1(VALU_DEP_1)
	v_or_b32_e32 v7, 0x1000, v2
	v_lshrrev_b32_e32 v8, v3, v7
	s_delay_alu instid0(VALU_DEP_1) | instskip(NEXT) | instid1(VALU_DEP_1)
	v_lshlrev_b32_e32 v3, v3, v8
	v_cmp_ne_u32_e32 vcc_lo, v3, v7
	v_cndmask_b32_e64 v3, 0, 1, vcc_lo
	s_delay_alu instid0(VALU_DEP_1) | instskip(SKIP_1) | instid1(VALU_DEP_1)
	v_or_b32_e32 v3, v8, v3
	v_add_nc_u32_e32 v6, 0xfffffc10, v6
	v_lshl_or_b32 v7, v6, 12, v2
	v_cmp_gt_i32_e32 vcc_lo, 1, v6
	s_delay_alu instid0(VALU_DEP_2) | instskip(NEXT) | instid1(VALU_DEP_1)
	v_cndmask_b32_e32 v3, v7, v3, vcc_lo
	v_dual_lshrrev_b32 v3, 2, v3 :: v_dual_bitop2_b32 v7, 7, v3 bitop3:0x40
	s_delay_alu instid0(VALU_DEP_1) | instskip(SKIP_4) | instid1(VALU_DEP_2)
	v_cmp_lt_i32_e32 vcc_lo, 5, v7
	v_cndmask_b32_e64 v8, 0, 1, vcc_lo
	v_cmp_eq_u32_e32 vcc_lo, 3, v7
	v_cndmask_b32_e64 v7, 0, 1, vcc_lo
	v_cmp_ne_u32_e32 vcc_lo, 0, v2
	v_or_b32_e32 v7, v7, v8
	s_delay_alu instid0(VALU_DEP_1) | instskip(NEXT) | instid1(VALU_DEP_1)
	v_dual_mov_b32 v8, 0x7e00 :: v_dual_add_nc_u32 v3, v3, v7
	v_cndmask_b32_e32 v2, 0x7c00, v8, vcc_lo
	v_cmp_gt_i32_e32 vcc_lo, 31, v6
	v_lshrrev_b32_e32 v7, 16, v1
	s_delay_alu instid0(VALU_DEP_4) | instskip(SKIP_1) | instid1(VALU_DEP_2)
	v_cndmask_b32_e32 v3, 0x7c00, v3, vcc_lo
	v_cmp_eq_u32_e32 vcc_lo, 0x40f, v6
	v_cndmask_b32_e32 v2, v3, v2, vcc_lo
	s_delay_alu instid0(VALU_DEP_4) | instskip(NEXT) | instid1(VALU_DEP_1)
	v_and_b32_e32 v3, 0x8000, v7
	v_bitop3_b32 v2, v3, 0xffff, v2 bitop3:0xc8
	global_store_b32 v[4:5], v2, off
.LBB6_29:
	s_mov_b32 s18, 0
.LBB6_30:
	s_delay_alu instid0(SALU_CYCLE_1)
	s_and_not1_b32 vcc_lo, exec_lo, s18
	s_cbranch_vccnz .LBB6_39
; %bb.31:
	s_cmp_lt_i32 s13, 6
	s_mov_b32 s18, -1
	s_cbranch_scc1 .LBB6_37
; %bb.32:
	s_cmp_gt_i32 s13, 6
	s_cbranch_scc0 .LBB6_34
; %bb.33:
	s_mov_b32 s18, 0
	global_store_b64 v[4:5], v[0:1], off
.LBB6_34:
	s_and_not1_b32 vcc_lo, exec_lo, s18
	s_cbranch_vccnz .LBB6_36
; %bb.35:
	s_wait_xcnt 0x0
	v_cvt_f32_f64_e32 v2, v[0:1]
	global_store_b32 v[4:5], v2, off
.LBB6_36:
	s_mov_b32 s18, 0
.LBB6_37:
	s_delay_alu instid0(SALU_CYCLE_1)
	s_and_not1_b32 vcc_lo, exec_lo, s18
	s_cbranch_vccnz .LBB6_39
; %bb.38:
	s_wait_xcnt 0x0
	v_and_or_b32 v2, 0x1ff, v1, v0
	v_lshrrev_b32_e32 v3, 8, v1
	v_bfe_u32 v6, v1, 20, 11
	s_delay_alu instid0(VALU_DEP_3) | instskip(NEXT) | instid1(VALU_DEP_2)
	v_cmp_ne_u32_e32 vcc_lo, 0, v2
	v_sub_nc_u32_e32 v7, 0x3f1, v6
	v_cndmask_b32_e64 v2, 0, 1, vcc_lo
	s_delay_alu instid0(VALU_DEP_1) | instskip(NEXT) | instid1(VALU_DEP_3)
	v_and_or_b32 v2, 0xffe, v3, v2
	v_med3_i32 v3, v7, 0, 13
	s_delay_alu instid0(VALU_DEP_2) | instskip(NEXT) | instid1(VALU_DEP_1)
	v_or_b32_e32 v7, 0x1000, v2
	v_lshrrev_b32_e32 v8, v3, v7
	s_delay_alu instid0(VALU_DEP_1) | instskip(NEXT) | instid1(VALU_DEP_1)
	v_lshlrev_b32_e32 v3, v3, v8
	v_cmp_ne_u32_e32 vcc_lo, v3, v7
	v_cndmask_b32_e64 v3, 0, 1, vcc_lo
	s_delay_alu instid0(VALU_DEP_1) | instskip(SKIP_1) | instid1(VALU_DEP_1)
	v_or_b32_e32 v3, v8, v3
	v_add_nc_u32_e32 v6, 0xfffffc10, v6
	v_lshl_or_b32 v7, v6, 12, v2
	v_cmp_gt_i32_e32 vcc_lo, 1, v6
	s_delay_alu instid0(VALU_DEP_2) | instskip(NEXT) | instid1(VALU_DEP_1)
	v_cndmask_b32_e32 v3, v7, v3, vcc_lo
	v_dual_lshrrev_b32 v3, 2, v3 :: v_dual_bitop2_b32 v7, 7, v3 bitop3:0x40
	s_delay_alu instid0(VALU_DEP_1) | instskip(SKIP_4) | instid1(VALU_DEP_2)
	v_cmp_lt_i32_e32 vcc_lo, 5, v7
	v_cndmask_b32_e64 v8, 0, 1, vcc_lo
	v_cmp_eq_u32_e32 vcc_lo, 3, v7
	v_cndmask_b32_e64 v7, 0, 1, vcc_lo
	v_cmp_ne_u32_e32 vcc_lo, 0, v2
	v_or_b32_e32 v7, v7, v8
	s_delay_alu instid0(VALU_DEP_1) | instskip(NEXT) | instid1(VALU_DEP_1)
	v_dual_mov_b32 v8, 0x7e00 :: v_dual_add_nc_u32 v3, v3, v7
	v_cndmask_b32_e32 v2, 0x7c00, v8, vcc_lo
	v_cmp_gt_i32_e32 vcc_lo, 31, v6
	s_delay_alu instid0(VALU_DEP_3) | instskip(SKIP_1) | instid1(VALU_DEP_2)
	v_cndmask_b32_e32 v3, 0x7c00, v3, vcc_lo
	v_cmp_eq_u32_e32 vcc_lo, 0x40f, v6
	v_dual_cndmask_b32 v2, v3, v2 :: v_dual_lshrrev_b32 v3, 16, v1
	s_delay_alu instid0(VALU_DEP_1)
	v_and_or_b32 v2, 0x8000, v3, v2
	global_store_b16 v[4:5], v2, off
.LBB6_39:
	s_mov_b32 s18, 0
.LBB6_40:
	s_delay_alu instid0(SALU_CYCLE_1)
	s_and_not1_b32 vcc_lo, exec_lo, s18
	s_cbranch_vccnz .LBB6_56
; %bb.41:
	s_cmp_lt_i32 s13, 2
	s_mov_b32 s18, -1
	s_cbranch_scc1 .LBB6_51
; %bb.42:
	s_cmp_lt_i32 s13, 3
	s_cbranch_scc1 .LBB6_48
; %bb.43:
	s_cmp_gt_i32 s13, 3
	s_cbranch_scc0 .LBB6_45
; %bb.44:
	s_wait_xcnt 0x0
	v_trunc_f64_e32 v[2:3], v[0:1]
	s_mov_b32 s18, 0
	s_delay_alu instid0(VALU_DEP_1) | instskip(NEXT) | instid1(VALU_DEP_1)
	v_ldexp_f64 v[6:7], v[2:3], 0xffffffe0
	v_floor_f64_e32 v[6:7], v[6:7]
	s_delay_alu instid0(VALU_DEP_1) | instskip(SKIP_1) | instid1(VALU_DEP_2)
	v_fmamk_f64 v[2:3], v[6:7], 0xc1f00000, v[2:3]
	v_cvt_i32_f64_e32 v7, v[6:7]
	v_cvt_u32_f64_e32 v6, v[2:3]
	global_store_b64 v[4:5], v[6:7], off
.LBB6_45:
	s_and_not1_b32 vcc_lo, exec_lo, s18
	s_cbranch_vccnz .LBB6_47
; %bb.46:
	s_wait_xcnt 0x0
	v_cvt_i32_f64_e32 v2, v[0:1]
	global_store_b32 v[4:5], v2, off
.LBB6_47:
	s_mov_b32 s18, 0
.LBB6_48:
	s_delay_alu instid0(SALU_CYCLE_1)
	s_and_not1_b32 vcc_lo, exec_lo, s18
	s_cbranch_vccnz .LBB6_50
; %bb.49:
	s_wait_xcnt 0x0
	v_cvt_i32_f64_e32 v2, v[0:1]
	global_store_b16 v[4:5], v2, off
.LBB6_50:
	s_mov_b32 s18, 0
.LBB6_51:
	s_delay_alu instid0(SALU_CYCLE_1)
	s_and_not1_b32 vcc_lo, exec_lo, s18
	s_cbranch_vccnz .LBB6_56
; %bb.52:
	s_cmp_gt_i32 s13, 0
	s_mov_b32 s13, -1
	s_cbranch_scc0 .LBB6_54
; %bb.53:
	s_wait_xcnt 0x0
	v_cvt_i32_f64_e32 v2, v[0:1]
	s_mov_b32 s13, 0
	global_store_b8 v[4:5], v2, off
.LBB6_54:
	s_and_not1_b32 vcc_lo, exec_lo, s13
	s_cbranch_vccnz .LBB6_56
; %bb.55:
	s_wait_xcnt 0x0
	v_trunc_f64_e32 v[0:1], v[0:1]
	s_delay_alu instid0(VALU_DEP_1) | instskip(NEXT) | instid1(VALU_DEP_1)
	v_ldexp_f64 v[2:3], v[0:1], 0xffffffe0
	v_floor_f64_e32 v[2:3], v[2:3]
	s_delay_alu instid0(VALU_DEP_1) | instskip(NEXT) | instid1(VALU_DEP_1)
	v_fmamk_f64 v[0:1], v[2:3], 0xc1f00000, v[0:1]
	v_cvt_u32_f64_e32 v0, v[0:1]
	global_store_b8 v[4:5], v0, off
.LBB6_56:
	s_branch .LBB6_140
.LBB6_57:
                                        ; implicit-def: $vgpr2_vgpr3
	s_cbranch_execnz .LBB6_167
	s_branch .LBB6_201
.LBB6_58:
	s_mov_b32 s18, -1
                                        ; implicit-def: $vgpr2_vgpr3
	s_branch .LBB6_148
.LBB6_59:
	s_mov_b32 s20, -1
	s_branch .LBB6_97
.LBB6_60:
	s_mov_b32 s18, -1
                                        ; implicit-def: $vgpr2_vgpr3
	s_branch .LBB6_143
.LBB6_61:
	s_mov_b32 s20, -1
	s_branch .LBB6_80
.LBB6_62:
	s_mov_b32 s18, -1
	s_branch .LBB6_65
.LBB6_63:
	s_mov_b32 s20, -1
	s_branch .LBB6_76
.LBB6_64:
	s_mov_b32 s15, -1
.LBB6_65:
                                        ; implicit-def: $vgpr2_vgpr3
.LBB6_66:
	s_and_b32 vcc_lo, exec_lo, s18
	s_cbranch_vccz .LBB6_142
; %bb.67:
	s_cmp_eq_u32 s0, 44
	s_cbranch_scc0 .LBB6_141
; %bb.68:
	global_load_u8 v4, v[0:1], off
	s_mov_b32 s15, 0
	s_mov_b32 s13, -1
	s_wait_loadcnt 0x0
	v_cmp_ne_u32_e32 vcc_lo, 0xff, v4
	v_lshlrev_b32_e32 v2, 23, v4
	s_delay_alu instid0(VALU_DEP_1) | instskip(NEXT) | instid1(VALU_DEP_1)
	v_cvt_f64_f32_e32 v[2:3], v2
	v_cndmask_b32_e32 v2, 0x20000000, v2, vcc_lo
	s_delay_alu instid0(VALU_DEP_2) | instskip(SKIP_1) | instid1(VALU_DEP_2)
	v_cndmask_b32_e32 v3, 0x7ff80000, v3, vcc_lo
	v_cmp_ne_u32_e32 vcc_lo, 0, v4
	v_cndmask_b32_e32 v3, 0x38000000, v3, vcc_lo
	s_delay_alu instid0(VALU_DEP_4)
	v_cndmask_b32_e32 v2, 0, v2, vcc_lo
	s_branch .LBB6_142
.LBB6_69:
	s_mov_b32 s20, -1
.LBB6_70:
	s_delay_alu instid0(SALU_CYCLE_1)
	s_and_b32 vcc_lo, exec_lo, s20
	s_cbranch_vccz .LBB6_75
; %bb.71:
	s_cmp_eq_u32 s18, 44
	s_mov_b32 s0, -1
	s_cbranch_scc0 .LBB6_75
; %bb.72:
	s_wait_xcnt 0x0
	v_cvt_f32_f64_e32 v2, v[0:1]
	v_mov_b32_e32 v3, 0xff
	s_mov_b32 s19, exec_lo
	s_delay_alu instid0(VALU_DEP_2) | instskip(NEXT) | instid1(VALU_DEP_1)
	v_bfe_u32 v6, v2, 23, 8
	v_cmpx_ne_u32_e32 0xff, v6
	s_cbranch_execz .LBB6_74
; %bb.73:
	v_and_b32_e32 v3, 0x400000, v2
	v_and_or_b32 v6, 0x3fffff, v2, v6
	v_lshrrev_b32_e32 v2, 23, v2
	s_delay_alu instid0(VALU_DEP_3) | instskip(NEXT) | instid1(VALU_DEP_3)
	v_cmp_ne_u32_e32 vcc_lo, 0, v3
	v_cmp_ne_u32_e64 s0, 0, v6
	s_and_b32 s0, vcc_lo, s0
	s_delay_alu instid0(SALU_CYCLE_1) | instskip(NEXT) | instid1(VALU_DEP_1)
	v_cndmask_b32_e64 v3, 0, 1, s0
	v_add_nc_u32_e32 v3, v2, v3
.LBB6_74:
	s_or_b32 exec_lo, exec_lo, s19
	s_mov_b32 s19, -1
	s_mov_b32 s0, 0
	global_store_b8 v[4:5], v3, off
.LBB6_75:
	s_mov_b32 s20, 0
.LBB6_76:
	s_delay_alu instid0(SALU_CYCLE_1)
	s_and_b32 vcc_lo, exec_lo, s20
	s_cbranch_vccz .LBB6_79
; %bb.77:
	s_cmp_eq_u32 s18, 29
	s_mov_b32 s0, -1
	s_cbranch_scc0 .LBB6_79
; %bb.78:
	s_wait_xcnt 0x0
	v_trunc_f64_e32 v[2:3], v[0:1]
	s_mov_b32 s19, -1
	s_mov_b32 s0, 0
	s_mov_b32 s20, 0
	s_delay_alu instid0(VALU_DEP_1) | instskip(NEXT) | instid1(VALU_DEP_1)
	v_ldexp_f64 v[6:7], v[2:3], 0xffffffe0
	v_floor_f64_e32 v[6:7], v[6:7]
	s_delay_alu instid0(VALU_DEP_1) | instskip(SKIP_1) | instid1(VALU_DEP_2)
	v_fmamk_f64 v[2:3], v[6:7], 0xc1f00000, v[2:3]
	v_cvt_u32_f64_e32 v7, v[6:7]
	v_cvt_u32_f64_e32 v6, v[2:3]
	global_store_b64 v[4:5], v[6:7], off
	s_branch .LBB6_80
.LBB6_79:
	s_mov_b32 s20, 0
.LBB6_80:
	s_delay_alu instid0(SALU_CYCLE_1)
	s_and_b32 vcc_lo, exec_lo, s20
	s_cbranch_vccz .LBB6_96
; %bb.81:
	s_cmp_lt_i32 s18, 27
	s_mov_b32 s19, -1
	s_cbranch_scc1 .LBB6_87
; %bb.82:
	s_wait_xcnt 0x0
	v_cvt_u32_f64_e32 v2, v[0:1]
	s_cmp_gt_i32 s18, 27
	s_cbranch_scc0 .LBB6_84
; %bb.83:
	s_mov_b32 s19, 0
	global_store_b32 v[4:5], v2, off
.LBB6_84:
	s_and_not1_b32 vcc_lo, exec_lo, s19
	s_cbranch_vccnz .LBB6_86
; %bb.85:
	global_store_b16 v[4:5], v2, off
.LBB6_86:
	s_mov_b32 s19, 0
.LBB6_87:
	s_delay_alu instid0(SALU_CYCLE_1)
	s_and_not1_b32 vcc_lo, exec_lo, s19
	s_cbranch_vccnz .LBB6_95
; %bb.88:
	s_wait_xcnt 0x0
	v_cvt_f32_f64_e32 v2, v[0:1]
	v_mov_b32_e32 v6, 0x80
	s_mov_b32 s19, exec_lo
	s_delay_alu instid0(VALU_DEP_2) | instskip(NEXT) | instid1(VALU_DEP_1)
	v_and_b32_e32 v3, 0x7fffffff, v2
	v_cmpx_gt_u32_e32 0x43800000, v3
	s_cbranch_execz .LBB6_94
; %bb.89:
	v_cmp_lt_u32_e32 vcc_lo, 0x3bffffff, v3
	s_mov_b32 s20, 0
                                        ; implicit-def: $vgpr3
	s_and_saveexec_b32 s21, vcc_lo
	s_delay_alu instid0(SALU_CYCLE_1)
	s_xor_b32 s21, exec_lo, s21
	s_cbranch_execz .LBB6_318
; %bb.90:
	v_bfe_u32 v3, v2, 20, 1
	s_mov_b32 s20, exec_lo
	s_delay_alu instid0(VALU_DEP_1) | instskip(NEXT) | instid1(VALU_DEP_1)
	v_add3_u32 v3, v2, v3, 0x487ffff
	v_lshrrev_b32_e32 v3, 20, v3
	s_and_not1_saveexec_b32 s21, s21
	s_cbranch_execnz .LBB6_319
.LBB6_91:
	s_or_b32 exec_lo, exec_lo, s21
	v_mov_b32_e32 v6, 0
	s_and_saveexec_b32 s21, s20
.LBB6_92:
	v_lshrrev_b32_e32 v2, 24, v2
	s_delay_alu instid0(VALU_DEP_1)
	v_and_or_b32 v6, 0x80, v2, v3
.LBB6_93:
	s_or_b32 exec_lo, exec_lo, s21
.LBB6_94:
	s_delay_alu instid0(SALU_CYCLE_1)
	s_or_b32 exec_lo, exec_lo, s19
	global_store_b8 v[4:5], v6, off
.LBB6_95:
	s_mov_b32 s19, -1
.LBB6_96:
	s_mov_b32 s20, 0
.LBB6_97:
	s_delay_alu instid0(SALU_CYCLE_1)
	s_and_b32 vcc_lo, exec_lo, s20
	s_cbranch_vccz .LBB6_138
; %bb.98:
	s_cmp_gt_i32 s18, 22
	s_mov_b32 s20, -1
	s_cbranch_scc0 .LBB6_130
; %bb.99:
	s_cmp_lt_i32 s18, 24
	s_mov_b32 s19, -1
	s_cbranch_scc1 .LBB6_119
; %bb.100:
	s_cmp_gt_i32 s18, 24
	s_cbranch_scc0 .LBB6_108
; %bb.101:
	s_wait_xcnt 0x0
	v_cvt_f32_f64_e32 v2, v[0:1]
	v_mov_b32_e32 v6, 0x80
	s_mov_b32 s19, exec_lo
	s_delay_alu instid0(VALU_DEP_2) | instskip(NEXT) | instid1(VALU_DEP_1)
	v_and_b32_e32 v3, 0x7fffffff, v2
	v_cmpx_gt_u32_e32 0x47800000, v3
	s_cbranch_execz .LBB6_107
; %bb.102:
	v_cmp_lt_u32_e32 vcc_lo, 0x37ffffff, v3
	s_mov_b32 s20, 0
                                        ; implicit-def: $vgpr3
	s_and_saveexec_b32 s21, vcc_lo
	s_delay_alu instid0(SALU_CYCLE_1)
	s_xor_b32 s21, exec_lo, s21
	s_cbranch_execz .LBB6_322
; %bb.103:
	v_bfe_u32 v3, v2, 21, 1
	s_mov_b32 s20, exec_lo
	s_delay_alu instid0(VALU_DEP_1) | instskip(NEXT) | instid1(VALU_DEP_1)
	v_add3_u32 v3, v2, v3, 0x88fffff
	v_lshrrev_b32_e32 v3, 21, v3
	s_and_not1_saveexec_b32 s21, s21
	s_cbranch_execnz .LBB6_323
.LBB6_104:
	s_or_b32 exec_lo, exec_lo, s21
	v_mov_b32_e32 v6, 0
	s_and_saveexec_b32 s21, s20
.LBB6_105:
	v_lshrrev_b32_e32 v2, 24, v2
	s_delay_alu instid0(VALU_DEP_1)
	v_and_or_b32 v6, 0x80, v2, v3
.LBB6_106:
	s_or_b32 exec_lo, exec_lo, s21
.LBB6_107:
	s_delay_alu instid0(SALU_CYCLE_1)
	s_or_b32 exec_lo, exec_lo, s19
	s_mov_b32 s19, 0
	global_store_b8 v[4:5], v6, off
.LBB6_108:
	s_and_b32 vcc_lo, exec_lo, s19
	s_cbranch_vccz .LBB6_118
; %bb.109:
	s_wait_xcnt 0x0
	v_cvt_f32_f64_e32 v2, v[0:1]
	s_mov_b32 s19, exec_lo
                                        ; implicit-def: $vgpr3
	s_delay_alu instid0(VALU_DEP_1) | instskip(NEXT) | instid1(VALU_DEP_1)
	v_and_b32_e32 v6, 0x7fffffff, v2
	v_cmpx_gt_u32_e32 0x43f00000, v6
	s_xor_b32 s19, exec_lo, s19
	s_cbranch_execz .LBB6_115
; %bb.110:
	s_mov_b32 s20, exec_lo
                                        ; implicit-def: $vgpr3
	v_cmpx_lt_u32_e32 0x3c7fffff, v6
	s_xor_b32 s20, exec_lo, s20
; %bb.111:
	v_bfe_u32 v3, v2, 20, 1
	s_delay_alu instid0(VALU_DEP_1) | instskip(NEXT) | instid1(VALU_DEP_1)
	v_add3_u32 v3, v2, v3, 0x407ffff
	v_and_b32_e32 v6, 0xff00000, v3
	v_lshrrev_b32_e32 v3, 20, v3
	s_delay_alu instid0(VALU_DEP_2) | instskip(NEXT) | instid1(VALU_DEP_2)
	v_cmp_ne_u32_e32 vcc_lo, 0x7f00000, v6
	v_cndmask_b32_e32 v3, 0x7e, v3, vcc_lo
; %bb.112:
	s_and_not1_saveexec_b32 s20, s20
; %bb.113:
	v_add_f32_e64 v3, 0x46800000, |v2|
; %bb.114:
	s_or_b32 exec_lo, exec_lo, s20
                                        ; implicit-def: $vgpr6
.LBB6_115:
	s_and_not1_saveexec_b32 s19, s19
; %bb.116:
	v_mov_b32_e32 v3, 0x7f
	v_cmp_lt_u32_e32 vcc_lo, 0x7f800000, v6
	s_delay_alu instid0(VALU_DEP_2)
	v_cndmask_b32_e32 v3, 0x7e, v3, vcc_lo
; %bb.117:
	s_or_b32 exec_lo, exec_lo, s19
	v_lshrrev_b32_e32 v2, 24, v2
	s_delay_alu instid0(VALU_DEP_1)
	v_and_or_b32 v2, 0x80, v2, v3
	global_store_b8 v[4:5], v2, off
.LBB6_118:
	s_mov_b32 s19, 0
.LBB6_119:
	s_delay_alu instid0(SALU_CYCLE_1)
	s_and_not1_b32 vcc_lo, exec_lo, s19
	s_cbranch_vccnz .LBB6_129
; %bb.120:
	s_wait_xcnt 0x0
	v_cvt_f32_f64_e32 v2, v[0:1]
	s_mov_b32 s19, exec_lo
                                        ; implicit-def: $vgpr3
	s_delay_alu instid0(VALU_DEP_1) | instskip(NEXT) | instid1(VALU_DEP_1)
	v_and_b32_e32 v6, 0x7fffffff, v2
	v_cmpx_gt_u32_e32 0x47800000, v6
	s_xor_b32 s19, exec_lo, s19
	s_cbranch_execz .LBB6_126
; %bb.121:
	s_mov_b32 s20, exec_lo
                                        ; implicit-def: $vgpr3
	v_cmpx_lt_u32_e32 0x387fffff, v6
	s_xor_b32 s20, exec_lo, s20
; %bb.122:
	v_bfe_u32 v3, v2, 21, 1
	s_delay_alu instid0(VALU_DEP_1) | instskip(NEXT) | instid1(VALU_DEP_1)
	v_add3_u32 v3, v2, v3, 0x80fffff
	v_lshrrev_b32_e32 v3, 21, v3
; %bb.123:
	s_and_not1_saveexec_b32 s20, s20
; %bb.124:
	v_add_f32_e64 v3, 0x43000000, |v2|
; %bb.125:
	s_or_b32 exec_lo, exec_lo, s20
                                        ; implicit-def: $vgpr6
.LBB6_126:
	s_and_not1_saveexec_b32 s19, s19
; %bb.127:
	v_mov_b32_e32 v3, 0x7f
	v_cmp_lt_u32_e32 vcc_lo, 0x7f800000, v6
	s_delay_alu instid0(VALU_DEP_2)
	v_cndmask_b32_e32 v3, 0x7c, v3, vcc_lo
; %bb.128:
	s_or_b32 exec_lo, exec_lo, s19
	v_lshrrev_b32_e32 v2, 24, v2
	s_delay_alu instid0(VALU_DEP_1)
	v_and_or_b32 v2, 0x80, v2, v3
	global_store_b8 v[4:5], v2, off
.LBB6_129:
	s_mov_b32 s20, 0
	s_mov_b32 s19, -1
.LBB6_130:
	s_and_not1_b32 vcc_lo, exec_lo, s20
	s_cbranch_vccnz .LBB6_138
; %bb.131:
	s_cmp_gt_i32 s18, 14
	s_mov_b32 s20, -1
	s_cbranch_scc0 .LBB6_135
; %bb.132:
	s_cmp_eq_u32 s18, 15
	s_mov_b32 s0, -1
	s_cbranch_scc0 .LBB6_134
; %bb.133:
	s_wait_xcnt 0x0
	v_cvt_f32_f64_e32 v2, v[0:1]
	s_mov_b32 s19, -1
	s_mov_b32 s0, 0
	s_delay_alu instid0(VALU_DEP_1) | instskip(SKIP_1) | instid1(VALU_DEP_2)
	v_bfe_u32 v3, v2, 16, 1
	v_cmp_o_f32_e32 vcc_lo, v2, v2
	v_add3_u32 v3, v2, v3, 0x7fff
	s_delay_alu instid0(VALU_DEP_1) | instskip(NEXT) | instid1(VALU_DEP_1)
	v_lshrrev_b32_e32 v3, 16, v3
	v_cndmask_b32_e32 v2, 0x7fc0, v3, vcc_lo
	global_store_b16 v[4:5], v2, off
.LBB6_134:
	s_mov_b32 s20, 0
.LBB6_135:
	s_delay_alu instid0(SALU_CYCLE_1)
	s_and_b32 vcc_lo, exec_lo, s20
	s_cbranch_vccz .LBB6_138
; %bb.136:
	s_cmp_eq_u32 s18, 11
	s_mov_b32 s0, -1
	s_cbranch_scc0 .LBB6_138
; %bb.137:
	v_cmp_neq_f64_e32 vcc_lo, 0, v[0:1]
	s_mov_b32 s19, -1
	s_mov_b32 s0, 0
	s_wait_xcnt 0x0
	v_cndmask_b32_e64 v2, 0, 1, vcc_lo
	global_store_b8 v[4:5], v2, off
.LBB6_138:
.LBB6_139:
	s_and_not1_b32 vcc_lo, exec_lo, s19
	s_cbranch_vccnz .LBB6_250
.LBB6_140:
	v_add_nc_u32_e32 v10, 0x80, v10
	s_mov_b32 s18, -1
	s_branch .LBB6_251
.LBB6_141:
	s_mov_b32 s15, -1
                                        ; implicit-def: $vgpr2_vgpr3
.LBB6_142:
	s_mov_b32 s18, 0
.LBB6_143:
	s_delay_alu instid0(SALU_CYCLE_1)
	s_and_b32 vcc_lo, exec_lo, s18
	s_cbranch_vccz .LBB6_147
; %bb.144:
	s_cmp_eq_u32 s0, 29
	s_cbranch_scc0 .LBB6_146
; %bb.145:
	global_load_b64 v[2:3], v[0:1], off
	s_mov_b32 s13, -1
	s_mov_b32 s15, 0
	s_mov_b32 s18, 0
	s_wait_loadcnt 0x0
	v_cvt_f64_u32_e32 v[4:5], v3
	v_cvt_f64_u32_e32 v[2:3], v2
	s_delay_alu instid0(VALU_DEP_2) | instskip(NEXT) | instid1(VALU_DEP_1)
	v_ldexp_f64 v[4:5], v[4:5], 32
	v_add_f64_e32 v[2:3], v[4:5], v[2:3]
	s_branch .LBB6_148
.LBB6_146:
	s_mov_b32 s15, -1
                                        ; implicit-def: $vgpr2_vgpr3
.LBB6_147:
	s_mov_b32 s18, 0
.LBB6_148:
	s_delay_alu instid0(SALU_CYCLE_1)
	s_and_b32 vcc_lo, exec_lo, s18
	s_cbranch_vccz .LBB6_166
; %bb.149:
	s_cmp_lt_i32 s0, 27
	s_cbranch_scc1 .LBB6_152
; %bb.150:
	s_cmp_gt_i32 s0, 27
	s_cbranch_scc0 .LBB6_153
; %bb.151:
	global_load_b32 v2, v[0:1], off
	s_mov_b32 s13, 0
	s_wait_loadcnt 0x0
	v_cvt_f64_u32_e32 v[2:3], v2
	s_branch .LBB6_154
.LBB6_152:
	s_mov_b32 s13, -1
                                        ; implicit-def: $vgpr2_vgpr3
	s_branch .LBB6_157
.LBB6_153:
	s_mov_b32 s13, -1
                                        ; implicit-def: $vgpr2_vgpr3
.LBB6_154:
	s_delay_alu instid0(SALU_CYCLE_1)
	s_and_not1_b32 vcc_lo, exec_lo, s13
	s_cbranch_vccnz .LBB6_156
; %bb.155:
	global_load_u16 v2, v[0:1], off
	s_wait_loadcnt 0x0
	v_cvt_f64_u32_e32 v[2:3], v2
.LBB6_156:
	s_mov_b32 s13, 0
.LBB6_157:
	s_delay_alu instid0(SALU_CYCLE_1)
	s_and_not1_b32 vcc_lo, exec_lo, s13
	s_cbranch_vccnz .LBB6_165
; %bb.158:
	global_load_u8 v4, v[0:1], off
	s_mov_b32 s13, 0
	s_mov_b32 s18, exec_lo
	s_wait_loadcnt 0x0
	v_cmpx_lt_i16_e32 0x7f, v4
	s_xor_b32 s18, exec_lo, s18
	s_cbranch_execz .LBB6_178
; %bb.159:
	s_mov_b32 s13, -1
	s_mov_b32 s19, exec_lo
	v_cmpx_eq_u16_e32 0x80, v4
; %bb.160:
	s_xor_b32 s13, exec_lo, -1
; %bb.161:
	s_or_b32 exec_lo, exec_lo, s19
	s_delay_alu instid0(SALU_CYCLE_1)
	s_and_b32 s13, s13, exec_lo
	s_or_saveexec_b32 s18, s18
	v_mov_b64_e32 v[2:3], 0x7ff8000020000000
	s_xor_b32 exec_lo, exec_lo, s18
	s_cbranch_execnz .LBB6_179
.LBB6_162:
	s_or_b32 exec_lo, exec_lo, s18
	s_and_saveexec_b32 s18, s13
	s_cbranch_execz .LBB6_164
.LBB6_163:
	v_and_b32_e32 v2, 0xffff, v4
	s_delay_alu instid0(VALU_DEP_1) | instskip(SKIP_1) | instid1(VALU_DEP_2)
	v_and_b32_e32 v3, 7, v2
	v_bfe_u32 v7, v2, 3, 4
	v_clz_i32_u32_e32 v5, v3
	s_delay_alu instid0(VALU_DEP_2) | instskip(NEXT) | instid1(VALU_DEP_2)
	v_cmp_eq_u32_e32 vcc_lo, 0, v7
	v_min_u32_e32 v5, 32, v5
	s_delay_alu instid0(VALU_DEP_1) | instskip(NEXT) | instid1(VALU_DEP_1)
	v_subrev_nc_u32_e32 v6, 28, v5
	v_dual_lshlrev_b32 v2, v6, v2 :: v_dual_sub_nc_u32 v5, 29, v5
	s_delay_alu instid0(VALU_DEP_1) | instskip(NEXT) | instid1(VALU_DEP_2)
	v_dual_lshlrev_b32 v4, 24, v4 :: v_dual_bitop2_b32 v2, 7, v2 bitop3:0x40
	v_cndmask_b32_e32 v5, v7, v5, vcc_lo
	s_delay_alu instid0(VALU_DEP_2) | instskip(NEXT) | instid1(VALU_DEP_3)
	v_cndmask_b32_e32 v2, v3, v2, vcc_lo
	v_and_b32_e32 v3, 0x80000000, v4
	s_delay_alu instid0(VALU_DEP_3) | instskip(NEXT) | instid1(VALU_DEP_3)
	v_lshl_add_u32 v4, v5, 23, 0x3b800000
	v_lshlrev_b32_e32 v2, 20, v2
	s_delay_alu instid0(VALU_DEP_1) | instskip(NEXT) | instid1(VALU_DEP_1)
	v_or3_b32 v2, v3, v4, v2
	v_cvt_f64_f32_e32 v[2:3], v2
.LBB6_164:
	s_or_b32 exec_lo, exec_lo, s18
.LBB6_165:
	s_mov_b32 s13, -1
.LBB6_166:
	s_branch .LBB6_201
.LBB6_167:
	s_cmp_gt_i32 s0, 22
	s_cbranch_scc0 .LBB6_177
; %bb.168:
	s_cmp_lt_i32 s0, 24
	s_cbranch_scc1 .LBB6_180
; %bb.169:
	s_cmp_gt_i32 s0, 24
	s_cbranch_scc0 .LBB6_181
; %bb.170:
	global_load_u8 v4, v[0:1], off
	s_mov_b32 s13, 0
	s_mov_b32 s18, exec_lo
	s_wait_loadcnt 0x0
	v_cmpx_lt_i16_e32 0x7f, v4
	s_xor_b32 s18, exec_lo, s18
	s_cbranch_execz .LBB6_193
; %bb.171:
	s_mov_b32 s13, -1
	s_mov_b32 s19, exec_lo
	v_cmpx_eq_u16_e32 0x80, v4
; %bb.172:
	s_xor_b32 s13, exec_lo, -1
; %bb.173:
	s_or_b32 exec_lo, exec_lo, s19
	s_delay_alu instid0(SALU_CYCLE_1)
	s_and_b32 s13, s13, exec_lo
	s_or_saveexec_b32 s18, s18
	v_mov_b64_e32 v[2:3], 0x7ff8000020000000
	s_xor_b32 exec_lo, exec_lo, s18
	s_cbranch_execnz .LBB6_194
.LBB6_174:
	s_or_b32 exec_lo, exec_lo, s18
	s_and_saveexec_b32 s18, s13
	s_cbranch_execz .LBB6_176
.LBB6_175:
	v_and_b32_e32 v2, 0xffff, v4
	s_delay_alu instid0(VALU_DEP_1) | instskip(SKIP_1) | instid1(VALU_DEP_2)
	v_and_b32_e32 v3, 3, v2
	v_bfe_u32 v7, v2, 2, 5
	v_clz_i32_u32_e32 v5, v3
	s_delay_alu instid0(VALU_DEP_2) | instskip(NEXT) | instid1(VALU_DEP_2)
	v_cmp_eq_u32_e32 vcc_lo, 0, v7
	v_min_u32_e32 v5, 32, v5
	s_delay_alu instid0(VALU_DEP_1) | instskip(NEXT) | instid1(VALU_DEP_1)
	v_subrev_nc_u32_e32 v6, 29, v5
	v_dual_lshlrev_b32 v2, v6, v2 :: v_dual_sub_nc_u32 v5, 30, v5
	s_delay_alu instid0(VALU_DEP_1) | instskip(NEXT) | instid1(VALU_DEP_2)
	v_dual_lshlrev_b32 v4, 24, v4 :: v_dual_bitop2_b32 v2, 3, v2 bitop3:0x40
	v_cndmask_b32_e32 v5, v7, v5, vcc_lo
	s_delay_alu instid0(VALU_DEP_2) | instskip(NEXT) | instid1(VALU_DEP_3)
	v_cndmask_b32_e32 v2, v3, v2, vcc_lo
	v_and_b32_e32 v3, 0x80000000, v4
	s_delay_alu instid0(VALU_DEP_3) | instskip(NEXT) | instid1(VALU_DEP_3)
	v_lshl_add_u32 v4, v5, 23, 0x37800000
	v_lshlrev_b32_e32 v2, 21, v2
	s_delay_alu instid0(VALU_DEP_1) | instskip(NEXT) | instid1(VALU_DEP_1)
	v_or3_b32 v2, v3, v4, v2
	v_cvt_f64_f32_e32 v[2:3], v2
.LBB6_176:
	s_or_b32 exec_lo, exec_lo, s18
	s_mov_b32 s13, 0
	s_branch .LBB6_182
.LBB6_177:
	s_mov_b32 s18, -1
                                        ; implicit-def: $vgpr2_vgpr3
	s_branch .LBB6_188
.LBB6_178:
	s_or_saveexec_b32 s18, s18
	v_mov_b64_e32 v[2:3], 0x7ff8000020000000
	s_xor_b32 exec_lo, exec_lo, s18
	s_cbranch_execz .LBB6_162
.LBB6_179:
	v_cmp_ne_u16_e32 vcc_lo, 0, v4
	v_mov_b64_e32 v[2:3], 0
	s_and_not1_b32 s13, s13, exec_lo
	s_and_b32 s19, vcc_lo, exec_lo
	s_delay_alu instid0(SALU_CYCLE_1)
	s_or_b32 s13, s13, s19
	s_or_b32 exec_lo, exec_lo, s18
	s_and_saveexec_b32 s18, s13
	s_cbranch_execnz .LBB6_163
	s_branch .LBB6_164
.LBB6_180:
	s_mov_b32 s13, -1
                                        ; implicit-def: $vgpr2_vgpr3
	s_branch .LBB6_185
.LBB6_181:
	s_mov_b32 s13, -1
                                        ; implicit-def: $vgpr2_vgpr3
.LBB6_182:
	s_delay_alu instid0(SALU_CYCLE_1)
	s_and_b32 vcc_lo, exec_lo, s13
	s_cbranch_vccz .LBB6_184
; %bb.183:
	global_load_u8 v2, v[0:1], off
	s_wait_loadcnt 0x0
	v_lshlrev_b32_e32 v2, 24, v2
	s_delay_alu instid0(VALU_DEP_1) | instskip(NEXT) | instid1(VALU_DEP_1)
	v_and_b32_e32 v3, 0x7f000000, v2
	v_clz_i32_u32_e32 v4, v3
	v_cmp_ne_u32_e32 vcc_lo, 0, v3
	v_add_nc_u32_e32 v6, 0x1000000, v3
	s_delay_alu instid0(VALU_DEP_3) | instskip(NEXT) | instid1(VALU_DEP_1)
	v_min_u32_e32 v4, 32, v4
	v_sub_nc_u32_e64 v4, v4, 4 clamp
	s_delay_alu instid0(VALU_DEP_1) | instskip(NEXT) | instid1(VALU_DEP_1)
	v_dual_lshlrev_b32 v5, v4, v3 :: v_dual_lshlrev_b32 v4, 23, v4
	v_lshrrev_b32_e32 v5, 4, v5
	s_delay_alu instid0(VALU_DEP_1) | instskip(NEXT) | instid1(VALU_DEP_1)
	v_dual_sub_nc_u32 v4, v5, v4 :: v_dual_ashrrev_i32 v5, 8, v6
	v_add_nc_u32_e32 v4, 0x3c000000, v4
	s_delay_alu instid0(VALU_DEP_1) | instskip(NEXT) | instid1(VALU_DEP_1)
	v_and_or_b32 v4, 0x7f800000, v5, v4
	v_cndmask_b32_e32 v3, 0, v4, vcc_lo
	s_delay_alu instid0(VALU_DEP_1) | instskip(NEXT) | instid1(VALU_DEP_1)
	v_and_or_b32 v2, 0x80000000, v2, v3
	v_cvt_f64_f32_e32 v[2:3], v2
.LBB6_184:
	s_mov_b32 s13, 0
.LBB6_185:
	s_delay_alu instid0(SALU_CYCLE_1)
	s_and_not1_b32 vcc_lo, exec_lo, s13
	s_cbranch_vccnz .LBB6_187
; %bb.186:
	global_load_u8 v2, v[0:1], off
	s_wait_loadcnt 0x0
	v_lshlrev_b32_e32 v3, 25, v2
	v_lshlrev_b16 v2, 8, v2
	s_delay_alu instid0(VALU_DEP_1) | instskip(SKIP_1) | instid1(VALU_DEP_2)
	v_and_or_b32 v5, 0x7f00, v2, 0.5
	v_bfe_i32 v2, v2, 0, 16
	v_dual_add_f32 v5, -0.5, v5 :: v_dual_lshrrev_b32 v4, 4, v3
	v_cmp_gt_u32_e32 vcc_lo, 0x8000000, v3
	s_delay_alu instid0(VALU_DEP_2) | instskip(NEXT) | instid1(VALU_DEP_1)
	v_or_b32_e32 v4, 0x70000000, v4
	v_mul_f32_e32 v4, 0x7800000, v4
	s_delay_alu instid0(VALU_DEP_1) | instskip(NEXT) | instid1(VALU_DEP_1)
	v_cndmask_b32_e32 v3, v4, v5, vcc_lo
	v_and_or_b32 v2, 0x80000000, v2, v3
	s_delay_alu instid0(VALU_DEP_1)
	v_cvt_f64_f32_e32 v[2:3], v2
.LBB6_187:
	s_mov_b32 s18, 0
	s_mov_b32 s13, -1
.LBB6_188:
	s_and_not1_b32 vcc_lo, exec_lo, s18
	s_cbranch_vccnz .LBB6_201
; %bb.189:
	s_cmp_gt_i32 s0, 14
	s_cbranch_scc0 .LBB6_192
; %bb.190:
	s_cmp_eq_u32 s0, 15
	s_cbranch_scc0 .LBB6_195
; %bb.191:
	global_load_u16 v2, v[0:1], off
	s_mov_b32 s13, -1
	s_mov_b32 s15, 0
	s_wait_loadcnt 0x0
	v_lshlrev_b32_e32 v2, 16, v2
	s_delay_alu instid0(VALU_DEP_1)
	v_cvt_f64_f32_e32 v[2:3], v2
	s_branch .LBB6_196
.LBB6_192:
	s_mov_b32 s18, -1
                                        ; implicit-def: $vgpr2_vgpr3
	s_branch .LBB6_197
.LBB6_193:
	s_or_saveexec_b32 s18, s18
	v_mov_b64_e32 v[2:3], 0x7ff8000020000000
	s_xor_b32 exec_lo, exec_lo, s18
	s_cbranch_execz .LBB6_174
.LBB6_194:
	v_cmp_ne_u16_e32 vcc_lo, 0, v4
	v_mov_b64_e32 v[2:3], 0
	s_and_not1_b32 s13, s13, exec_lo
	s_and_b32 s19, vcc_lo, exec_lo
	s_delay_alu instid0(SALU_CYCLE_1)
	s_or_b32 s13, s13, s19
	s_or_b32 exec_lo, exec_lo, s18
	s_and_saveexec_b32 s18, s13
	s_cbranch_execnz .LBB6_175
	s_branch .LBB6_176
.LBB6_195:
	s_mov_b32 s15, -1
                                        ; implicit-def: $vgpr2_vgpr3
.LBB6_196:
	s_mov_b32 s18, 0
.LBB6_197:
	s_delay_alu instid0(SALU_CYCLE_1)
	s_and_b32 vcc_lo, exec_lo, s18
	s_cbranch_vccz .LBB6_201
; %bb.198:
	s_cmp_eq_u32 s0, 11
	s_cbranch_scc0 .LBB6_200
; %bb.199:
	global_load_u8 v2, v[0:1], off
	s_mov_b32 s15, 0
	s_mov_b32 s13, -1
	s_wait_loadcnt 0x0
	v_cmp_ne_u16_e32 vcc_lo, 0, v2
	v_mov_b32_e32 v2, 0
	v_cndmask_b32_e64 v3, 0, 0x3ff00000, vcc_lo
	s_branch .LBB6_201
.LBB6_200:
	s_mov_b32 s15, -1
                                        ; implicit-def: $vgpr2_vgpr3
.LBB6_201:
	s_branch .LBB6_10
.LBB6_202:
	s_cmp_lt_i32 s0, 5
	s_cbranch_scc1 .LBB6_207
; %bb.203:
	s_cmp_lt_i32 s0, 8
	s_cbranch_scc1 .LBB6_208
; %bb.204:
	;; [unrolled: 3-line block ×3, first 2 shown]
	s_cmp_gt_i32 s0, 9
	s_cbranch_scc0 .LBB6_210
; %bb.206:
	global_load_b64 v[2:3], v[0:1], off
	s_mov_b32 s13, 0
	s_branch .LBB6_211
.LBB6_207:
                                        ; implicit-def: $vgpr2_vgpr3
	s_branch .LBB6_229
.LBB6_208:
	s_mov_b32 s13, -1
                                        ; implicit-def: $vgpr2_vgpr3
	s_branch .LBB6_217
.LBB6_209:
	s_mov_b32 s13, -1
                                        ; implicit-def: $vgpr2_vgpr3
	s_branch .LBB6_214
.LBB6_210:
	s_mov_b32 s13, -1
                                        ; implicit-def: $vgpr2_vgpr3
.LBB6_211:
	s_delay_alu instid0(SALU_CYCLE_1)
	s_and_not1_b32 vcc_lo, exec_lo, s13
	s_cbranch_vccnz .LBB6_213
; %bb.212:
	s_wait_loadcnt 0x0
	global_load_b32 v2, v[0:1], off
	s_wait_loadcnt 0x0
	v_cvt_f64_f32_e32 v[2:3], v2
.LBB6_213:
	s_mov_b32 s13, 0
.LBB6_214:
	s_delay_alu instid0(SALU_CYCLE_1)
	s_and_not1_b32 vcc_lo, exec_lo, s13
	s_cbranch_vccnz .LBB6_216
; %bb.215:
	s_wait_loadcnt 0x0
	global_load_b32 v2, v[0:1], off
	s_wait_loadcnt 0x0
	v_cvt_f32_f16_e32 v2, v2
	s_delay_alu instid0(VALU_DEP_1)
	v_cvt_f64_f32_e32 v[2:3], v2
.LBB6_216:
	s_mov_b32 s13, 0
.LBB6_217:
	s_delay_alu instid0(SALU_CYCLE_1)
	s_and_not1_b32 vcc_lo, exec_lo, s13
	s_cbranch_vccnz .LBB6_228
; %bb.218:
	s_cmp_lt_i32 s0, 6
	s_cbranch_scc1 .LBB6_221
; %bb.219:
	s_cmp_gt_i32 s0, 6
	s_cbranch_scc0 .LBB6_222
; %bb.220:
	s_wait_loadcnt 0x0
	global_load_b64 v[2:3], v[0:1], off
	s_mov_b32 s13, 0
	s_branch .LBB6_223
.LBB6_221:
	s_mov_b32 s13, -1
                                        ; implicit-def: $vgpr2_vgpr3
	s_branch .LBB6_226
.LBB6_222:
	s_mov_b32 s13, -1
                                        ; implicit-def: $vgpr2_vgpr3
.LBB6_223:
	s_delay_alu instid0(SALU_CYCLE_1)
	s_and_not1_b32 vcc_lo, exec_lo, s13
	s_cbranch_vccnz .LBB6_225
; %bb.224:
	s_wait_loadcnt 0x0
	global_load_b32 v2, v[0:1], off
	s_wait_loadcnt 0x0
	v_cvt_f64_f32_e32 v[2:3], v2
.LBB6_225:
	s_mov_b32 s13, 0
.LBB6_226:
	s_delay_alu instid0(SALU_CYCLE_1)
	s_and_not1_b32 vcc_lo, exec_lo, s13
	s_cbranch_vccnz .LBB6_228
; %bb.227:
	s_wait_loadcnt 0x0
	global_load_u16 v2, v[0:1], off
	s_wait_loadcnt 0x0
	v_cvt_f32_f16_e32 v2, v2
	s_delay_alu instid0(VALU_DEP_1)
	v_cvt_f64_f32_e32 v[2:3], v2
.LBB6_228:
	s_cbranch_execnz .LBB6_248
.LBB6_229:
	s_cmp_lt_i32 s0, 2
	s_cbranch_scc1 .LBB6_233
; %bb.230:
	s_cmp_lt_i32 s0, 3
	s_cbranch_scc1 .LBB6_234
; %bb.231:
	s_cmp_gt_i32 s0, 3
	s_cbranch_scc0 .LBB6_235
; %bb.232:
	s_wait_loadcnt 0x0
	global_load_b64 v[2:3], v[0:1], off
	s_mov_b32 s13, 0
	s_wait_loadcnt 0x0
	v_cvt_f64_i32_e32 v[4:5], v3
	v_cvt_f64_u32_e32 v[2:3], v2
	s_delay_alu instid0(VALU_DEP_2) | instskip(NEXT) | instid1(VALU_DEP_1)
	v_ldexp_f64 v[4:5], v[4:5], 32
	v_add_f64_e32 v[2:3], v[4:5], v[2:3]
	s_branch .LBB6_236
.LBB6_233:
	s_mov_b32 s13, -1
                                        ; implicit-def: $vgpr2_vgpr3
	s_branch .LBB6_242
.LBB6_234:
	s_mov_b32 s13, -1
                                        ; implicit-def: $vgpr2_vgpr3
	s_branch .LBB6_239
.LBB6_235:
	s_mov_b32 s13, -1
                                        ; implicit-def: $vgpr2_vgpr3
.LBB6_236:
	s_delay_alu instid0(SALU_CYCLE_1)
	s_and_not1_b32 vcc_lo, exec_lo, s13
	s_cbranch_vccnz .LBB6_238
; %bb.237:
	s_wait_loadcnt 0x0
	global_load_b32 v2, v[0:1], off
	s_wait_loadcnt 0x0
	v_cvt_f64_i32_e32 v[2:3], v2
.LBB6_238:
	s_mov_b32 s13, 0
.LBB6_239:
	s_delay_alu instid0(SALU_CYCLE_1)
	s_and_not1_b32 vcc_lo, exec_lo, s13
	s_cbranch_vccnz .LBB6_241
; %bb.240:
	s_wait_loadcnt 0x0
	global_load_i16 v2, v[0:1], off
	s_wait_loadcnt 0x0
	v_cvt_f64_i32_e32 v[2:3], v2
.LBB6_241:
	s_mov_b32 s13, 0
.LBB6_242:
	s_delay_alu instid0(SALU_CYCLE_1)
	s_and_not1_b32 vcc_lo, exec_lo, s13
	s_cbranch_vccnz .LBB6_248
; %bb.243:
	s_cmp_gt_i32 s0, 0
	s_mov_b32 s0, 0
	s_cbranch_scc0 .LBB6_245
; %bb.244:
	s_wait_loadcnt 0x0
	global_load_i8 v2, v[0:1], off
	s_wait_loadcnt 0x0
	v_cvt_f64_i32_e32 v[2:3], v2
	s_branch .LBB6_246
.LBB6_245:
	s_mov_b32 s0, -1
                                        ; implicit-def: $vgpr2_vgpr3
.LBB6_246:
	s_delay_alu instid0(SALU_CYCLE_1)
	s_and_not1_b32 vcc_lo, exec_lo, s0
	s_cbranch_vccnz .LBB6_248
; %bb.247:
	global_load_u8 v0, v[0:1], off
	s_wait_loadcnt 0x0
	v_cvt_f64_u32_e32 v[2:3], v0
.LBB6_248:
	s_branch .LBB6_11
.LBB6_249:
	s_mov_b32 s0, 0
.LBB6_250:
	s_mov_b32 s18, 0
                                        ; implicit-def: $vgpr10
.LBB6_251:
	s_and_b32 s13, s0, exec_lo
	s_and_b32 s15, s15, exec_lo
	s_or_not1_b32 s19, s18, exec_lo
.LBB6_252:
	s_wait_xcnt 0x0
	s_or_b32 exec_lo, exec_lo, s16
	s_mov_b32 s18, 0
	s_mov_b32 s0, 0
                                        ; implicit-def: $vgpr0_vgpr1
                                        ; implicit-def: $vgpr2_vgpr3
	s_and_saveexec_b32 s16, s19
	s_cbranch_execz .LBB6_261
; %bb.253:
	s_mov_b32 s0, -1
	s_mov_b32 s17, s15
	s_mov_b32 s18, s13
	s_mov_b32 s19, exec_lo
	v_cmpx_gt_i32_e64 s14, v10
	s_cbranch_execz .LBB6_514
; %bb.254:
	v_mul_lo_u32 v0, v10, s9
	s_and_b32 s0, 0xffff, s3
	s_delay_alu instid0(SALU_CYCLE_1) | instskip(NEXT) | instid1(VALU_DEP_1)
	s_cmp_lt_i32 s0, 11
	v_ashrrev_i32_e32 v1, 31, v0
	s_delay_alu instid0(VALU_DEP_1)
	v_add_nc_u64_e32 v[0:1], s[6:7], v[0:1]
	s_cbranch_scc1 .LBB6_264
; %bb.255:
	s_cmp_gt_i32 s0, 25
	s_cbranch_scc0 .LBB6_313
; %bb.256:
	s_cmp_gt_i32 s0, 28
	s_cbranch_scc0 .LBB6_314
; %bb.257:
	s_cmp_gt_i32 s0, 43
	s_cbranch_scc0 .LBB6_316
; %bb.258:
	s_cmp_gt_i32 s0, 45
	s_cbranch_scc0 .LBB6_320
; %bb.259:
	s_cmp_eq_u32 s0, 46
	s_mov_b32 s20, 0
	s_cbranch_scc0 .LBB6_324
; %bb.260:
	s_wait_loadcnt 0x0
	global_load_b32 v2, v[0:1], off
	s_mov_b32 s18, -1
	s_mov_b32 s17, 0
	s_wait_loadcnt 0x0
	v_lshlrev_b32_e32 v2, 16, v2
	s_delay_alu instid0(VALU_DEP_1)
	v_cvt_f64_f32_e32 v[2:3], v2
	s_branch .LBB6_326
.LBB6_261:
	s_or_b32 exec_lo, exec_lo, s16
	s_mov_b32 s14, 0
	s_and_saveexec_b32 s16, s15
	s_cbranch_execnz .LBB6_861
.LBB6_262:
	s_or_b32 exec_lo, exec_lo, s16
	s_and_saveexec_b32 s15, s17
	s_delay_alu instid0(SALU_CYCLE_1)
	s_xor_b32 s15, exec_lo, s15
	s_cbranch_execz .LBB6_862
.LBB6_263:
	s_wait_loadcnt 0x0
	global_load_u8 v2, v[0:1], off
	s_or_b32 s0, s0, exec_lo
	s_wait_loadcnt 0x0
	v_cmp_ne_u16_e32 vcc_lo, 0, v2
	v_mov_b32_e32 v2, 0
	v_cndmask_b32_e64 v3, 0, 0x3ff00000, vcc_lo
	s_wait_xcnt 0x0
	s_or_b32 exec_lo, exec_lo, s15
	s_and_saveexec_b32 s15, s18
	s_cbranch_execz .LBB6_908
	s_branch .LBB6_863
.LBB6_264:
	s_mov_b32 s18, 0
	s_mov_b32 s17, s15
                                        ; implicit-def: $vgpr2_vgpr3
	s_cbranch_execnz .LBB6_463
.LBB6_265:
	s_and_not1_b32 vcc_lo, exec_lo, s18
	s_cbranch_vccnz .LBB6_511
.LBB6_266:
	s_wait_loadcnt 0x0
	s_delay_alu instid0(VALU_DEP_1)
	v_cmp_nge_f64_e64 s0, v[2:3], -s[10:11]
	v_cmp_nge_f64_e32 vcc_lo, s[10:11], v[2:3]
	s_wait_xcnt 0x0
	v_mul_lo_u32 v0, v10, s8
	s_and_b32 s18, s2, 0xff
	s_mov_b32 s21, 0
	s_mov_b32 s20, -1
	s_or_b32 vcc_lo, s0, vcc_lo
	s_delay_alu instid0(VALU_DEP_1) | instskip(SKIP_2) | instid1(VALU_DEP_1)
	v_ashrrev_i32_e32 v1, 31, v0
	s_cmp_lt_i32 s18, 11
	s_mov_b32 s0, s13
	v_add_nc_u64_e32 v[4:5], s[4:5], v[0:1]
	v_dual_cndmask_b32 v1, 0, v3 :: v_dual_cndmask_b32 v0, 0, v2
	s_cbranch_scc1 .LBB6_273
; %bb.267:
	s_and_b32 s20, 0xffff, s18
	s_delay_alu instid0(SALU_CYCLE_1)
	s_cmp_gt_i32 s20, 25
	s_cbranch_scc0 .LBB6_315
; %bb.268:
	s_cmp_gt_i32 s20, 28
	s_cbranch_scc0 .LBB6_317
; %bb.269:
	s_cmp_gt_i32 s20, 43
	s_cbranch_scc0 .LBB6_321
; %bb.270:
	s_cmp_gt_i32 s20, 45
	s_cbranch_scc0 .LBB6_329
; %bb.271:
	s_mov_b32 s22, 0
	s_mov_b32 s0, -1
	s_cmp_eq_u32 s20, 46
	s_cbranch_scc0 .LBB6_330
; %bb.272:
	v_cvt_f32_f64_e32 v2, v[0:1]
	s_mov_b32 s21, -1
	s_mov_b32 s0, 0
	s_delay_alu instid0(VALU_DEP_1) | instskip(SKIP_1) | instid1(VALU_DEP_2)
	v_bfe_u32 v3, v2, 16, 1
	v_cmp_o_f32_e32 vcc_lo, v2, v2
	v_add3_u32 v3, v2, v3, 0x7fff
	s_delay_alu instid0(VALU_DEP_1) | instskip(NEXT) | instid1(VALU_DEP_1)
	v_lshrrev_b32_e32 v3, 16, v3
	v_cndmask_b32_e32 v2, 0x7fc0, v3, vcc_lo
	global_store_b32 v[4:5], v2, off
	s_branch .LBB6_330
.LBB6_273:
	s_and_b32 vcc_lo, exec_lo, s20
	s_cbranch_vccz .LBB6_399
; %bb.274:
	s_and_b32 s18, 0xffff, s18
	s_mov_b32 s20, -1
	s_cmp_lt_i32 s18, 5
	s_cbranch_scc1 .LBB6_295
; %bb.275:
	s_cmp_lt_i32 s18, 8
	s_cbranch_scc1 .LBB6_285
; %bb.276:
	;; [unrolled: 3-line block ×3, first 2 shown]
	s_cmp_gt_i32 s18, 9
	s_cbranch_scc0 .LBB6_279
; %bb.278:
	s_wait_xcnt 0x0
	v_mov_b32_e32 v2, 0
	s_mov_b32 s20, 0
	s_delay_alu instid0(VALU_DEP_1)
	v_mov_b32_e32 v3, v2
	global_store_b128 v[4:5], v[0:3], off
.LBB6_279:
	s_and_not1_b32 vcc_lo, exec_lo, s20
	s_cbranch_vccnz .LBB6_281
; %bb.280:
	s_wait_xcnt 0x0
	v_cvt_f32_f64_e32 v2, v[0:1]
	v_mov_b32_e32 v3, 0
	global_store_b64 v[4:5], v[2:3], off
.LBB6_281:
	s_mov_b32 s20, 0
.LBB6_282:
	s_delay_alu instid0(SALU_CYCLE_1)
	s_and_not1_b32 vcc_lo, exec_lo, s20
	s_cbranch_vccnz .LBB6_284
; %bb.283:
	s_wait_xcnt 0x0
	v_and_or_b32 v2, 0x1ff, v1, v0
	v_lshrrev_b32_e32 v3, 8, v1
	v_bfe_u32 v6, v1, 20, 11
	s_delay_alu instid0(VALU_DEP_3) | instskip(NEXT) | instid1(VALU_DEP_2)
	v_cmp_ne_u32_e32 vcc_lo, 0, v2
	v_sub_nc_u32_e32 v7, 0x3f1, v6
	v_cndmask_b32_e64 v2, 0, 1, vcc_lo
	s_delay_alu instid0(VALU_DEP_1) | instskip(NEXT) | instid1(VALU_DEP_3)
	v_and_or_b32 v2, 0xffe, v3, v2
	v_med3_i32 v3, v7, 0, 13
	s_delay_alu instid0(VALU_DEP_2) | instskip(NEXT) | instid1(VALU_DEP_1)
	v_or_b32_e32 v7, 0x1000, v2
	v_lshrrev_b32_e32 v8, v3, v7
	s_delay_alu instid0(VALU_DEP_1) | instskip(NEXT) | instid1(VALU_DEP_1)
	v_lshlrev_b32_e32 v3, v3, v8
	v_cmp_ne_u32_e32 vcc_lo, v3, v7
	v_cndmask_b32_e64 v3, 0, 1, vcc_lo
	s_delay_alu instid0(VALU_DEP_1) | instskip(SKIP_1) | instid1(VALU_DEP_1)
	v_or_b32_e32 v3, v8, v3
	v_add_nc_u32_e32 v6, 0xfffffc10, v6
	v_lshl_or_b32 v7, v6, 12, v2
	v_cmp_gt_i32_e32 vcc_lo, 1, v6
	s_delay_alu instid0(VALU_DEP_2) | instskip(NEXT) | instid1(VALU_DEP_1)
	v_cndmask_b32_e32 v3, v7, v3, vcc_lo
	v_dual_lshrrev_b32 v3, 2, v3 :: v_dual_bitop2_b32 v7, 7, v3 bitop3:0x40
	s_delay_alu instid0(VALU_DEP_1) | instskip(SKIP_4) | instid1(VALU_DEP_2)
	v_cmp_lt_i32_e32 vcc_lo, 5, v7
	v_cndmask_b32_e64 v8, 0, 1, vcc_lo
	v_cmp_eq_u32_e32 vcc_lo, 3, v7
	v_cndmask_b32_e64 v7, 0, 1, vcc_lo
	v_cmp_ne_u32_e32 vcc_lo, 0, v2
	v_or_b32_e32 v7, v7, v8
	s_delay_alu instid0(VALU_DEP_1) | instskip(NEXT) | instid1(VALU_DEP_1)
	v_dual_mov_b32 v8, 0x7e00 :: v_dual_add_nc_u32 v3, v3, v7
	v_cndmask_b32_e32 v2, 0x7c00, v8, vcc_lo
	v_cmp_gt_i32_e32 vcc_lo, 31, v6
	v_lshrrev_b32_e32 v7, 16, v1
	s_delay_alu instid0(VALU_DEP_4) | instskip(SKIP_1) | instid1(VALU_DEP_2)
	v_cndmask_b32_e32 v3, 0x7c00, v3, vcc_lo
	v_cmp_eq_u32_e32 vcc_lo, 0x40f, v6
	v_cndmask_b32_e32 v2, v3, v2, vcc_lo
	s_delay_alu instid0(VALU_DEP_4) | instskip(NEXT) | instid1(VALU_DEP_1)
	v_and_b32_e32 v3, 0x8000, v7
	v_bitop3_b32 v2, v3, 0xffff, v2 bitop3:0xc8
	global_store_b32 v[4:5], v2, off
.LBB6_284:
	s_mov_b32 s20, 0
.LBB6_285:
	s_delay_alu instid0(SALU_CYCLE_1)
	s_and_not1_b32 vcc_lo, exec_lo, s20
	s_cbranch_vccnz .LBB6_294
; %bb.286:
	s_cmp_lt_i32 s18, 6
	s_mov_b32 s20, -1
	s_cbranch_scc1 .LBB6_292
; %bb.287:
	s_cmp_gt_i32 s18, 6
	s_cbranch_scc0 .LBB6_289
; %bb.288:
	s_mov_b32 s20, 0
	global_store_b64 v[4:5], v[0:1], off
.LBB6_289:
	s_and_not1_b32 vcc_lo, exec_lo, s20
	s_cbranch_vccnz .LBB6_291
; %bb.290:
	s_wait_xcnt 0x0
	v_cvt_f32_f64_e32 v2, v[0:1]
	global_store_b32 v[4:5], v2, off
.LBB6_291:
	s_mov_b32 s20, 0
.LBB6_292:
	s_delay_alu instid0(SALU_CYCLE_1)
	s_and_not1_b32 vcc_lo, exec_lo, s20
	s_cbranch_vccnz .LBB6_294
; %bb.293:
	s_wait_xcnt 0x0
	v_and_or_b32 v2, 0x1ff, v1, v0
	v_lshrrev_b32_e32 v3, 8, v1
	v_bfe_u32 v6, v1, 20, 11
	s_delay_alu instid0(VALU_DEP_3) | instskip(NEXT) | instid1(VALU_DEP_2)
	v_cmp_ne_u32_e32 vcc_lo, 0, v2
	v_sub_nc_u32_e32 v7, 0x3f1, v6
	v_cndmask_b32_e64 v2, 0, 1, vcc_lo
	s_delay_alu instid0(VALU_DEP_1) | instskip(NEXT) | instid1(VALU_DEP_3)
	v_and_or_b32 v2, 0xffe, v3, v2
	v_med3_i32 v3, v7, 0, 13
	s_delay_alu instid0(VALU_DEP_2) | instskip(NEXT) | instid1(VALU_DEP_1)
	v_or_b32_e32 v7, 0x1000, v2
	v_lshrrev_b32_e32 v8, v3, v7
	s_delay_alu instid0(VALU_DEP_1) | instskip(NEXT) | instid1(VALU_DEP_1)
	v_lshlrev_b32_e32 v3, v3, v8
	v_cmp_ne_u32_e32 vcc_lo, v3, v7
	v_cndmask_b32_e64 v3, 0, 1, vcc_lo
	s_delay_alu instid0(VALU_DEP_1) | instskip(SKIP_1) | instid1(VALU_DEP_1)
	v_or_b32_e32 v3, v8, v3
	v_add_nc_u32_e32 v6, 0xfffffc10, v6
	v_lshl_or_b32 v7, v6, 12, v2
	v_cmp_gt_i32_e32 vcc_lo, 1, v6
	s_delay_alu instid0(VALU_DEP_2) | instskip(NEXT) | instid1(VALU_DEP_1)
	v_cndmask_b32_e32 v3, v7, v3, vcc_lo
	v_dual_lshrrev_b32 v3, 2, v3 :: v_dual_bitop2_b32 v7, 7, v3 bitop3:0x40
	s_delay_alu instid0(VALU_DEP_1) | instskip(SKIP_4) | instid1(VALU_DEP_2)
	v_cmp_lt_i32_e32 vcc_lo, 5, v7
	v_cndmask_b32_e64 v8, 0, 1, vcc_lo
	v_cmp_eq_u32_e32 vcc_lo, 3, v7
	v_cndmask_b32_e64 v7, 0, 1, vcc_lo
	v_cmp_ne_u32_e32 vcc_lo, 0, v2
	v_or_b32_e32 v7, v7, v8
	s_delay_alu instid0(VALU_DEP_1) | instskip(NEXT) | instid1(VALU_DEP_1)
	v_dual_mov_b32 v8, 0x7e00 :: v_dual_add_nc_u32 v3, v3, v7
	v_cndmask_b32_e32 v2, 0x7c00, v8, vcc_lo
	v_cmp_gt_i32_e32 vcc_lo, 31, v6
	s_delay_alu instid0(VALU_DEP_3) | instskip(SKIP_1) | instid1(VALU_DEP_2)
	v_cndmask_b32_e32 v3, 0x7c00, v3, vcc_lo
	v_cmp_eq_u32_e32 vcc_lo, 0x40f, v6
	v_dual_cndmask_b32 v2, v3, v2 :: v_dual_lshrrev_b32 v3, 16, v1
	s_delay_alu instid0(VALU_DEP_1)
	v_and_or_b32 v2, 0x8000, v3, v2
	global_store_b16 v[4:5], v2, off
.LBB6_294:
	s_mov_b32 s20, 0
.LBB6_295:
	s_delay_alu instid0(SALU_CYCLE_1)
	s_and_not1_b32 vcc_lo, exec_lo, s20
	s_cbranch_vccnz .LBB6_311
; %bb.296:
	s_cmp_lt_i32 s18, 2
	s_mov_b32 s20, -1
	s_cbranch_scc1 .LBB6_306
; %bb.297:
	s_cmp_lt_i32 s18, 3
	s_cbranch_scc1 .LBB6_303
; %bb.298:
	s_cmp_gt_i32 s18, 3
	s_cbranch_scc0 .LBB6_300
; %bb.299:
	s_wait_xcnt 0x0
	v_trunc_f64_e32 v[2:3], v[0:1]
	s_mov_b32 s20, 0
	s_delay_alu instid0(VALU_DEP_1) | instskip(NEXT) | instid1(VALU_DEP_1)
	v_ldexp_f64 v[6:7], v[2:3], 0xffffffe0
	v_floor_f64_e32 v[6:7], v[6:7]
	s_delay_alu instid0(VALU_DEP_1) | instskip(SKIP_1) | instid1(VALU_DEP_2)
	v_fmamk_f64 v[2:3], v[6:7], 0xc1f00000, v[2:3]
	v_cvt_i32_f64_e32 v7, v[6:7]
	v_cvt_u32_f64_e32 v6, v[2:3]
	global_store_b64 v[4:5], v[6:7], off
.LBB6_300:
	s_and_not1_b32 vcc_lo, exec_lo, s20
	s_cbranch_vccnz .LBB6_302
; %bb.301:
	s_wait_xcnt 0x0
	v_cvt_i32_f64_e32 v2, v[0:1]
	global_store_b32 v[4:5], v2, off
.LBB6_302:
	s_mov_b32 s20, 0
.LBB6_303:
	s_delay_alu instid0(SALU_CYCLE_1)
	s_and_not1_b32 vcc_lo, exec_lo, s20
	s_cbranch_vccnz .LBB6_305
; %bb.304:
	s_wait_xcnt 0x0
	v_cvt_i32_f64_e32 v2, v[0:1]
	global_store_b16 v[4:5], v2, off
.LBB6_305:
	s_mov_b32 s20, 0
.LBB6_306:
	s_delay_alu instid0(SALU_CYCLE_1)
	s_and_not1_b32 vcc_lo, exec_lo, s20
	s_cbranch_vccnz .LBB6_311
; %bb.307:
	s_cmp_gt_i32 s18, 0
	s_mov_b32 s18, -1
	s_cbranch_scc0 .LBB6_309
; %bb.308:
	s_wait_xcnt 0x0
	v_cvt_i32_f64_e32 v2, v[0:1]
	s_mov_b32 s18, 0
	global_store_b8 v[4:5], v2, off
.LBB6_309:
	s_and_not1_b32 vcc_lo, exec_lo, s18
	s_cbranch_vccnz .LBB6_311
; %bb.310:
	s_wait_xcnt 0x0
	v_trunc_f64_e32 v[0:1], v[0:1]
	s_delay_alu instid0(VALU_DEP_1) | instskip(NEXT) | instid1(VALU_DEP_1)
	v_ldexp_f64 v[2:3], v[0:1], 0xffffffe0
	v_floor_f64_e32 v[2:3], v[2:3]
	s_delay_alu instid0(VALU_DEP_1) | instskip(NEXT) | instid1(VALU_DEP_1)
	v_fmamk_f64 v[0:1], v[2:3], 0xc1f00000, v[0:1]
	v_cvt_u32_f64_e32 v0, v[0:1]
	global_store_b8 v[4:5], v0, off
.LBB6_311:
	s_branch .LBB6_400
.LBB6_312:
	s_mov_b32 s20, 0
	s_branch .LBB6_512
.LBB6_313:
	s_mov_b32 s20, -1
	s_mov_b32 s18, 0
	s_mov_b32 s17, s15
                                        ; implicit-def: $vgpr2_vgpr3
	s_branch .LBB6_427
.LBB6_314:
	s_mov_b32 s20, -1
	s_mov_b32 s18, 0
	s_mov_b32 s17, s15
                                        ; implicit-def: $vgpr2_vgpr3
	s_branch .LBB6_408
.LBB6_315:
	s_mov_b32 s22, -1
	s_mov_b32 s0, s13
	s_branch .LBB6_357
.LBB6_316:
	s_mov_b32 s20, -1
	s_mov_b32 s18, 0
	s_mov_b32 s17, s15
                                        ; implicit-def: $vgpr2_vgpr3
	s_branch .LBB6_403
.LBB6_317:
	s_mov_b32 s22, -1
	s_mov_b32 s0, s13
	s_branch .LBB6_340
.LBB6_318:
	s_and_not1_saveexec_b32 s21, s21
	s_cbranch_execz .LBB6_91
.LBB6_319:
	v_add_f32_e64 v3, 0x46000000, |v2|
	s_and_not1_b32 s20, s20, exec_lo
	s_delay_alu instid0(VALU_DEP_1) | instskip(NEXT) | instid1(VALU_DEP_1)
	v_and_b32_e32 v3, 0xff, v3
	v_cmp_ne_u32_e32 vcc_lo, 0, v3
	s_and_b32 s22, vcc_lo, exec_lo
	s_delay_alu instid0(SALU_CYCLE_1)
	s_or_b32 s20, s20, s22
	s_or_b32 exec_lo, exec_lo, s21
	v_mov_b32_e32 v6, 0
	s_and_saveexec_b32 s21, s20
	s_cbranch_execnz .LBB6_92
	s_branch .LBB6_93
.LBB6_320:
	s_mov_b32 s20, -1
	s_mov_b32 s18, 0
	s_mov_b32 s17, s15
	s_branch .LBB6_325
.LBB6_321:
	s_mov_b32 s22, -1
	s_mov_b32 s0, s13
	s_branch .LBB6_336
.LBB6_322:
	s_and_not1_saveexec_b32 s21, s21
	s_cbranch_execz .LBB6_104
.LBB6_323:
	v_add_f32_e64 v3, 0x42800000, |v2|
	s_and_not1_b32 s20, s20, exec_lo
	s_delay_alu instid0(VALU_DEP_1) | instskip(NEXT) | instid1(VALU_DEP_1)
	v_and_b32_e32 v3, 0xff, v3
	v_cmp_ne_u32_e32 vcc_lo, 0, v3
	s_and_b32 s22, vcc_lo, exec_lo
	s_delay_alu instid0(SALU_CYCLE_1)
	s_or_b32 s20, s20, s22
	s_or_b32 exec_lo, exec_lo, s21
	v_mov_b32_e32 v6, 0
	s_and_saveexec_b32 s21, s20
	s_cbranch_execnz .LBB6_105
	s_branch .LBB6_106
.LBB6_324:
	s_mov_b32 s17, -1
	s_mov_b32 s18, 0
.LBB6_325:
                                        ; implicit-def: $vgpr2_vgpr3
.LBB6_326:
	s_and_b32 vcc_lo, exec_lo, s20
	s_cbranch_vccz .LBB6_402
; %bb.327:
	s_cmp_eq_u32 s0, 44
	s_cbranch_scc0 .LBB6_401
; %bb.328:
	global_load_u8 v4, v[0:1], off
	s_mov_b32 s17, 0
	s_mov_b32 s18, -1
	s_wait_loadcnt 0x0
	v_cmp_ne_u32_e32 vcc_lo, 0xff, v4
	v_lshlrev_b32_e32 v2, 23, v4
	s_delay_alu instid0(VALU_DEP_1) | instskip(NEXT) | instid1(VALU_DEP_1)
	v_cvt_f64_f32_e32 v[2:3], v2
	v_cndmask_b32_e32 v2, 0x20000000, v2, vcc_lo
	s_delay_alu instid0(VALU_DEP_2) | instskip(SKIP_1) | instid1(VALU_DEP_2)
	v_cndmask_b32_e32 v3, 0x7ff80000, v3, vcc_lo
	v_cmp_ne_u32_e32 vcc_lo, 0, v4
	v_cndmask_b32_e32 v3, 0x38000000, v3, vcc_lo
	s_delay_alu instid0(VALU_DEP_4)
	v_cndmask_b32_e32 v2, 0, v2, vcc_lo
	s_branch .LBB6_402
.LBB6_329:
	s_mov_b32 s22, -1
	s_mov_b32 s0, s13
.LBB6_330:
	s_and_b32 vcc_lo, exec_lo, s22
	s_cbranch_vccz .LBB6_335
; %bb.331:
	s_cmp_eq_u32 s20, 44
	s_mov_b32 s0, -1
	s_cbranch_scc0 .LBB6_335
; %bb.332:
	s_wait_xcnt 0x0
	v_cvt_f32_f64_e32 v2, v[0:1]
	v_mov_b32_e32 v3, 0xff
	s_mov_b32 s21, exec_lo
	s_delay_alu instid0(VALU_DEP_2) | instskip(NEXT) | instid1(VALU_DEP_1)
	v_bfe_u32 v6, v2, 23, 8
	v_cmpx_ne_u32_e32 0xff, v6
	s_cbranch_execz .LBB6_334
; %bb.333:
	v_and_b32_e32 v3, 0x400000, v2
	v_and_or_b32 v6, 0x3fffff, v2, v6
	v_lshrrev_b32_e32 v2, 23, v2
	s_delay_alu instid0(VALU_DEP_3) | instskip(NEXT) | instid1(VALU_DEP_3)
	v_cmp_ne_u32_e32 vcc_lo, 0, v3
	v_cmp_ne_u32_e64 s0, 0, v6
	s_and_b32 s0, vcc_lo, s0
	s_delay_alu instid0(SALU_CYCLE_1) | instskip(NEXT) | instid1(VALU_DEP_1)
	v_cndmask_b32_e64 v3, 0, 1, s0
	v_add_nc_u32_e32 v3, v2, v3
.LBB6_334:
	s_or_b32 exec_lo, exec_lo, s21
	s_mov_b32 s21, -1
	s_mov_b32 s0, 0
	global_store_b8 v[4:5], v3, off
.LBB6_335:
	s_mov_b32 s22, 0
.LBB6_336:
	s_delay_alu instid0(SALU_CYCLE_1)
	s_and_b32 vcc_lo, exec_lo, s22
	s_cbranch_vccz .LBB6_339
; %bb.337:
	s_cmp_eq_u32 s20, 29
	s_mov_b32 s0, -1
	s_cbranch_scc0 .LBB6_339
; %bb.338:
	s_wait_xcnt 0x0
	v_trunc_f64_e32 v[2:3], v[0:1]
	s_mov_b32 s21, -1
	s_mov_b32 s0, 0
	s_mov_b32 s22, 0
	s_delay_alu instid0(VALU_DEP_1) | instskip(NEXT) | instid1(VALU_DEP_1)
	v_ldexp_f64 v[6:7], v[2:3], 0xffffffe0
	v_floor_f64_e32 v[6:7], v[6:7]
	s_delay_alu instid0(VALU_DEP_1) | instskip(SKIP_1) | instid1(VALU_DEP_2)
	v_fmamk_f64 v[2:3], v[6:7], 0xc1f00000, v[2:3]
	v_cvt_u32_f64_e32 v7, v[6:7]
	v_cvt_u32_f64_e32 v6, v[2:3]
	global_store_b64 v[4:5], v[6:7], off
	s_branch .LBB6_340
.LBB6_339:
	s_mov_b32 s22, 0
.LBB6_340:
	s_delay_alu instid0(SALU_CYCLE_1)
	s_and_b32 vcc_lo, exec_lo, s22
	s_cbranch_vccz .LBB6_356
; %bb.341:
	s_cmp_lt_i32 s20, 27
	s_mov_b32 s21, -1
	s_cbranch_scc1 .LBB6_347
; %bb.342:
	s_wait_xcnt 0x0
	v_cvt_u32_f64_e32 v2, v[0:1]
	s_cmp_gt_i32 s20, 27
	s_cbranch_scc0 .LBB6_344
; %bb.343:
	s_mov_b32 s21, 0
	global_store_b32 v[4:5], v2, off
.LBB6_344:
	s_and_not1_b32 vcc_lo, exec_lo, s21
	s_cbranch_vccnz .LBB6_346
; %bb.345:
	global_store_b16 v[4:5], v2, off
.LBB6_346:
	s_mov_b32 s21, 0
.LBB6_347:
	s_delay_alu instid0(SALU_CYCLE_1)
	s_and_not1_b32 vcc_lo, exec_lo, s21
	s_cbranch_vccnz .LBB6_355
; %bb.348:
	s_wait_xcnt 0x0
	v_cvt_f32_f64_e32 v2, v[0:1]
	v_mov_b32_e32 v6, 0x80
	s_mov_b32 s21, exec_lo
	s_delay_alu instid0(VALU_DEP_2) | instskip(NEXT) | instid1(VALU_DEP_1)
	v_and_b32_e32 v3, 0x7fffffff, v2
	v_cmpx_gt_u32_e32 0x43800000, v3
	s_cbranch_execz .LBB6_354
; %bb.349:
	v_cmp_lt_u32_e32 vcc_lo, 0x3bffffff, v3
	s_mov_b32 s22, 0
                                        ; implicit-def: $vgpr3
	s_and_saveexec_b32 s23, vcc_lo
	s_delay_alu instid0(SALU_CYCLE_1)
	s_xor_b32 s23, exec_lo, s23
	s_cbranch_execz .LBB6_527
; %bb.350:
	v_bfe_u32 v3, v2, 20, 1
	s_mov_b32 s22, exec_lo
	s_delay_alu instid0(VALU_DEP_1) | instskip(NEXT) | instid1(VALU_DEP_1)
	v_add3_u32 v3, v2, v3, 0x487ffff
	v_lshrrev_b32_e32 v3, 20, v3
	s_and_not1_saveexec_b32 s23, s23
	s_cbranch_execnz .LBB6_528
.LBB6_351:
	s_or_b32 exec_lo, exec_lo, s23
	v_mov_b32_e32 v6, 0
	s_and_saveexec_b32 s23, s22
.LBB6_352:
	v_lshrrev_b32_e32 v2, 24, v2
	s_delay_alu instid0(VALU_DEP_1)
	v_and_or_b32 v6, 0x80, v2, v3
.LBB6_353:
	s_or_b32 exec_lo, exec_lo, s23
.LBB6_354:
	s_delay_alu instid0(SALU_CYCLE_1)
	s_or_b32 exec_lo, exec_lo, s21
	global_store_b8 v[4:5], v6, off
.LBB6_355:
	s_mov_b32 s21, -1
.LBB6_356:
	s_mov_b32 s22, 0
.LBB6_357:
	s_delay_alu instid0(SALU_CYCLE_1)
	s_and_b32 vcc_lo, exec_lo, s22
	s_cbranch_vccz .LBB6_398
; %bb.358:
	s_cmp_gt_i32 s20, 22
	s_mov_b32 s22, -1
	s_cbranch_scc0 .LBB6_390
; %bb.359:
	s_cmp_lt_i32 s20, 24
	s_mov_b32 s21, -1
	s_cbranch_scc1 .LBB6_379
; %bb.360:
	s_cmp_gt_i32 s20, 24
	s_cbranch_scc0 .LBB6_368
; %bb.361:
	s_wait_xcnt 0x0
	v_cvt_f32_f64_e32 v2, v[0:1]
	v_mov_b32_e32 v6, 0x80
	s_mov_b32 s21, exec_lo
	s_delay_alu instid0(VALU_DEP_2) | instskip(NEXT) | instid1(VALU_DEP_1)
	v_and_b32_e32 v3, 0x7fffffff, v2
	v_cmpx_gt_u32_e32 0x47800000, v3
	s_cbranch_execz .LBB6_367
; %bb.362:
	v_cmp_lt_u32_e32 vcc_lo, 0x37ffffff, v3
	s_mov_b32 s22, 0
                                        ; implicit-def: $vgpr3
	s_and_saveexec_b32 s23, vcc_lo
	s_delay_alu instid0(SALU_CYCLE_1)
	s_xor_b32 s23, exec_lo, s23
	s_cbranch_execz .LBB6_530
; %bb.363:
	v_bfe_u32 v3, v2, 21, 1
	s_mov_b32 s22, exec_lo
	s_delay_alu instid0(VALU_DEP_1) | instskip(NEXT) | instid1(VALU_DEP_1)
	v_add3_u32 v3, v2, v3, 0x88fffff
	v_lshrrev_b32_e32 v3, 21, v3
	s_and_not1_saveexec_b32 s23, s23
	s_cbranch_execnz .LBB6_531
.LBB6_364:
	s_or_b32 exec_lo, exec_lo, s23
	v_mov_b32_e32 v6, 0
	s_and_saveexec_b32 s23, s22
.LBB6_365:
	v_lshrrev_b32_e32 v2, 24, v2
	s_delay_alu instid0(VALU_DEP_1)
	v_and_or_b32 v6, 0x80, v2, v3
.LBB6_366:
	s_or_b32 exec_lo, exec_lo, s23
.LBB6_367:
	s_delay_alu instid0(SALU_CYCLE_1)
	s_or_b32 exec_lo, exec_lo, s21
	s_mov_b32 s21, 0
	global_store_b8 v[4:5], v6, off
.LBB6_368:
	s_and_b32 vcc_lo, exec_lo, s21
	s_cbranch_vccz .LBB6_378
; %bb.369:
	s_wait_xcnt 0x0
	v_cvt_f32_f64_e32 v2, v[0:1]
	s_mov_b32 s21, exec_lo
                                        ; implicit-def: $vgpr3
	s_delay_alu instid0(VALU_DEP_1) | instskip(NEXT) | instid1(VALU_DEP_1)
	v_and_b32_e32 v6, 0x7fffffff, v2
	v_cmpx_gt_u32_e32 0x43f00000, v6
	s_xor_b32 s21, exec_lo, s21
	s_cbranch_execz .LBB6_375
; %bb.370:
	s_mov_b32 s22, exec_lo
                                        ; implicit-def: $vgpr3
	v_cmpx_lt_u32_e32 0x3c7fffff, v6
	s_xor_b32 s22, exec_lo, s22
; %bb.371:
	v_bfe_u32 v3, v2, 20, 1
	s_delay_alu instid0(VALU_DEP_1) | instskip(NEXT) | instid1(VALU_DEP_1)
	v_add3_u32 v3, v2, v3, 0x407ffff
	v_and_b32_e32 v6, 0xff00000, v3
	v_lshrrev_b32_e32 v3, 20, v3
	s_delay_alu instid0(VALU_DEP_2) | instskip(NEXT) | instid1(VALU_DEP_2)
	v_cmp_ne_u32_e32 vcc_lo, 0x7f00000, v6
	v_cndmask_b32_e32 v3, 0x7e, v3, vcc_lo
; %bb.372:
	s_and_not1_saveexec_b32 s22, s22
; %bb.373:
	v_add_f32_e64 v3, 0x46800000, |v2|
; %bb.374:
	s_or_b32 exec_lo, exec_lo, s22
                                        ; implicit-def: $vgpr6
.LBB6_375:
	s_and_not1_saveexec_b32 s21, s21
; %bb.376:
	v_mov_b32_e32 v3, 0x7f
	v_cmp_lt_u32_e32 vcc_lo, 0x7f800000, v6
	s_delay_alu instid0(VALU_DEP_2)
	v_cndmask_b32_e32 v3, 0x7e, v3, vcc_lo
; %bb.377:
	s_or_b32 exec_lo, exec_lo, s21
	v_lshrrev_b32_e32 v2, 24, v2
	s_delay_alu instid0(VALU_DEP_1)
	v_and_or_b32 v2, 0x80, v2, v3
	global_store_b8 v[4:5], v2, off
.LBB6_378:
	s_mov_b32 s21, 0
.LBB6_379:
	s_delay_alu instid0(SALU_CYCLE_1)
	s_and_not1_b32 vcc_lo, exec_lo, s21
	s_cbranch_vccnz .LBB6_389
; %bb.380:
	s_wait_xcnt 0x0
	v_cvt_f32_f64_e32 v2, v[0:1]
	s_mov_b32 s21, exec_lo
                                        ; implicit-def: $vgpr3
	s_delay_alu instid0(VALU_DEP_1) | instskip(NEXT) | instid1(VALU_DEP_1)
	v_and_b32_e32 v6, 0x7fffffff, v2
	v_cmpx_gt_u32_e32 0x47800000, v6
	s_xor_b32 s21, exec_lo, s21
	s_cbranch_execz .LBB6_386
; %bb.381:
	s_mov_b32 s22, exec_lo
                                        ; implicit-def: $vgpr3
	v_cmpx_lt_u32_e32 0x387fffff, v6
	s_xor_b32 s22, exec_lo, s22
; %bb.382:
	v_bfe_u32 v3, v2, 21, 1
	s_delay_alu instid0(VALU_DEP_1) | instskip(NEXT) | instid1(VALU_DEP_1)
	v_add3_u32 v3, v2, v3, 0x80fffff
	v_lshrrev_b32_e32 v3, 21, v3
; %bb.383:
	s_and_not1_saveexec_b32 s22, s22
; %bb.384:
	v_add_f32_e64 v3, 0x43000000, |v2|
; %bb.385:
	s_or_b32 exec_lo, exec_lo, s22
                                        ; implicit-def: $vgpr6
.LBB6_386:
	s_and_not1_saveexec_b32 s21, s21
; %bb.387:
	v_mov_b32_e32 v3, 0x7f
	v_cmp_lt_u32_e32 vcc_lo, 0x7f800000, v6
	s_delay_alu instid0(VALU_DEP_2)
	v_cndmask_b32_e32 v3, 0x7c, v3, vcc_lo
; %bb.388:
	s_or_b32 exec_lo, exec_lo, s21
	v_lshrrev_b32_e32 v2, 24, v2
	s_delay_alu instid0(VALU_DEP_1)
	v_and_or_b32 v2, 0x80, v2, v3
	global_store_b8 v[4:5], v2, off
.LBB6_389:
	s_mov_b32 s22, 0
	s_mov_b32 s21, -1
.LBB6_390:
	s_and_not1_b32 vcc_lo, exec_lo, s22
	s_cbranch_vccnz .LBB6_398
; %bb.391:
	s_cmp_gt_i32 s20, 14
	s_mov_b32 s22, -1
	s_cbranch_scc0 .LBB6_395
; %bb.392:
	s_cmp_eq_u32 s20, 15
	s_mov_b32 s0, -1
	s_cbranch_scc0 .LBB6_394
; %bb.393:
	s_wait_xcnt 0x0
	v_cvt_f32_f64_e32 v2, v[0:1]
	s_mov_b32 s21, -1
	s_mov_b32 s0, 0
	s_delay_alu instid0(VALU_DEP_1) | instskip(SKIP_1) | instid1(VALU_DEP_2)
	v_bfe_u32 v3, v2, 16, 1
	v_cmp_o_f32_e32 vcc_lo, v2, v2
	v_add3_u32 v3, v2, v3, 0x7fff
	s_delay_alu instid0(VALU_DEP_1) | instskip(NEXT) | instid1(VALU_DEP_1)
	v_lshrrev_b32_e32 v3, 16, v3
	v_cndmask_b32_e32 v2, 0x7fc0, v3, vcc_lo
	global_store_b16 v[4:5], v2, off
.LBB6_394:
	s_mov_b32 s22, 0
.LBB6_395:
	s_delay_alu instid0(SALU_CYCLE_1)
	s_and_b32 vcc_lo, exec_lo, s22
	s_cbranch_vccz .LBB6_398
; %bb.396:
	s_cmp_eq_u32 s20, 11
	s_mov_b32 s0, -1
	s_cbranch_scc0 .LBB6_398
; %bb.397:
	v_cmp_neq_f64_e32 vcc_lo, 0, v[0:1]
	s_mov_b32 s21, -1
	s_mov_b32 s0, 0
	s_wait_xcnt 0x0
	v_cndmask_b32_e64 v2, 0, 1, vcc_lo
	global_store_b8 v[4:5], v2, off
.LBB6_398:
.LBB6_399:
	s_and_not1_b32 vcc_lo, exec_lo, s21
	s_cbranch_vccnz .LBB6_312
.LBB6_400:
	v_add_nc_u32_e32 v10, 0x80, v10
	s_mov_b32 s20, -1
	s_branch .LBB6_513
.LBB6_401:
	s_mov_b32 s17, -1
                                        ; implicit-def: $vgpr2_vgpr3
.LBB6_402:
	s_mov_b32 s20, 0
.LBB6_403:
	s_delay_alu instid0(SALU_CYCLE_1)
	s_and_b32 vcc_lo, exec_lo, s20
	s_cbranch_vccz .LBB6_407
; %bb.404:
	s_cmp_eq_u32 s0, 29
	s_cbranch_scc0 .LBB6_406
; %bb.405:
	s_wait_loadcnt 0x0
	global_load_b64 v[2:3], v[0:1], off
	s_mov_b32 s18, -1
	s_mov_b32 s17, 0
	s_mov_b32 s20, 0
	s_wait_loadcnt 0x0
	v_cvt_f64_u32_e32 v[4:5], v3
	v_cvt_f64_u32_e32 v[2:3], v2
	s_delay_alu instid0(VALU_DEP_2) | instskip(NEXT) | instid1(VALU_DEP_1)
	v_ldexp_f64 v[4:5], v[4:5], 32
	v_add_f64_e32 v[2:3], v[4:5], v[2:3]
	s_branch .LBB6_408
.LBB6_406:
	s_mov_b32 s17, -1
                                        ; implicit-def: $vgpr2_vgpr3
.LBB6_407:
	s_mov_b32 s20, 0
.LBB6_408:
	s_delay_alu instid0(SALU_CYCLE_1)
	s_and_b32 vcc_lo, exec_lo, s20
	s_cbranch_vccz .LBB6_426
; %bb.409:
	s_cmp_lt_i32 s0, 27
	s_cbranch_scc1 .LBB6_412
; %bb.410:
	s_cmp_gt_i32 s0, 27
	s_cbranch_scc0 .LBB6_413
; %bb.411:
	s_wait_loadcnt 0x0
	global_load_b32 v2, v[0:1], off
	s_mov_b32 s18, 0
	s_wait_loadcnt 0x0
	v_cvt_f64_u32_e32 v[2:3], v2
	s_branch .LBB6_414
.LBB6_412:
	s_mov_b32 s18, -1
                                        ; implicit-def: $vgpr2_vgpr3
	s_branch .LBB6_417
.LBB6_413:
	s_mov_b32 s18, -1
                                        ; implicit-def: $vgpr2_vgpr3
.LBB6_414:
	s_delay_alu instid0(SALU_CYCLE_1)
	s_and_not1_b32 vcc_lo, exec_lo, s18
	s_cbranch_vccnz .LBB6_416
; %bb.415:
	s_wait_loadcnt 0x0
	global_load_u16 v2, v[0:1], off
	s_wait_loadcnt 0x0
	v_cvt_f64_u32_e32 v[2:3], v2
.LBB6_416:
	s_mov_b32 s18, 0
.LBB6_417:
	s_delay_alu instid0(SALU_CYCLE_1)
	s_and_not1_b32 vcc_lo, exec_lo, s18
	s_cbranch_vccnz .LBB6_425
; %bb.418:
	global_load_u8 v4, v[0:1], off
	s_mov_b32 s18, 0
	s_mov_b32 s20, exec_lo
	s_wait_loadcnt 0x0
	v_cmpx_lt_i16_e32 0x7f, v4
	s_xor_b32 s20, exec_lo, s20
	s_cbranch_execz .LBB6_439
; %bb.419:
	s_mov_b32 s18, -1
	s_mov_b32 s21, exec_lo
	v_cmpx_eq_u16_e32 0x80, v4
; %bb.420:
	s_xor_b32 s18, exec_lo, -1
; %bb.421:
	s_or_b32 exec_lo, exec_lo, s21
	s_delay_alu instid0(SALU_CYCLE_1)
	s_and_b32 s18, s18, exec_lo
	s_or_saveexec_b32 s20, s20
	v_mov_b64_e32 v[2:3], 0x7ff8000020000000
	s_xor_b32 exec_lo, exec_lo, s20
	s_cbranch_execnz .LBB6_440
.LBB6_422:
	s_or_b32 exec_lo, exec_lo, s20
	s_and_saveexec_b32 s20, s18
	s_cbranch_execz .LBB6_424
.LBB6_423:
	v_and_b32_e32 v2, 0xffff, v4
	s_delay_alu instid0(VALU_DEP_1) | instskip(SKIP_1) | instid1(VALU_DEP_2)
	v_and_b32_e32 v3, 7, v2
	v_bfe_u32 v7, v2, 3, 4
	v_clz_i32_u32_e32 v5, v3
	s_delay_alu instid0(VALU_DEP_2) | instskip(NEXT) | instid1(VALU_DEP_2)
	v_cmp_eq_u32_e32 vcc_lo, 0, v7
	v_min_u32_e32 v5, 32, v5
	s_delay_alu instid0(VALU_DEP_1) | instskip(NEXT) | instid1(VALU_DEP_1)
	v_subrev_nc_u32_e32 v6, 28, v5
	v_dual_lshlrev_b32 v2, v6, v2 :: v_dual_sub_nc_u32 v5, 29, v5
	s_delay_alu instid0(VALU_DEP_1) | instskip(NEXT) | instid1(VALU_DEP_2)
	v_dual_lshlrev_b32 v4, 24, v4 :: v_dual_bitop2_b32 v2, 7, v2 bitop3:0x40
	v_cndmask_b32_e32 v5, v7, v5, vcc_lo
	s_delay_alu instid0(VALU_DEP_2) | instskip(NEXT) | instid1(VALU_DEP_3)
	v_cndmask_b32_e32 v2, v3, v2, vcc_lo
	v_and_b32_e32 v3, 0x80000000, v4
	s_delay_alu instid0(VALU_DEP_3) | instskip(NEXT) | instid1(VALU_DEP_3)
	v_lshl_add_u32 v4, v5, 23, 0x3b800000
	v_lshlrev_b32_e32 v2, 20, v2
	s_delay_alu instid0(VALU_DEP_1) | instskip(NEXT) | instid1(VALU_DEP_1)
	v_or3_b32 v2, v3, v4, v2
	v_cvt_f64_f32_e32 v[2:3], v2
.LBB6_424:
	s_or_b32 exec_lo, exec_lo, s20
.LBB6_425:
	s_mov_b32 s18, -1
.LBB6_426:
	s_mov_b32 s20, 0
.LBB6_427:
	s_delay_alu instid0(SALU_CYCLE_1)
	s_and_b32 vcc_lo, exec_lo, s20
	s_cbranch_vccz .LBB6_462
; %bb.428:
	s_cmp_gt_i32 s0, 22
	s_cbranch_scc0 .LBB6_438
; %bb.429:
	s_cmp_lt_i32 s0, 24
	s_cbranch_scc1 .LBB6_441
; %bb.430:
	s_cmp_gt_i32 s0, 24
	s_cbranch_scc0 .LBB6_442
; %bb.431:
	global_load_u8 v4, v[0:1], off
	s_mov_b32 s18, 0
	s_mov_b32 s20, exec_lo
	s_wait_loadcnt 0x0
	v_cmpx_lt_i16_e32 0x7f, v4
	s_xor_b32 s20, exec_lo, s20
	s_cbranch_execz .LBB6_454
; %bb.432:
	s_mov_b32 s18, -1
	s_mov_b32 s21, exec_lo
	v_cmpx_eq_u16_e32 0x80, v4
; %bb.433:
	s_xor_b32 s18, exec_lo, -1
; %bb.434:
	s_or_b32 exec_lo, exec_lo, s21
	s_delay_alu instid0(SALU_CYCLE_1)
	s_and_b32 s18, s18, exec_lo
	s_or_saveexec_b32 s20, s20
	v_mov_b64_e32 v[2:3], 0x7ff8000020000000
	s_xor_b32 exec_lo, exec_lo, s20
	s_cbranch_execnz .LBB6_455
.LBB6_435:
	s_or_b32 exec_lo, exec_lo, s20
	s_and_saveexec_b32 s20, s18
	s_cbranch_execz .LBB6_437
.LBB6_436:
	v_and_b32_e32 v2, 0xffff, v4
	s_delay_alu instid0(VALU_DEP_1) | instskip(SKIP_1) | instid1(VALU_DEP_2)
	v_and_b32_e32 v3, 3, v2
	v_bfe_u32 v7, v2, 2, 5
	v_clz_i32_u32_e32 v5, v3
	s_delay_alu instid0(VALU_DEP_2) | instskip(NEXT) | instid1(VALU_DEP_2)
	v_cmp_eq_u32_e32 vcc_lo, 0, v7
	v_min_u32_e32 v5, 32, v5
	s_delay_alu instid0(VALU_DEP_1) | instskip(NEXT) | instid1(VALU_DEP_1)
	v_subrev_nc_u32_e32 v6, 29, v5
	v_dual_lshlrev_b32 v2, v6, v2 :: v_dual_sub_nc_u32 v5, 30, v5
	s_delay_alu instid0(VALU_DEP_1) | instskip(NEXT) | instid1(VALU_DEP_2)
	v_dual_lshlrev_b32 v4, 24, v4 :: v_dual_bitop2_b32 v2, 3, v2 bitop3:0x40
	v_cndmask_b32_e32 v5, v7, v5, vcc_lo
	s_delay_alu instid0(VALU_DEP_2) | instskip(NEXT) | instid1(VALU_DEP_3)
	v_cndmask_b32_e32 v2, v3, v2, vcc_lo
	v_and_b32_e32 v3, 0x80000000, v4
	s_delay_alu instid0(VALU_DEP_3) | instskip(NEXT) | instid1(VALU_DEP_3)
	v_lshl_add_u32 v4, v5, 23, 0x37800000
	v_lshlrev_b32_e32 v2, 21, v2
	s_delay_alu instid0(VALU_DEP_1) | instskip(NEXT) | instid1(VALU_DEP_1)
	v_or3_b32 v2, v3, v4, v2
	v_cvt_f64_f32_e32 v[2:3], v2
.LBB6_437:
	s_or_b32 exec_lo, exec_lo, s20
	s_mov_b32 s18, 0
	s_branch .LBB6_443
.LBB6_438:
	s_mov_b32 s20, -1
                                        ; implicit-def: $vgpr2_vgpr3
	s_branch .LBB6_449
.LBB6_439:
	s_or_saveexec_b32 s20, s20
	v_mov_b64_e32 v[2:3], 0x7ff8000020000000
	s_xor_b32 exec_lo, exec_lo, s20
	s_cbranch_execz .LBB6_422
.LBB6_440:
	v_cmp_ne_u16_e32 vcc_lo, 0, v4
	v_mov_b64_e32 v[2:3], 0
	s_and_not1_b32 s18, s18, exec_lo
	s_and_b32 s21, vcc_lo, exec_lo
	s_delay_alu instid0(SALU_CYCLE_1)
	s_or_b32 s18, s18, s21
	s_or_b32 exec_lo, exec_lo, s20
	s_and_saveexec_b32 s20, s18
	s_cbranch_execnz .LBB6_423
	s_branch .LBB6_424
.LBB6_441:
	s_mov_b32 s18, -1
                                        ; implicit-def: $vgpr2_vgpr3
	s_branch .LBB6_446
.LBB6_442:
	s_mov_b32 s18, -1
                                        ; implicit-def: $vgpr2_vgpr3
.LBB6_443:
	s_delay_alu instid0(SALU_CYCLE_1)
	s_and_b32 vcc_lo, exec_lo, s18
	s_cbranch_vccz .LBB6_445
; %bb.444:
	s_wait_loadcnt 0x0
	global_load_u8 v2, v[0:1], off
	s_wait_loadcnt 0x0
	v_lshlrev_b32_e32 v2, 24, v2
	s_delay_alu instid0(VALU_DEP_1) | instskip(NEXT) | instid1(VALU_DEP_1)
	v_and_b32_e32 v3, 0x7f000000, v2
	v_clz_i32_u32_e32 v4, v3
	v_cmp_ne_u32_e32 vcc_lo, 0, v3
	v_add_nc_u32_e32 v6, 0x1000000, v3
	s_delay_alu instid0(VALU_DEP_3) | instskip(NEXT) | instid1(VALU_DEP_1)
	v_min_u32_e32 v4, 32, v4
	v_sub_nc_u32_e64 v4, v4, 4 clamp
	s_delay_alu instid0(VALU_DEP_1) | instskip(NEXT) | instid1(VALU_DEP_1)
	v_dual_lshlrev_b32 v5, v4, v3 :: v_dual_lshlrev_b32 v4, 23, v4
	v_lshrrev_b32_e32 v5, 4, v5
	s_delay_alu instid0(VALU_DEP_1) | instskip(NEXT) | instid1(VALU_DEP_1)
	v_dual_sub_nc_u32 v4, v5, v4 :: v_dual_ashrrev_i32 v5, 8, v6
	v_add_nc_u32_e32 v4, 0x3c000000, v4
	s_delay_alu instid0(VALU_DEP_1) | instskip(NEXT) | instid1(VALU_DEP_1)
	v_and_or_b32 v4, 0x7f800000, v5, v4
	v_cndmask_b32_e32 v3, 0, v4, vcc_lo
	s_delay_alu instid0(VALU_DEP_1) | instskip(NEXT) | instid1(VALU_DEP_1)
	v_and_or_b32 v2, 0x80000000, v2, v3
	v_cvt_f64_f32_e32 v[2:3], v2
.LBB6_445:
	s_mov_b32 s18, 0
.LBB6_446:
	s_delay_alu instid0(SALU_CYCLE_1)
	s_and_not1_b32 vcc_lo, exec_lo, s18
	s_cbranch_vccnz .LBB6_448
; %bb.447:
	s_wait_loadcnt 0x0
	global_load_u8 v2, v[0:1], off
	s_wait_loadcnt 0x0
	v_lshlrev_b32_e32 v3, 25, v2
	v_lshlrev_b16 v2, 8, v2
	s_delay_alu instid0(VALU_DEP_1) | instskip(SKIP_1) | instid1(VALU_DEP_2)
	v_and_or_b32 v5, 0x7f00, v2, 0.5
	v_bfe_i32 v2, v2, 0, 16
	v_dual_add_f32 v5, -0.5, v5 :: v_dual_lshrrev_b32 v4, 4, v3
	v_cmp_gt_u32_e32 vcc_lo, 0x8000000, v3
	s_delay_alu instid0(VALU_DEP_2) | instskip(NEXT) | instid1(VALU_DEP_1)
	v_or_b32_e32 v4, 0x70000000, v4
	v_mul_f32_e32 v4, 0x7800000, v4
	s_delay_alu instid0(VALU_DEP_1) | instskip(NEXT) | instid1(VALU_DEP_1)
	v_cndmask_b32_e32 v3, v4, v5, vcc_lo
	v_and_or_b32 v2, 0x80000000, v2, v3
	s_delay_alu instid0(VALU_DEP_1)
	v_cvt_f64_f32_e32 v[2:3], v2
.LBB6_448:
	s_mov_b32 s20, 0
	s_mov_b32 s18, -1
.LBB6_449:
	s_and_not1_b32 vcc_lo, exec_lo, s20
	s_cbranch_vccnz .LBB6_462
; %bb.450:
	s_cmp_gt_i32 s0, 14
	s_cbranch_scc0 .LBB6_453
; %bb.451:
	s_cmp_eq_u32 s0, 15
	s_cbranch_scc0 .LBB6_456
; %bb.452:
	s_wait_loadcnt 0x0
	global_load_u16 v2, v[0:1], off
	s_mov_b32 s18, -1
	s_mov_b32 s17, 0
	s_wait_loadcnt 0x0
	v_lshlrev_b32_e32 v2, 16, v2
	s_delay_alu instid0(VALU_DEP_1)
	v_cvt_f64_f32_e32 v[2:3], v2
	s_branch .LBB6_457
.LBB6_453:
	s_mov_b32 s20, -1
                                        ; implicit-def: $vgpr2_vgpr3
	s_branch .LBB6_458
.LBB6_454:
	s_or_saveexec_b32 s20, s20
	v_mov_b64_e32 v[2:3], 0x7ff8000020000000
	s_xor_b32 exec_lo, exec_lo, s20
	s_cbranch_execz .LBB6_435
.LBB6_455:
	v_cmp_ne_u16_e32 vcc_lo, 0, v4
	v_mov_b64_e32 v[2:3], 0
	s_and_not1_b32 s18, s18, exec_lo
	s_and_b32 s21, vcc_lo, exec_lo
	s_delay_alu instid0(SALU_CYCLE_1)
	s_or_b32 s18, s18, s21
	s_or_b32 exec_lo, exec_lo, s20
	s_and_saveexec_b32 s20, s18
	s_cbranch_execnz .LBB6_436
	s_branch .LBB6_437
.LBB6_456:
	s_mov_b32 s17, -1
                                        ; implicit-def: $vgpr2_vgpr3
.LBB6_457:
	s_mov_b32 s20, 0
.LBB6_458:
	s_delay_alu instid0(SALU_CYCLE_1)
	s_and_b32 vcc_lo, exec_lo, s20
	s_cbranch_vccz .LBB6_462
; %bb.459:
	s_cmp_eq_u32 s0, 11
	s_cbranch_scc0 .LBB6_461
; %bb.460:
	s_wait_loadcnt 0x0
	global_load_u8 v2, v[0:1], off
	s_mov_b32 s17, 0
	s_mov_b32 s18, -1
	s_wait_loadcnt 0x0
	v_cmp_ne_u16_e32 vcc_lo, 0, v2
	v_mov_b32_e32 v2, 0
	v_cndmask_b32_e64 v3, 0, 0x3ff00000, vcc_lo
	s_branch .LBB6_462
.LBB6_461:
	s_mov_b32 s17, -1
                                        ; implicit-def: $vgpr2_vgpr3
.LBB6_462:
	s_branch .LBB6_265
.LBB6_463:
	s_cmp_lt_i32 s0, 5
	s_cbranch_scc1 .LBB6_468
; %bb.464:
	s_cmp_lt_i32 s0, 8
	s_cbranch_scc1 .LBB6_469
; %bb.465:
	;; [unrolled: 3-line block ×3, first 2 shown]
	s_cmp_gt_i32 s0, 9
	s_cbranch_scc0 .LBB6_471
; %bb.467:
	s_wait_loadcnt 0x0
	global_load_b64 v[2:3], v[0:1], off
	s_mov_b32 s18, 0
	s_branch .LBB6_472
.LBB6_468:
	s_mov_b32 s18, -1
                                        ; implicit-def: $vgpr2_vgpr3
	s_branch .LBB6_490
.LBB6_469:
	s_mov_b32 s18, -1
                                        ; implicit-def: $vgpr2_vgpr3
	s_branch .LBB6_478
.LBB6_470:
	s_mov_b32 s18, -1
                                        ; implicit-def: $vgpr2_vgpr3
	s_branch .LBB6_475
.LBB6_471:
	s_mov_b32 s18, -1
                                        ; implicit-def: $vgpr2_vgpr3
.LBB6_472:
	s_delay_alu instid0(SALU_CYCLE_1)
	s_and_not1_b32 vcc_lo, exec_lo, s18
	s_cbranch_vccnz .LBB6_474
; %bb.473:
	s_wait_loadcnt 0x0
	global_load_b32 v2, v[0:1], off
	s_wait_loadcnt 0x0
	v_cvt_f64_f32_e32 v[2:3], v2
.LBB6_474:
	s_mov_b32 s18, 0
.LBB6_475:
	s_delay_alu instid0(SALU_CYCLE_1)
	s_and_not1_b32 vcc_lo, exec_lo, s18
	s_cbranch_vccnz .LBB6_477
; %bb.476:
	s_wait_loadcnt 0x0
	global_load_b32 v2, v[0:1], off
	s_wait_loadcnt 0x0
	v_cvt_f32_f16_e32 v2, v2
	s_delay_alu instid0(VALU_DEP_1)
	v_cvt_f64_f32_e32 v[2:3], v2
.LBB6_477:
	s_mov_b32 s18, 0
.LBB6_478:
	s_delay_alu instid0(SALU_CYCLE_1)
	s_and_not1_b32 vcc_lo, exec_lo, s18
	s_cbranch_vccnz .LBB6_489
; %bb.479:
	s_cmp_lt_i32 s0, 6
	s_cbranch_scc1 .LBB6_482
; %bb.480:
	s_cmp_gt_i32 s0, 6
	s_cbranch_scc0 .LBB6_483
; %bb.481:
	s_wait_loadcnt 0x0
	global_load_b64 v[2:3], v[0:1], off
	s_mov_b32 s18, 0
	s_branch .LBB6_484
.LBB6_482:
	s_mov_b32 s18, -1
                                        ; implicit-def: $vgpr2_vgpr3
	s_branch .LBB6_487
.LBB6_483:
	s_mov_b32 s18, -1
                                        ; implicit-def: $vgpr2_vgpr3
.LBB6_484:
	s_delay_alu instid0(SALU_CYCLE_1)
	s_and_not1_b32 vcc_lo, exec_lo, s18
	s_cbranch_vccnz .LBB6_486
; %bb.485:
	s_wait_loadcnt 0x0
	global_load_b32 v2, v[0:1], off
	s_wait_loadcnt 0x0
	v_cvt_f64_f32_e32 v[2:3], v2
.LBB6_486:
	s_mov_b32 s18, 0
.LBB6_487:
	s_delay_alu instid0(SALU_CYCLE_1)
	s_and_not1_b32 vcc_lo, exec_lo, s18
	s_cbranch_vccnz .LBB6_489
; %bb.488:
	s_wait_loadcnt 0x0
	global_load_u16 v2, v[0:1], off
	s_wait_loadcnt 0x0
	v_cvt_f32_f16_e32 v2, v2
	s_delay_alu instid0(VALU_DEP_1)
	v_cvt_f64_f32_e32 v[2:3], v2
.LBB6_489:
	s_mov_b32 s18, 0
.LBB6_490:
	s_delay_alu instid0(SALU_CYCLE_1)
	s_and_not1_b32 vcc_lo, exec_lo, s18
	s_cbranch_vccnz .LBB6_510
; %bb.491:
	s_cmp_lt_i32 s0, 2
	s_cbranch_scc1 .LBB6_495
; %bb.492:
	s_cmp_lt_i32 s0, 3
	s_cbranch_scc1 .LBB6_496
; %bb.493:
	s_cmp_gt_i32 s0, 3
	s_cbranch_scc0 .LBB6_497
; %bb.494:
	s_wait_loadcnt 0x0
	global_load_b64 v[2:3], v[0:1], off
	s_mov_b32 s18, 0
	s_wait_loadcnt 0x0
	v_cvt_f64_i32_e32 v[4:5], v3
	v_cvt_f64_u32_e32 v[2:3], v2
	s_delay_alu instid0(VALU_DEP_2) | instskip(NEXT) | instid1(VALU_DEP_1)
	v_ldexp_f64 v[4:5], v[4:5], 32
	v_add_f64_e32 v[2:3], v[4:5], v[2:3]
	s_branch .LBB6_498
.LBB6_495:
	s_mov_b32 s18, -1
                                        ; implicit-def: $vgpr2_vgpr3
	s_branch .LBB6_504
.LBB6_496:
	s_mov_b32 s18, -1
                                        ; implicit-def: $vgpr2_vgpr3
	s_branch .LBB6_501
.LBB6_497:
	s_mov_b32 s18, -1
                                        ; implicit-def: $vgpr2_vgpr3
.LBB6_498:
	s_delay_alu instid0(SALU_CYCLE_1)
	s_and_not1_b32 vcc_lo, exec_lo, s18
	s_cbranch_vccnz .LBB6_500
; %bb.499:
	s_wait_loadcnt 0x0
	global_load_b32 v2, v[0:1], off
	s_wait_loadcnt 0x0
	v_cvt_f64_i32_e32 v[2:3], v2
.LBB6_500:
	s_mov_b32 s18, 0
.LBB6_501:
	s_delay_alu instid0(SALU_CYCLE_1)
	s_and_not1_b32 vcc_lo, exec_lo, s18
	s_cbranch_vccnz .LBB6_503
; %bb.502:
	s_wait_loadcnt 0x0
	global_load_i16 v2, v[0:1], off
	s_wait_loadcnt 0x0
	v_cvt_f64_i32_e32 v[2:3], v2
.LBB6_503:
	s_mov_b32 s18, 0
.LBB6_504:
	s_delay_alu instid0(SALU_CYCLE_1)
	s_and_not1_b32 vcc_lo, exec_lo, s18
	s_cbranch_vccnz .LBB6_510
; %bb.505:
	s_cmp_gt_i32 s0, 0
	s_mov_b32 s0, 0
	s_cbranch_scc0 .LBB6_507
; %bb.506:
	s_wait_loadcnt 0x0
	global_load_i8 v2, v[0:1], off
	s_wait_loadcnt 0x0
	v_cvt_f64_i32_e32 v[2:3], v2
	s_branch .LBB6_508
.LBB6_507:
	s_mov_b32 s0, -1
                                        ; implicit-def: $vgpr2_vgpr3
.LBB6_508:
	s_delay_alu instid0(SALU_CYCLE_1)
	s_and_not1_b32 vcc_lo, exec_lo, s0
	s_cbranch_vccnz .LBB6_510
; %bb.509:
	global_load_u8 v0, v[0:1], off
	s_wait_loadcnt 0x0
	v_cvt_f64_u32_e32 v[2:3], v0
.LBB6_510:
	s_branch .LBB6_266
.LBB6_511:
	s_mov_b32 s20, 0
	s_mov_b32 s0, s13
.LBB6_512:
                                        ; implicit-def: $vgpr10
.LBB6_513:
	s_and_not1_b32 s18, s13, exec_lo
	s_and_b32 s0, s0, exec_lo
	s_and_not1_b32 s21, s15, exec_lo
	s_and_b32 s17, s17, exec_lo
	s_or_b32 s18, s18, s0
	s_or_b32 s17, s21, s17
	s_or_not1_b32 s0, s20, exec_lo
.LBB6_514:
	s_wait_xcnt 0x0
	s_or_b32 exec_lo, exec_lo, s19
	s_mov_b32 s20, 0
	s_mov_b32 s21, 0
	;; [unrolled: 1-line block ×3, first 2 shown]
                                        ; implicit-def: $vgpr0_vgpr1
                                        ; implicit-def: $vgpr2_vgpr3
	s_and_saveexec_b32 s19, s0
	s_cbranch_execz .LBB6_860
; %bb.515:
	s_mov_b32 s22, -1
	s_mov_b32 s0, s17
	s_mov_b32 s21, s18
	s_mov_b32 s20, exec_lo
	v_cmpx_gt_i32_e64 s14, v10
	s_cbranch_execz .LBB6_774
; %bb.516:
	v_mul_lo_u32 v0, v10, s9
	s_and_b32 s0, 0xffff, s3
	s_delay_alu instid0(SALU_CYCLE_1) | instskip(NEXT) | instid1(VALU_DEP_1)
	s_cmp_lt_i32 s0, 11
	v_ashrrev_i32_e32 v1, 31, v0
	s_delay_alu instid0(VALU_DEP_1)
	v_add_nc_u64_e32 v[0:1], s[6:7], v[0:1]
	s_cbranch_scc1 .LBB6_523
; %bb.517:
	s_cmp_gt_i32 s0, 25
	s_cbranch_scc0 .LBB6_524
; %bb.518:
	s_cmp_gt_i32 s0, 28
	s_cbranch_scc0 .LBB6_525
	;; [unrolled: 3-line block ×4, first 2 shown]
; %bb.521:
	s_cmp_eq_u32 s0, 46
	s_mov_b32 s23, 0
	s_cbranch_scc0 .LBB6_532
; %bb.522:
	s_wait_loadcnt 0x0
	global_load_b32 v2, v[0:1], off
	s_mov_b32 s21, 0
	s_wait_loadcnt 0x0
	v_lshlrev_b32_e32 v2, 16, v2
	s_delay_alu instid0(VALU_DEP_1)
	v_cvt_f64_f32_e32 v[2:3], v2
	s_branch .LBB6_534
.LBB6_523:
	s_mov_b32 s23, -1
	s_mov_b32 s22, 0
	s_mov_b32 s21, s17
                                        ; implicit-def: $vgpr2_vgpr3
	s_branch .LBB6_599
.LBB6_524:
	s_mov_b32 s23, -1
	s_mov_b32 s22, 0
	s_mov_b32 s21, s17
                                        ; implicit-def: $vgpr2_vgpr3
	s_branch .LBB6_563
.LBB6_525:
	s_mov_b32 s23, -1
	s_mov_b32 s22, 0
	s_mov_b32 s21, s17
                                        ; implicit-def: $vgpr2_vgpr3
	s_branch .LBB6_544
.LBB6_526:
	s_mov_b32 s23, -1
	s_mov_b32 s22, 0
	s_mov_b32 s21, s17
                                        ; implicit-def: $vgpr2_vgpr3
	s_branch .LBB6_539
.LBB6_527:
	s_and_not1_saveexec_b32 s23, s23
	s_cbranch_execz .LBB6_351
.LBB6_528:
	v_add_f32_e64 v3, 0x46000000, |v2|
	s_and_not1_b32 s22, s22, exec_lo
	s_delay_alu instid0(VALU_DEP_1) | instskip(NEXT) | instid1(VALU_DEP_1)
	v_and_b32_e32 v3, 0xff, v3
	v_cmp_ne_u32_e32 vcc_lo, 0, v3
	s_and_b32 s24, vcc_lo, exec_lo
	s_delay_alu instid0(SALU_CYCLE_1)
	s_or_b32 s22, s22, s24
	s_or_b32 exec_lo, exec_lo, s23
	v_mov_b32_e32 v6, 0
	s_and_saveexec_b32 s23, s22
	s_cbranch_execnz .LBB6_352
	s_branch .LBB6_353
.LBB6_529:
	s_mov_b32 s23, -1
	s_mov_b32 s22, 0
	s_mov_b32 s21, s17
	s_branch .LBB6_533
.LBB6_530:
	s_and_not1_saveexec_b32 s23, s23
	s_cbranch_execz .LBB6_364
.LBB6_531:
	v_add_f32_e64 v3, 0x42800000, |v2|
	s_and_not1_b32 s22, s22, exec_lo
	s_delay_alu instid0(VALU_DEP_1) | instskip(NEXT) | instid1(VALU_DEP_1)
	v_and_b32_e32 v3, 0xff, v3
	v_cmp_ne_u32_e32 vcc_lo, 0, v3
	s_and_b32 s24, vcc_lo, exec_lo
	s_delay_alu instid0(SALU_CYCLE_1)
	s_or_b32 s22, s22, s24
	s_or_b32 exec_lo, exec_lo, s23
	v_mov_b32_e32 v6, 0
	s_and_saveexec_b32 s23, s22
	s_cbranch_execnz .LBB6_365
	s_branch .LBB6_366
.LBB6_532:
	s_mov_b32 s21, -1
	s_mov_b32 s22, 0
.LBB6_533:
                                        ; implicit-def: $vgpr2_vgpr3
.LBB6_534:
	s_and_b32 vcc_lo, exec_lo, s23
	s_cbranch_vccz .LBB6_538
; %bb.535:
	s_cmp_eq_u32 s0, 44
	s_cbranch_scc0 .LBB6_537
; %bb.536:
	global_load_u8 v4, v[0:1], off
	s_mov_b32 s21, 0
	s_mov_b32 s22, -1
	s_wait_loadcnt 0x0
	v_cmp_ne_u32_e32 vcc_lo, 0xff, v4
	v_lshlrev_b32_e32 v2, 23, v4
	s_delay_alu instid0(VALU_DEP_1) | instskip(NEXT) | instid1(VALU_DEP_1)
	v_cvt_f64_f32_e32 v[2:3], v2
	v_cndmask_b32_e32 v2, 0x20000000, v2, vcc_lo
	s_delay_alu instid0(VALU_DEP_2) | instskip(SKIP_1) | instid1(VALU_DEP_2)
	v_cndmask_b32_e32 v3, 0x7ff80000, v3, vcc_lo
	v_cmp_ne_u32_e32 vcc_lo, 0, v4
	v_cndmask_b32_e32 v3, 0x38000000, v3, vcc_lo
	s_delay_alu instid0(VALU_DEP_4)
	v_cndmask_b32_e32 v2, 0, v2, vcc_lo
	s_branch .LBB6_538
.LBB6_537:
	s_mov_b32 s21, -1
                                        ; implicit-def: $vgpr2_vgpr3
.LBB6_538:
	s_mov_b32 s23, 0
.LBB6_539:
	s_delay_alu instid0(SALU_CYCLE_1)
	s_and_b32 vcc_lo, exec_lo, s23
	s_cbranch_vccz .LBB6_543
; %bb.540:
	s_cmp_eq_u32 s0, 29
	s_cbranch_scc0 .LBB6_542
; %bb.541:
	s_wait_loadcnt 0x0
	global_load_b64 v[2:3], v[0:1], off
	s_mov_b32 s22, -1
	s_mov_b32 s21, 0
	s_mov_b32 s23, 0
	s_wait_loadcnt 0x0
	v_cvt_f64_u32_e32 v[4:5], v3
	v_cvt_f64_u32_e32 v[2:3], v2
	s_delay_alu instid0(VALU_DEP_2) | instskip(NEXT) | instid1(VALU_DEP_1)
	v_ldexp_f64 v[4:5], v[4:5], 32
	v_add_f64_e32 v[2:3], v[4:5], v[2:3]
	s_branch .LBB6_544
.LBB6_542:
	s_mov_b32 s21, -1
                                        ; implicit-def: $vgpr2_vgpr3
.LBB6_543:
	s_mov_b32 s23, 0
.LBB6_544:
	s_delay_alu instid0(SALU_CYCLE_1)
	s_and_b32 vcc_lo, exec_lo, s23
	s_cbranch_vccz .LBB6_562
; %bb.545:
	s_cmp_lt_i32 s0, 27
	s_cbranch_scc1 .LBB6_548
; %bb.546:
	s_cmp_gt_i32 s0, 27
	s_cbranch_scc0 .LBB6_549
; %bb.547:
	s_wait_loadcnt 0x0
	global_load_b32 v2, v[0:1], off
	s_mov_b32 s22, 0
	s_wait_loadcnt 0x0
	v_cvt_f64_u32_e32 v[2:3], v2
	s_branch .LBB6_550
.LBB6_548:
	s_mov_b32 s22, -1
                                        ; implicit-def: $vgpr2_vgpr3
	s_branch .LBB6_553
.LBB6_549:
	s_mov_b32 s22, -1
                                        ; implicit-def: $vgpr2_vgpr3
.LBB6_550:
	s_delay_alu instid0(SALU_CYCLE_1)
	s_and_not1_b32 vcc_lo, exec_lo, s22
	s_cbranch_vccnz .LBB6_552
; %bb.551:
	s_wait_loadcnt 0x0
	global_load_u16 v2, v[0:1], off
	s_wait_loadcnt 0x0
	v_cvt_f64_u32_e32 v[2:3], v2
.LBB6_552:
	s_mov_b32 s22, 0
.LBB6_553:
	s_delay_alu instid0(SALU_CYCLE_1)
	s_and_not1_b32 vcc_lo, exec_lo, s22
	s_cbranch_vccnz .LBB6_561
; %bb.554:
	global_load_u8 v4, v[0:1], off
	s_mov_b32 s22, 0
	s_mov_b32 s23, exec_lo
	s_wait_loadcnt 0x0
	v_cmpx_lt_i16_e32 0x7f, v4
	s_xor_b32 s23, exec_lo, s23
	s_cbranch_execz .LBB6_575
; %bb.555:
	s_mov_b32 s22, -1
	s_mov_b32 s24, exec_lo
	v_cmpx_eq_u16_e32 0x80, v4
; %bb.556:
	s_xor_b32 s22, exec_lo, -1
; %bb.557:
	s_or_b32 exec_lo, exec_lo, s24
	s_delay_alu instid0(SALU_CYCLE_1)
	s_and_b32 s22, s22, exec_lo
	s_or_saveexec_b32 s23, s23
	v_mov_b64_e32 v[2:3], 0x7ff8000020000000
	s_xor_b32 exec_lo, exec_lo, s23
	s_cbranch_execnz .LBB6_576
.LBB6_558:
	s_or_b32 exec_lo, exec_lo, s23
	s_and_saveexec_b32 s23, s22
	s_cbranch_execz .LBB6_560
.LBB6_559:
	v_and_b32_e32 v2, 0xffff, v4
	s_delay_alu instid0(VALU_DEP_1) | instskip(SKIP_1) | instid1(VALU_DEP_2)
	v_and_b32_e32 v3, 7, v2
	v_bfe_u32 v7, v2, 3, 4
	v_clz_i32_u32_e32 v5, v3
	s_delay_alu instid0(VALU_DEP_2) | instskip(NEXT) | instid1(VALU_DEP_2)
	v_cmp_eq_u32_e32 vcc_lo, 0, v7
	v_min_u32_e32 v5, 32, v5
	s_delay_alu instid0(VALU_DEP_1) | instskip(NEXT) | instid1(VALU_DEP_1)
	v_subrev_nc_u32_e32 v6, 28, v5
	v_dual_lshlrev_b32 v2, v6, v2 :: v_dual_sub_nc_u32 v5, 29, v5
	s_delay_alu instid0(VALU_DEP_1) | instskip(NEXT) | instid1(VALU_DEP_2)
	v_dual_lshlrev_b32 v4, 24, v4 :: v_dual_bitop2_b32 v2, 7, v2 bitop3:0x40
	v_cndmask_b32_e32 v5, v7, v5, vcc_lo
	s_delay_alu instid0(VALU_DEP_2) | instskip(NEXT) | instid1(VALU_DEP_3)
	v_cndmask_b32_e32 v2, v3, v2, vcc_lo
	v_and_b32_e32 v3, 0x80000000, v4
	s_delay_alu instid0(VALU_DEP_3) | instskip(NEXT) | instid1(VALU_DEP_3)
	v_lshl_add_u32 v4, v5, 23, 0x3b800000
	v_lshlrev_b32_e32 v2, 20, v2
	s_delay_alu instid0(VALU_DEP_1) | instskip(NEXT) | instid1(VALU_DEP_1)
	v_or3_b32 v2, v3, v4, v2
	v_cvt_f64_f32_e32 v[2:3], v2
.LBB6_560:
	s_or_b32 exec_lo, exec_lo, s23
.LBB6_561:
	s_mov_b32 s22, -1
.LBB6_562:
	s_mov_b32 s23, 0
.LBB6_563:
	s_delay_alu instid0(SALU_CYCLE_1)
	s_and_b32 vcc_lo, exec_lo, s23
	s_cbranch_vccz .LBB6_598
; %bb.564:
	s_cmp_gt_i32 s0, 22
	s_cbranch_scc0 .LBB6_574
; %bb.565:
	s_cmp_lt_i32 s0, 24
	s_cbranch_scc1 .LBB6_577
; %bb.566:
	s_cmp_gt_i32 s0, 24
	s_cbranch_scc0 .LBB6_578
; %bb.567:
	global_load_u8 v4, v[0:1], off
	s_mov_b32 s22, 0
	s_mov_b32 s23, exec_lo
	s_wait_loadcnt 0x0
	v_cmpx_lt_i16_e32 0x7f, v4
	s_xor_b32 s23, exec_lo, s23
	s_cbranch_execz .LBB6_590
; %bb.568:
	s_mov_b32 s22, -1
	s_mov_b32 s24, exec_lo
	v_cmpx_eq_u16_e32 0x80, v4
; %bb.569:
	s_xor_b32 s22, exec_lo, -1
; %bb.570:
	s_or_b32 exec_lo, exec_lo, s24
	s_delay_alu instid0(SALU_CYCLE_1)
	s_and_b32 s22, s22, exec_lo
	s_or_saveexec_b32 s23, s23
	v_mov_b64_e32 v[2:3], 0x7ff8000020000000
	s_xor_b32 exec_lo, exec_lo, s23
	s_cbranch_execnz .LBB6_591
.LBB6_571:
	s_or_b32 exec_lo, exec_lo, s23
	s_and_saveexec_b32 s23, s22
	s_cbranch_execz .LBB6_573
.LBB6_572:
	v_and_b32_e32 v2, 0xffff, v4
	s_delay_alu instid0(VALU_DEP_1) | instskip(SKIP_1) | instid1(VALU_DEP_2)
	v_and_b32_e32 v3, 3, v2
	v_bfe_u32 v7, v2, 2, 5
	v_clz_i32_u32_e32 v5, v3
	s_delay_alu instid0(VALU_DEP_2) | instskip(NEXT) | instid1(VALU_DEP_2)
	v_cmp_eq_u32_e32 vcc_lo, 0, v7
	v_min_u32_e32 v5, 32, v5
	s_delay_alu instid0(VALU_DEP_1) | instskip(NEXT) | instid1(VALU_DEP_1)
	v_subrev_nc_u32_e32 v6, 29, v5
	v_dual_lshlrev_b32 v2, v6, v2 :: v_dual_sub_nc_u32 v5, 30, v5
	s_delay_alu instid0(VALU_DEP_1) | instskip(NEXT) | instid1(VALU_DEP_2)
	v_dual_lshlrev_b32 v4, 24, v4 :: v_dual_bitop2_b32 v2, 3, v2 bitop3:0x40
	v_cndmask_b32_e32 v5, v7, v5, vcc_lo
	s_delay_alu instid0(VALU_DEP_2) | instskip(NEXT) | instid1(VALU_DEP_3)
	v_cndmask_b32_e32 v2, v3, v2, vcc_lo
	v_and_b32_e32 v3, 0x80000000, v4
	s_delay_alu instid0(VALU_DEP_3) | instskip(NEXT) | instid1(VALU_DEP_3)
	v_lshl_add_u32 v4, v5, 23, 0x37800000
	v_lshlrev_b32_e32 v2, 21, v2
	s_delay_alu instid0(VALU_DEP_1) | instskip(NEXT) | instid1(VALU_DEP_1)
	v_or3_b32 v2, v3, v4, v2
	v_cvt_f64_f32_e32 v[2:3], v2
.LBB6_573:
	s_or_b32 exec_lo, exec_lo, s23
	s_mov_b32 s22, 0
	s_branch .LBB6_579
.LBB6_574:
	s_mov_b32 s23, -1
                                        ; implicit-def: $vgpr2_vgpr3
	s_branch .LBB6_585
.LBB6_575:
	s_or_saveexec_b32 s23, s23
	v_mov_b64_e32 v[2:3], 0x7ff8000020000000
	s_xor_b32 exec_lo, exec_lo, s23
	s_cbranch_execz .LBB6_558
.LBB6_576:
	v_cmp_ne_u16_e32 vcc_lo, 0, v4
	v_mov_b64_e32 v[2:3], 0
	s_and_not1_b32 s22, s22, exec_lo
	s_and_b32 s24, vcc_lo, exec_lo
	s_delay_alu instid0(SALU_CYCLE_1)
	s_or_b32 s22, s22, s24
	s_or_b32 exec_lo, exec_lo, s23
	s_and_saveexec_b32 s23, s22
	s_cbranch_execnz .LBB6_559
	s_branch .LBB6_560
.LBB6_577:
	s_mov_b32 s22, -1
                                        ; implicit-def: $vgpr2_vgpr3
	s_branch .LBB6_582
.LBB6_578:
	s_mov_b32 s22, -1
                                        ; implicit-def: $vgpr2_vgpr3
.LBB6_579:
	s_delay_alu instid0(SALU_CYCLE_1)
	s_and_b32 vcc_lo, exec_lo, s22
	s_cbranch_vccz .LBB6_581
; %bb.580:
	s_wait_loadcnt 0x0
	global_load_u8 v2, v[0:1], off
	s_wait_loadcnt 0x0
	v_lshlrev_b32_e32 v2, 24, v2
	s_delay_alu instid0(VALU_DEP_1) | instskip(NEXT) | instid1(VALU_DEP_1)
	v_and_b32_e32 v3, 0x7f000000, v2
	v_clz_i32_u32_e32 v4, v3
	v_cmp_ne_u32_e32 vcc_lo, 0, v3
	v_add_nc_u32_e32 v6, 0x1000000, v3
	s_delay_alu instid0(VALU_DEP_3) | instskip(NEXT) | instid1(VALU_DEP_1)
	v_min_u32_e32 v4, 32, v4
	v_sub_nc_u32_e64 v4, v4, 4 clamp
	s_delay_alu instid0(VALU_DEP_1) | instskip(NEXT) | instid1(VALU_DEP_1)
	v_dual_lshlrev_b32 v5, v4, v3 :: v_dual_lshlrev_b32 v4, 23, v4
	v_lshrrev_b32_e32 v5, 4, v5
	s_delay_alu instid0(VALU_DEP_1) | instskip(NEXT) | instid1(VALU_DEP_1)
	v_dual_sub_nc_u32 v4, v5, v4 :: v_dual_ashrrev_i32 v5, 8, v6
	v_add_nc_u32_e32 v4, 0x3c000000, v4
	s_delay_alu instid0(VALU_DEP_1) | instskip(NEXT) | instid1(VALU_DEP_1)
	v_and_or_b32 v4, 0x7f800000, v5, v4
	v_cndmask_b32_e32 v3, 0, v4, vcc_lo
	s_delay_alu instid0(VALU_DEP_1) | instskip(NEXT) | instid1(VALU_DEP_1)
	v_and_or_b32 v2, 0x80000000, v2, v3
	v_cvt_f64_f32_e32 v[2:3], v2
.LBB6_581:
	s_mov_b32 s22, 0
.LBB6_582:
	s_delay_alu instid0(SALU_CYCLE_1)
	s_and_not1_b32 vcc_lo, exec_lo, s22
	s_cbranch_vccnz .LBB6_584
; %bb.583:
	s_wait_loadcnt 0x0
	global_load_u8 v2, v[0:1], off
	s_wait_loadcnt 0x0
	v_lshlrev_b32_e32 v3, 25, v2
	v_lshlrev_b16 v2, 8, v2
	s_delay_alu instid0(VALU_DEP_1) | instskip(SKIP_1) | instid1(VALU_DEP_2)
	v_and_or_b32 v5, 0x7f00, v2, 0.5
	v_bfe_i32 v2, v2, 0, 16
	v_dual_add_f32 v5, -0.5, v5 :: v_dual_lshrrev_b32 v4, 4, v3
	v_cmp_gt_u32_e32 vcc_lo, 0x8000000, v3
	s_delay_alu instid0(VALU_DEP_2) | instskip(NEXT) | instid1(VALU_DEP_1)
	v_or_b32_e32 v4, 0x70000000, v4
	v_mul_f32_e32 v4, 0x7800000, v4
	s_delay_alu instid0(VALU_DEP_1) | instskip(NEXT) | instid1(VALU_DEP_1)
	v_cndmask_b32_e32 v3, v4, v5, vcc_lo
	v_and_or_b32 v2, 0x80000000, v2, v3
	s_delay_alu instid0(VALU_DEP_1)
	v_cvt_f64_f32_e32 v[2:3], v2
.LBB6_584:
	s_mov_b32 s23, 0
	s_mov_b32 s22, -1
.LBB6_585:
	s_and_not1_b32 vcc_lo, exec_lo, s23
	s_cbranch_vccnz .LBB6_598
; %bb.586:
	s_cmp_gt_i32 s0, 14
	s_cbranch_scc0 .LBB6_589
; %bb.587:
	s_cmp_eq_u32 s0, 15
	s_cbranch_scc0 .LBB6_592
; %bb.588:
	s_wait_loadcnt 0x0
	global_load_u16 v2, v[0:1], off
	s_mov_b32 s22, -1
	s_mov_b32 s21, 0
	s_wait_loadcnt 0x0
	v_lshlrev_b32_e32 v2, 16, v2
	s_delay_alu instid0(VALU_DEP_1)
	v_cvt_f64_f32_e32 v[2:3], v2
	s_branch .LBB6_593
.LBB6_589:
	s_mov_b32 s23, -1
                                        ; implicit-def: $vgpr2_vgpr3
	s_branch .LBB6_594
.LBB6_590:
	s_or_saveexec_b32 s23, s23
	v_mov_b64_e32 v[2:3], 0x7ff8000020000000
	s_xor_b32 exec_lo, exec_lo, s23
	s_cbranch_execz .LBB6_571
.LBB6_591:
	v_cmp_ne_u16_e32 vcc_lo, 0, v4
	v_mov_b64_e32 v[2:3], 0
	s_and_not1_b32 s22, s22, exec_lo
	s_and_b32 s24, vcc_lo, exec_lo
	s_delay_alu instid0(SALU_CYCLE_1)
	s_or_b32 s22, s22, s24
	s_or_b32 exec_lo, exec_lo, s23
	s_and_saveexec_b32 s23, s22
	s_cbranch_execnz .LBB6_572
	s_branch .LBB6_573
.LBB6_592:
	s_mov_b32 s21, -1
                                        ; implicit-def: $vgpr2_vgpr3
.LBB6_593:
	s_mov_b32 s23, 0
.LBB6_594:
	s_delay_alu instid0(SALU_CYCLE_1)
	s_and_b32 vcc_lo, exec_lo, s23
	s_cbranch_vccz .LBB6_598
; %bb.595:
	s_cmp_eq_u32 s0, 11
	s_cbranch_scc0 .LBB6_597
; %bb.596:
	s_wait_loadcnt 0x0
	global_load_u8 v2, v[0:1], off
	s_mov_b32 s21, 0
	s_mov_b32 s22, -1
	s_wait_loadcnt 0x0
	v_cmp_ne_u16_e32 vcc_lo, 0, v2
	v_mov_b32_e32 v2, 0
	v_cndmask_b32_e64 v3, 0, 0x3ff00000, vcc_lo
	s_branch .LBB6_598
.LBB6_597:
	s_mov_b32 s21, -1
                                        ; implicit-def: $vgpr2_vgpr3
.LBB6_598:
	s_mov_b32 s23, 0
.LBB6_599:
	s_delay_alu instid0(SALU_CYCLE_1)
	s_and_b32 vcc_lo, exec_lo, s23
	s_cbranch_vccz .LBB6_648
; %bb.600:
	s_cmp_lt_i32 s0, 5
	s_cbranch_scc1 .LBB6_605
; %bb.601:
	s_cmp_lt_i32 s0, 8
	s_cbranch_scc1 .LBB6_606
	;; [unrolled: 3-line block ×3, first 2 shown]
; %bb.603:
	s_cmp_gt_i32 s0, 9
	s_cbranch_scc0 .LBB6_608
; %bb.604:
	s_wait_loadcnt 0x0
	global_load_b64 v[2:3], v[0:1], off
	s_mov_b32 s22, 0
	s_branch .LBB6_609
.LBB6_605:
	s_mov_b32 s22, -1
                                        ; implicit-def: $vgpr2_vgpr3
	s_branch .LBB6_627
.LBB6_606:
	s_mov_b32 s22, -1
                                        ; implicit-def: $vgpr2_vgpr3
	s_branch .LBB6_615
.LBB6_607:
	s_mov_b32 s22, -1
                                        ; implicit-def: $vgpr2_vgpr3
	s_branch .LBB6_612
.LBB6_608:
	s_mov_b32 s22, -1
                                        ; implicit-def: $vgpr2_vgpr3
.LBB6_609:
	s_delay_alu instid0(SALU_CYCLE_1)
	s_and_not1_b32 vcc_lo, exec_lo, s22
	s_cbranch_vccnz .LBB6_611
; %bb.610:
	s_wait_loadcnt 0x0
	global_load_b32 v2, v[0:1], off
	s_wait_loadcnt 0x0
	v_cvt_f64_f32_e32 v[2:3], v2
.LBB6_611:
	s_mov_b32 s22, 0
.LBB6_612:
	s_delay_alu instid0(SALU_CYCLE_1)
	s_and_not1_b32 vcc_lo, exec_lo, s22
	s_cbranch_vccnz .LBB6_614
; %bb.613:
	s_wait_loadcnt 0x0
	global_load_b32 v2, v[0:1], off
	s_wait_loadcnt 0x0
	v_cvt_f32_f16_e32 v2, v2
	s_delay_alu instid0(VALU_DEP_1)
	v_cvt_f64_f32_e32 v[2:3], v2
.LBB6_614:
	s_mov_b32 s22, 0
.LBB6_615:
	s_delay_alu instid0(SALU_CYCLE_1)
	s_and_not1_b32 vcc_lo, exec_lo, s22
	s_cbranch_vccnz .LBB6_626
; %bb.616:
	s_cmp_lt_i32 s0, 6
	s_cbranch_scc1 .LBB6_619
; %bb.617:
	s_cmp_gt_i32 s0, 6
	s_cbranch_scc0 .LBB6_620
; %bb.618:
	s_wait_loadcnt 0x0
	global_load_b64 v[2:3], v[0:1], off
	s_mov_b32 s22, 0
	s_branch .LBB6_621
.LBB6_619:
	s_mov_b32 s22, -1
                                        ; implicit-def: $vgpr2_vgpr3
	s_branch .LBB6_624
.LBB6_620:
	s_mov_b32 s22, -1
                                        ; implicit-def: $vgpr2_vgpr3
.LBB6_621:
	s_delay_alu instid0(SALU_CYCLE_1)
	s_and_not1_b32 vcc_lo, exec_lo, s22
	s_cbranch_vccnz .LBB6_623
; %bb.622:
	s_wait_loadcnt 0x0
	global_load_b32 v2, v[0:1], off
	s_wait_loadcnt 0x0
	v_cvt_f64_f32_e32 v[2:3], v2
.LBB6_623:
	s_mov_b32 s22, 0
.LBB6_624:
	s_delay_alu instid0(SALU_CYCLE_1)
	s_and_not1_b32 vcc_lo, exec_lo, s22
	s_cbranch_vccnz .LBB6_626
; %bb.625:
	s_wait_loadcnt 0x0
	global_load_u16 v2, v[0:1], off
	s_wait_loadcnt 0x0
	v_cvt_f32_f16_e32 v2, v2
	s_delay_alu instid0(VALU_DEP_1)
	v_cvt_f64_f32_e32 v[2:3], v2
.LBB6_626:
	s_mov_b32 s22, 0
.LBB6_627:
	s_delay_alu instid0(SALU_CYCLE_1)
	s_and_not1_b32 vcc_lo, exec_lo, s22
	s_cbranch_vccnz .LBB6_647
; %bb.628:
	s_cmp_lt_i32 s0, 2
	s_cbranch_scc1 .LBB6_632
; %bb.629:
	s_cmp_lt_i32 s0, 3
	s_cbranch_scc1 .LBB6_633
; %bb.630:
	s_cmp_gt_i32 s0, 3
	s_cbranch_scc0 .LBB6_634
; %bb.631:
	s_wait_loadcnt 0x0
	global_load_b64 v[2:3], v[0:1], off
	s_mov_b32 s22, 0
	s_wait_loadcnt 0x0
	v_cvt_f64_i32_e32 v[4:5], v3
	v_cvt_f64_u32_e32 v[2:3], v2
	s_delay_alu instid0(VALU_DEP_2) | instskip(NEXT) | instid1(VALU_DEP_1)
	v_ldexp_f64 v[4:5], v[4:5], 32
	v_add_f64_e32 v[2:3], v[4:5], v[2:3]
	s_branch .LBB6_635
.LBB6_632:
	s_mov_b32 s22, -1
                                        ; implicit-def: $vgpr2_vgpr3
	s_branch .LBB6_641
.LBB6_633:
	s_mov_b32 s22, -1
                                        ; implicit-def: $vgpr2_vgpr3
	s_branch .LBB6_638
.LBB6_634:
	s_mov_b32 s22, -1
                                        ; implicit-def: $vgpr2_vgpr3
.LBB6_635:
	s_delay_alu instid0(SALU_CYCLE_1)
	s_and_not1_b32 vcc_lo, exec_lo, s22
	s_cbranch_vccnz .LBB6_637
; %bb.636:
	s_wait_loadcnt 0x0
	global_load_b32 v2, v[0:1], off
	s_wait_loadcnt 0x0
	v_cvt_f64_i32_e32 v[2:3], v2
.LBB6_637:
	s_mov_b32 s22, 0
.LBB6_638:
	s_delay_alu instid0(SALU_CYCLE_1)
	s_and_not1_b32 vcc_lo, exec_lo, s22
	s_cbranch_vccnz .LBB6_640
; %bb.639:
	s_wait_loadcnt 0x0
	global_load_i16 v2, v[0:1], off
	s_wait_loadcnt 0x0
	v_cvt_f64_i32_e32 v[2:3], v2
.LBB6_640:
	s_mov_b32 s22, 0
.LBB6_641:
	s_delay_alu instid0(SALU_CYCLE_1)
	s_and_not1_b32 vcc_lo, exec_lo, s22
	s_cbranch_vccnz .LBB6_647
; %bb.642:
	s_cmp_gt_i32 s0, 0
	s_mov_b32 s0, 0
	s_cbranch_scc0 .LBB6_644
; %bb.643:
	s_wait_loadcnt 0x0
	global_load_i8 v2, v[0:1], off
	s_wait_loadcnt 0x0
	v_cvt_f64_i32_e32 v[2:3], v2
	s_branch .LBB6_645
.LBB6_644:
	s_mov_b32 s0, -1
                                        ; implicit-def: $vgpr2_vgpr3
.LBB6_645:
	s_delay_alu instid0(SALU_CYCLE_1)
	s_and_not1_b32 vcc_lo, exec_lo, s0
	s_cbranch_vccnz .LBB6_647
; %bb.646:
	global_load_u8 v0, v[0:1], off
	s_wait_loadcnt 0x0
	v_cvt_f64_u32_e32 v[2:3], v0
.LBB6_647:
	s_mov_b32 s22, -1
.LBB6_648:
	s_delay_alu instid0(SALU_CYCLE_1)
	s_and_not1_b32 vcc_lo, exec_lo, s22
	s_cbranch_vccnz .LBB6_656
; %bb.649:
	s_wait_loadcnt 0x0
	s_delay_alu instid0(VALU_DEP_1)
	v_cmp_nge_f64_e64 s0, v[2:3], -s[10:11]
	v_cmp_nge_f64_e32 vcc_lo, s[10:11], v[2:3]
	s_wait_xcnt 0x0
	v_mul_lo_u32 v0, v10, s8
	s_and_b32 s22, s2, 0xff
	s_mov_b32 s24, 0
	s_mov_b32 s23, -1
	s_or_b32 vcc_lo, s0, vcc_lo
	s_delay_alu instid0(VALU_DEP_1) | instskip(SKIP_2) | instid1(VALU_DEP_1)
	v_ashrrev_i32_e32 v1, 31, v0
	s_cmp_lt_i32 s22, 11
	s_mov_b32 s0, s18
	v_add_nc_u64_e32 v[4:5], s[4:5], v[0:1]
	v_dual_cndmask_b32 v1, 0, v3 :: v_dual_cndmask_b32 v0, 0, v2
	s_cbranch_scc1 .LBB6_657
; %bb.650:
	s_and_b32 s23, 0xffff, s22
	s_delay_alu instid0(SALU_CYCLE_1)
	s_cmp_gt_i32 s23, 25
	s_cbranch_scc0 .LBB6_698
; %bb.651:
	s_cmp_gt_i32 s23, 28
	s_cbranch_scc0 .LBB6_699
; %bb.652:
	;; [unrolled: 3-line block ×4, first 2 shown]
	s_mov_b32 s25, 0
	s_mov_b32 s0, -1
	s_cmp_eq_u32 s23, 46
	s_cbranch_scc0 .LBB6_702
; %bb.655:
	v_cvt_f32_f64_e32 v2, v[0:1]
	s_mov_b32 s24, -1
	s_mov_b32 s0, 0
	s_delay_alu instid0(VALU_DEP_1) | instskip(SKIP_1) | instid1(VALU_DEP_2)
	v_bfe_u32 v3, v2, 16, 1
	v_cmp_o_f32_e32 vcc_lo, v2, v2
	v_add3_u32 v3, v2, v3, 0x7fff
	s_delay_alu instid0(VALU_DEP_1) | instskip(NEXT) | instid1(VALU_DEP_1)
	v_lshrrev_b32_e32 v3, 16, v3
	v_cndmask_b32_e32 v2, 0x7fc0, v3, vcc_lo
	global_store_b32 v[4:5], v2, off
	s_branch .LBB6_702
.LBB6_656:
	s_mov_b32 s22, 0
	s_mov_b32 s0, s18
	s_branch .LBB6_697
.LBB6_657:
	s_and_b32 vcc_lo, exec_lo, s23
	s_cbranch_vccz .LBB6_771
; %bb.658:
	s_and_b32 s22, 0xffff, s22
	s_mov_b32 s23, -1
	s_cmp_lt_i32 s22, 5
	s_cbranch_scc1 .LBB6_679
; %bb.659:
	s_cmp_lt_i32 s22, 8
	s_cbranch_scc1 .LBB6_669
; %bb.660:
	;; [unrolled: 3-line block ×3, first 2 shown]
	s_cmp_gt_i32 s22, 9
	s_cbranch_scc0 .LBB6_663
; %bb.662:
	s_wait_xcnt 0x0
	v_mov_b32_e32 v2, 0
	s_mov_b32 s23, 0
	s_delay_alu instid0(VALU_DEP_1)
	v_mov_b32_e32 v3, v2
	global_store_b128 v[4:5], v[0:3], off
.LBB6_663:
	s_and_not1_b32 vcc_lo, exec_lo, s23
	s_cbranch_vccnz .LBB6_665
; %bb.664:
	s_wait_xcnt 0x0
	v_cvt_f32_f64_e32 v2, v[0:1]
	v_mov_b32_e32 v3, 0
	global_store_b64 v[4:5], v[2:3], off
.LBB6_665:
	s_mov_b32 s23, 0
.LBB6_666:
	s_delay_alu instid0(SALU_CYCLE_1)
	s_and_not1_b32 vcc_lo, exec_lo, s23
	s_cbranch_vccnz .LBB6_668
; %bb.667:
	s_wait_xcnt 0x0
	v_and_or_b32 v2, 0x1ff, v1, v0
	v_lshrrev_b32_e32 v3, 8, v1
	v_bfe_u32 v6, v1, 20, 11
	s_delay_alu instid0(VALU_DEP_3) | instskip(NEXT) | instid1(VALU_DEP_2)
	v_cmp_ne_u32_e32 vcc_lo, 0, v2
	v_sub_nc_u32_e32 v7, 0x3f1, v6
	v_cndmask_b32_e64 v2, 0, 1, vcc_lo
	s_delay_alu instid0(VALU_DEP_1) | instskip(NEXT) | instid1(VALU_DEP_3)
	v_and_or_b32 v2, 0xffe, v3, v2
	v_med3_i32 v3, v7, 0, 13
	s_delay_alu instid0(VALU_DEP_2) | instskip(NEXT) | instid1(VALU_DEP_1)
	v_or_b32_e32 v7, 0x1000, v2
	v_lshrrev_b32_e32 v8, v3, v7
	s_delay_alu instid0(VALU_DEP_1) | instskip(NEXT) | instid1(VALU_DEP_1)
	v_lshlrev_b32_e32 v3, v3, v8
	v_cmp_ne_u32_e32 vcc_lo, v3, v7
	v_cndmask_b32_e64 v3, 0, 1, vcc_lo
	s_delay_alu instid0(VALU_DEP_1) | instskip(SKIP_1) | instid1(VALU_DEP_1)
	v_or_b32_e32 v3, v8, v3
	v_add_nc_u32_e32 v6, 0xfffffc10, v6
	v_lshl_or_b32 v7, v6, 12, v2
	v_cmp_gt_i32_e32 vcc_lo, 1, v6
	s_delay_alu instid0(VALU_DEP_2) | instskip(NEXT) | instid1(VALU_DEP_1)
	v_cndmask_b32_e32 v3, v7, v3, vcc_lo
	v_dual_lshrrev_b32 v3, 2, v3 :: v_dual_bitop2_b32 v7, 7, v3 bitop3:0x40
	s_delay_alu instid0(VALU_DEP_1) | instskip(SKIP_4) | instid1(VALU_DEP_2)
	v_cmp_lt_i32_e32 vcc_lo, 5, v7
	v_cndmask_b32_e64 v8, 0, 1, vcc_lo
	v_cmp_eq_u32_e32 vcc_lo, 3, v7
	v_cndmask_b32_e64 v7, 0, 1, vcc_lo
	v_cmp_ne_u32_e32 vcc_lo, 0, v2
	v_or_b32_e32 v7, v7, v8
	s_delay_alu instid0(VALU_DEP_1) | instskip(NEXT) | instid1(VALU_DEP_1)
	v_dual_mov_b32 v8, 0x7e00 :: v_dual_add_nc_u32 v3, v3, v7
	v_cndmask_b32_e32 v2, 0x7c00, v8, vcc_lo
	v_cmp_gt_i32_e32 vcc_lo, 31, v6
	v_lshrrev_b32_e32 v7, 16, v1
	s_delay_alu instid0(VALU_DEP_4) | instskip(SKIP_1) | instid1(VALU_DEP_2)
	v_cndmask_b32_e32 v3, 0x7c00, v3, vcc_lo
	v_cmp_eq_u32_e32 vcc_lo, 0x40f, v6
	v_cndmask_b32_e32 v2, v3, v2, vcc_lo
	s_delay_alu instid0(VALU_DEP_4) | instskip(NEXT) | instid1(VALU_DEP_1)
	v_and_b32_e32 v3, 0x8000, v7
	v_bitop3_b32 v2, v3, 0xffff, v2 bitop3:0xc8
	global_store_b32 v[4:5], v2, off
.LBB6_668:
	s_mov_b32 s23, 0
.LBB6_669:
	s_delay_alu instid0(SALU_CYCLE_1)
	s_and_not1_b32 vcc_lo, exec_lo, s23
	s_cbranch_vccnz .LBB6_678
; %bb.670:
	s_cmp_lt_i32 s22, 6
	s_mov_b32 s23, -1
	s_cbranch_scc1 .LBB6_676
; %bb.671:
	s_cmp_gt_i32 s22, 6
	s_cbranch_scc0 .LBB6_673
; %bb.672:
	s_mov_b32 s23, 0
	global_store_b64 v[4:5], v[0:1], off
.LBB6_673:
	s_and_not1_b32 vcc_lo, exec_lo, s23
	s_cbranch_vccnz .LBB6_675
; %bb.674:
	s_wait_xcnt 0x0
	v_cvt_f32_f64_e32 v2, v[0:1]
	global_store_b32 v[4:5], v2, off
.LBB6_675:
	s_mov_b32 s23, 0
.LBB6_676:
	s_delay_alu instid0(SALU_CYCLE_1)
	s_and_not1_b32 vcc_lo, exec_lo, s23
	s_cbranch_vccnz .LBB6_678
; %bb.677:
	s_wait_xcnt 0x0
	v_and_or_b32 v2, 0x1ff, v1, v0
	v_lshrrev_b32_e32 v3, 8, v1
	v_bfe_u32 v6, v1, 20, 11
	s_delay_alu instid0(VALU_DEP_3) | instskip(NEXT) | instid1(VALU_DEP_2)
	v_cmp_ne_u32_e32 vcc_lo, 0, v2
	v_sub_nc_u32_e32 v7, 0x3f1, v6
	v_cndmask_b32_e64 v2, 0, 1, vcc_lo
	s_delay_alu instid0(VALU_DEP_1) | instskip(NEXT) | instid1(VALU_DEP_3)
	v_and_or_b32 v2, 0xffe, v3, v2
	v_med3_i32 v3, v7, 0, 13
	s_delay_alu instid0(VALU_DEP_2) | instskip(NEXT) | instid1(VALU_DEP_1)
	v_or_b32_e32 v7, 0x1000, v2
	v_lshrrev_b32_e32 v8, v3, v7
	s_delay_alu instid0(VALU_DEP_1) | instskip(NEXT) | instid1(VALU_DEP_1)
	v_lshlrev_b32_e32 v3, v3, v8
	v_cmp_ne_u32_e32 vcc_lo, v3, v7
	v_cndmask_b32_e64 v3, 0, 1, vcc_lo
	s_delay_alu instid0(VALU_DEP_1) | instskip(SKIP_1) | instid1(VALU_DEP_1)
	v_or_b32_e32 v3, v8, v3
	v_add_nc_u32_e32 v6, 0xfffffc10, v6
	v_lshl_or_b32 v7, v6, 12, v2
	v_cmp_gt_i32_e32 vcc_lo, 1, v6
	s_delay_alu instid0(VALU_DEP_2) | instskip(NEXT) | instid1(VALU_DEP_1)
	v_cndmask_b32_e32 v3, v7, v3, vcc_lo
	v_dual_lshrrev_b32 v3, 2, v3 :: v_dual_bitop2_b32 v7, 7, v3 bitop3:0x40
	s_delay_alu instid0(VALU_DEP_1) | instskip(SKIP_4) | instid1(VALU_DEP_2)
	v_cmp_lt_i32_e32 vcc_lo, 5, v7
	v_cndmask_b32_e64 v8, 0, 1, vcc_lo
	v_cmp_eq_u32_e32 vcc_lo, 3, v7
	v_cndmask_b32_e64 v7, 0, 1, vcc_lo
	v_cmp_ne_u32_e32 vcc_lo, 0, v2
	v_or_b32_e32 v7, v7, v8
	s_delay_alu instid0(VALU_DEP_1) | instskip(NEXT) | instid1(VALU_DEP_1)
	v_dual_mov_b32 v8, 0x7e00 :: v_dual_add_nc_u32 v3, v3, v7
	v_cndmask_b32_e32 v2, 0x7c00, v8, vcc_lo
	v_cmp_gt_i32_e32 vcc_lo, 31, v6
	s_delay_alu instid0(VALU_DEP_3) | instskip(SKIP_1) | instid1(VALU_DEP_2)
	v_cndmask_b32_e32 v3, 0x7c00, v3, vcc_lo
	v_cmp_eq_u32_e32 vcc_lo, 0x40f, v6
	v_dual_cndmask_b32 v2, v3, v2 :: v_dual_lshrrev_b32 v3, 16, v1
	s_delay_alu instid0(VALU_DEP_1)
	v_and_or_b32 v2, 0x8000, v3, v2
	global_store_b16 v[4:5], v2, off
.LBB6_678:
	s_mov_b32 s23, 0
.LBB6_679:
	s_delay_alu instid0(SALU_CYCLE_1)
	s_and_not1_b32 vcc_lo, exec_lo, s23
	s_cbranch_vccnz .LBB6_695
; %bb.680:
	s_cmp_lt_i32 s22, 2
	s_mov_b32 s23, -1
	s_cbranch_scc1 .LBB6_690
; %bb.681:
	s_cmp_lt_i32 s22, 3
	s_cbranch_scc1 .LBB6_687
; %bb.682:
	s_cmp_gt_i32 s22, 3
	s_cbranch_scc0 .LBB6_684
; %bb.683:
	s_wait_xcnt 0x0
	v_trunc_f64_e32 v[2:3], v[0:1]
	s_mov_b32 s23, 0
	s_delay_alu instid0(VALU_DEP_1) | instskip(NEXT) | instid1(VALU_DEP_1)
	v_ldexp_f64 v[6:7], v[2:3], 0xffffffe0
	v_floor_f64_e32 v[6:7], v[6:7]
	s_delay_alu instid0(VALU_DEP_1) | instskip(SKIP_1) | instid1(VALU_DEP_2)
	v_fmamk_f64 v[2:3], v[6:7], 0xc1f00000, v[2:3]
	v_cvt_i32_f64_e32 v7, v[6:7]
	v_cvt_u32_f64_e32 v6, v[2:3]
	global_store_b64 v[4:5], v[6:7], off
.LBB6_684:
	s_and_not1_b32 vcc_lo, exec_lo, s23
	s_cbranch_vccnz .LBB6_686
; %bb.685:
	s_wait_xcnt 0x0
	v_cvt_i32_f64_e32 v2, v[0:1]
	global_store_b32 v[4:5], v2, off
.LBB6_686:
	s_mov_b32 s23, 0
.LBB6_687:
	s_delay_alu instid0(SALU_CYCLE_1)
	s_and_not1_b32 vcc_lo, exec_lo, s23
	s_cbranch_vccnz .LBB6_689
; %bb.688:
	s_wait_xcnt 0x0
	v_cvt_i32_f64_e32 v2, v[0:1]
	global_store_b16 v[4:5], v2, off
.LBB6_689:
	s_mov_b32 s23, 0
.LBB6_690:
	s_delay_alu instid0(SALU_CYCLE_1)
	s_and_not1_b32 vcc_lo, exec_lo, s23
	s_cbranch_vccnz .LBB6_695
; %bb.691:
	s_cmp_gt_i32 s22, 0
	s_mov_b32 s22, -1
	s_cbranch_scc0 .LBB6_693
; %bb.692:
	s_wait_xcnt 0x0
	v_cvt_i32_f64_e32 v2, v[0:1]
	s_mov_b32 s22, 0
	global_store_b8 v[4:5], v2, off
.LBB6_693:
	s_and_not1_b32 vcc_lo, exec_lo, s22
	s_cbranch_vccnz .LBB6_695
; %bb.694:
	s_wait_xcnt 0x0
	v_trunc_f64_e32 v[0:1], v[0:1]
	s_delay_alu instid0(VALU_DEP_1) | instskip(NEXT) | instid1(VALU_DEP_1)
	v_ldexp_f64 v[2:3], v[0:1], 0xffffffe0
	v_floor_f64_e32 v[2:3], v[2:3]
	s_delay_alu instid0(VALU_DEP_1) | instskip(NEXT) | instid1(VALU_DEP_1)
	v_fmamk_f64 v[0:1], v[2:3], 0xc1f00000, v[0:1]
	v_cvt_u32_f64_e32 v0, v[0:1]
	global_store_b8 v[4:5], v0, off
.LBB6_695:
	s_branch .LBB6_772
.LBB6_696:
	s_mov_b32 s22, 0
.LBB6_697:
                                        ; implicit-def: $vgpr10
	s_branch .LBB6_773
.LBB6_698:
	s_mov_b32 s25, -1
	s_mov_b32 s0, s18
	s_branch .LBB6_729
.LBB6_699:
	s_mov_b32 s25, -1
	s_mov_b32 s0, s18
	s_branch .LBB6_712
.LBB6_700:
	s_mov_b32 s25, -1
	s_mov_b32 s0, s18
	s_branch .LBB6_708
.LBB6_701:
	s_mov_b32 s25, -1
	s_mov_b32 s0, s18
.LBB6_702:
	s_and_b32 vcc_lo, exec_lo, s25
	s_cbranch_vccz .LBB6_707
; %bb.703:
	s_cmp_eq_u32 s23, 44
	s_mov_b32 s0, -1
	s_cbranch_scc0 .LBB6_707
; %bb.704:
	s_wait_xcnt 0x0
	v_cvt_f32_f64_e32 v2, v[0:1]
	v_mov_b32_e32 v3, 0xff
	s_mov_b32 s24, exec_lo
	s_delay_alu instid0(VALU_DEP_2) | instskip(NEXT) | instid1(VALU_DEP_1)
	v_bfe_u32 v6, v2, 23, 8
	v_cmpx_ne_u32_e32 0xff, v6
	s_cbranch_execz .LBB6_706
; %bb.705:
	v_and_b32_e32 v3, 0x400000, v2
	v_and_or_b32 v6, 0x3fffff, v2, v6
	v_lshrrev_b32_e32 v2, 23, v2
	s_delay_alu instid0(VALU_DEP_3) | instskip(NEXT) | instid1(VALU_DEP_3)
	v_cmp_ne_u32_e32 vcc_lo, 0, v3
	v_cmp_ne_u32_e64 s0, 0, v6
	s_and_b32 s0, vcc_lo, s0
	s_delay_alu instid0(SALU_CYCLE_1) | instskip(NEXT) | instid1(VALU_DEP_1)
	v_cndmask_b32_e64 v3, 0, 1, s0
	v_add_nc_u32_e32 v3, v2, v3
.LBB6_706:
	s_or_b32 exec_lo, exec_lo, s24
	s_mov_b32 s24, -1
	s_mov_b32 s0, 0
	global_store_b8 v[4:5], v3, off
.LBB6_707:
	s_mov_b32 s25, 0
.LBB6_708:
	s_delay_alu instid0(SALU_CYCLE_1)
	s_and_b32 vcc_lo, exec_lo, s25
	s_cbranch_vccz .LBB6_711
; %bb.709:
	s_cmp_eq_u32 s23, 29
	s_mov_b32 s0, -1
	s_cbranch_scc0 .LBB6_711
; %bb.710:
	s_wait_xcnt 0x0
	v_trunc_f64_e32 v[2:3], v[0:1]
	s_mov_b32 s24, -1
	s_mov_b32 s0, 0
	s_mov_b32 s25, 0
	s_delay_alu instid0(VALU_DEP_1) | instskip(NEXT) | instid1(VALU_DEP_1)
	v_ldexp_f64 v[6:7], v[2:3], 0xffffffe0
	v_floor_f64_e32 v[6:7], v[6:7]
	s_delay_alu instid0(VALU_DEP_1) | instskip(SKIP_1) | instid1(VALU_DEP_2)
	v_fmamk_f64 v[2:3], v[6:7], 0xc1f00000, v[2:3]
	v_cvt_u32_f64_e32 v7, v[6:7]
	v_cvt_u32_f64_e32 v6, v[2:3]
	global_store_b64 v[4:5], v[6:7], off
	s_branch .LBB6_712
.LBB6_711:
	s_mov_b32 s25, 0
.LBB6_712:
	s_delay_alu instid0(SALU_CYCLE_1)
	s_and_b32 vcc_lo, exec_lo, s25
	s_cbranch_vccz .LBB6_728
; %bb.713:
	s_cmp_lt_i32 s23, 27
	s_mov_b32 s24, -1
	s_cbranch_scc1 .LBB6_719
; %bb.714:
	s_wait_xcnt 0x0
	v_cvt_u32_f64_e32 v2, v[0:1]
	s_cmp_gt_i32 s23, 27
	s_cbranch_scc0 .LBB6_716
; %bb.715:
	s_mov_b32 s24, 0
	global_store_b32 v[4:5], v2, off
.LBB6_716:
	s_and_not1_b32 vcc_lo, exec_lo, s24
	s_cbranch_vccnz .LBB6_718
; %bb.717:
	global_store_b16 v[4:5], v2, off
.LBB6_718:
	s_mov_b32 s24, 0
.LBB6_719:
	s_delay_alu instid0(SALU_CYCLE_1)
	s_and_not1_b32 vcc_lo, exec_lo, s24
	s_cbranch_vccnz .LBB6_727
; %bb.720:
	s_wait_xcnt 0x0
	v_cvt_f32_f64_e32 v2, v[0:1]
	v_mov_b32_e32 v6, 0x80
	s_mov_b32 s24, exec_lo
	s_delay_alu instid0(VALU_DEP_2) | instskip(NEXT) | instid1(VALU_DEP_1)
	v_and_b32_e32 v3, 0x7fffffff, v2
	v_cmpx_gt_u32_e32 0x43800000, v3
	s_cbranch_execz .LBB6_726
; %bb.721:
	v_cmp_lt_u32_e32 vcc_lo, 0x3bffffff, v3
	s_mov_b32 s25, 0
                                        ; implicit-def: $vgpr3
	s_and_saveexec_b32 s26, vcc_lo
	s_delay_alu instid0(SALU_CYCLE_1)
	s_xor_b32 s26, exec_lo, s26
	s_cbranch_execz .LBB6_787
; %bb.722:
	v_bfe_u32 v3, v2, 20, 1
	s_mov_b32 s25, exec_lo
	s_delay_alu instid0(VALU_DEP_1) | instskip(NEXT) | instid1(VALU_DEP_1)
	v_add3_u32 v3, v2, v3, 0x487ffff
	v_lshrrev_b32_e32 v3, 20, v3
	s_and_not1_saveexec_b32 s26, s26
	s_cbranch_execnz .LBB6_788
.LBB6_723:
	s_or_b32 exec_lo, exec_lo, s26
	v_mov_b32_e32 v6, 0
	s_and_saveexec_b32 s26, s25
.LBB6_724:
	v_lshrrev_b32_e32 v2, 24, v2
	s_delay_alu instid0(VALU_DEP_1)
	v_and_or_b32 v6, 0x80, v2, v3
.LBB6_725:
	s_or_b32 exec_lo, exec_lo, s26
.LBB6_726:
	s_delay_alu instid0(SALU_CYCLE_1)
	s_or_b32 exec_lo, exec_lo, s24
	global_store_b8 v[4:5], v6, off
.LBB6_727:
	s_mov_b32 s24, -1
.LBB6_728:
	s_mov_b32 s25, 0
.LBB6_729:
	s_delay_alu instid0(SALU_CYCLE_1)
	s_and_b32 vcc_lo, exec_lo, s25
	s_cbranch_vccz .LBB6_770
; %bb.730:
	s_cmp_gt_i32 s23, 22
	s_mov_b32 s25, -1
	s_cbranch_scc0 .LBB6_762
; %bb.731:
	s_cmp_lt_i32 s23, 24
	s_mov_b32 s24, -1
	s_cbranch_scc1 .LBB6_751
; %bb.732:
	s_cmp_gt_i32 s23, 24
	s_cbranch_scc0 .LBB6_740
; %bb.733:
	s_wait_xcnt 0x0
	v_cvt_f32_f64_e32 v2, v[0:1]
	v_mov_b32_e32 v6, 0x80
	s_mov_b32 s24, exec_lo
	s_delay_alu instid0(VALU_DEP_2) | instskip(NEXT) | instid1(VALU_DEP_1)
	v_and_b32_e32 v3, 0x7fffffff, v2
	v_cmpx_gt_u32_e32 0x47800000, v3
	s_cbranch_execz .LBB6_739
; %bb.734:
	v_cmp_lt_u32_e32 vcc_lo, 0x37ffffff, v3
	s_mov_b32 s25, 0
                                        ; implicit-def: $vgpr3
	s_and_saveexec_b32 s26, vcc_lo
	s_delay_alu instid0(SALU_CYCLE_1)
	s_xor_b32 s26, exec_lo, s26
	s_cbranch_execz .LBB6_790
; %bb.735:
	v_bfe_u32 v3, v2, 21, 1
	s_mov_b32 s25, exec_lo
	s_delay_alu instid0(VALU_DEP_1) | instskip(NEXT) | instid1(VALU_DEP_1)
	v_add3_u32 v3, v2, v3, 0x88fffff
	v_lshrrev_b32_e32 v3, 21, v3
	s_and_not1_saveexec_b32 s26, s26
	s_cbranch_execnz .LBB6_791
.LBB6_736:
	s_or_b32 exec_lo, exec_lo, s26
	v_mov_b32_e32 v6, 0
	s_and_saveexec_b32 s26, s25
.LBB6_737:
	v_lshrrev_b32_e32 v2, 24, v2
	s_delay_alu instid0(VALU_DEP_1)
	v_and_or_b32 v6, 0x80, v2, v3
.LBB6_738:
	s_or_b32 exec_lo, exec_lo, s26
.LBB6_739:
	s_delay_alu instid0(SALU_CYCLE_1)
	s_or_b32 exec_lo, exec_lo, s24
	s_mov_b32 s24, 0
	global_store_b8 v[4:5], v6, off
.LBB6_740:
	s_and_b32 vcc_lo, exec_lo, s24
	s_cbranch_vccz .LBB6_750
; %bb.741:
	s_wait_xcnt 0x0
	v_cvt_f32_f64_e32 v2, v[0:1]
	s_mov_b32 s24, exec_lo
                                        ; implicit-def: $vgpr3
	s_delay_alu instid0(VALU_DEP_1) | instskip(NEXT) | instid1(VALU_DEP_1)
	v_and_b32_e32 v6, 0x7fffffff, v2
	v_cmpx_gt_u32_e32 0x43f00000, v6
	s_xor_b32 s24, exec_lo, s24
	s_cbranch_execz .LBB6_747
; %bb.742:
	s_mov_b32 s25, exec_lo
                                        ; implicit-def: $vgpr3
	v_cmpx_lt_u32_e32 0x3c7fffff, v6
	s_xor_b32 s25, exec_lo, s25
; %bb.743:
	v_bfe_u32 v3, v2, 20, 1
	s_delay_alu instid0(VALU_DEP_1) | instskip(NEXT) | instid1(VALU_DEP_1)
	v_add3_u32 v3, v2, v3, 0x407ffff
	v_and_b32_e32 v6, 0xff00000, v3
	v_lshrrev_b32_e32 v3, 20, v3
	s_delay_alu instid0(VALU_DEP_2) | instskip(NEXT) | instid1(VALU_DEP_2)
	v_cmp_ne_u32_e32 vcc_lo, 0x7f00000, v6
	v_cndmask_b32_e32 v3, 0x7e, v3, vcc_lo
; %bb.744:
	s_and_not1_saveexec_b32 s25, s25
; %bb.745:
	v_add_f32_e64 v3, 0x46800000, |v2|
; %bb.746:
	s_or_b32 exec_lo, exec_lo, s25
                                        ; implicit-def: $vgpr6
.LBB6_747:
	s_and_not1_saveexec_b32 s24, s24
; %bb.748:
	v_mov_b32_e32 v3, 0x7f
	v_cmp_lt_u32_e32 vcc_lo, 0x7f800000, v6
	s_delay_alu instid0(VALU_DEP_2)
	v_cndmask_b32_e32 v3, 0x7e, v3, vcc_lo
; %bb.749:
	s_or_b32 exec_lo, exec_lo, s24
	v_lshrrev_b32_e32 v2, 24, v2
	s_delay_alu instid0(VALU_DEP_1)
	v_and_or_b32 v2, 0x80, v2, v3
	global_store_b8 v[4:5], v2, off
.LBB6_750:
	s_mov_b32 s24, 0
.LBB6_751:
	s_delay_alu instid0(SALU_CYCLE_1)
	s_and_not1_b32 vcc_lo, exec_lo, s24
	s_cbranch_vccnz .LBB6_761
; %bb.752:
	s_wait_xcnt 0x0
	v_cvt_f32_f64_e32 v2, v[0:1]
	s_mov_b32 s24, exec_lo
                                        ; implicit-def: $vgpr3
	s_delay_alu instid0(VALU_DEP_1) | instskip(NEXT) | instid1(VALU_DEP_1)
	v_and_b32_e32 v6, 0x7fffffff, v2
	v_cmpx_gt_u32_e32 0x47800000, v6
	s_xor_b32 s24, exec_lo, s24
	s_cbranch_execz .LBB6_758
; %bb.753:
	s_mov_b32 s25, exec_lo
                                        ; implicit-def: $vgpr3
	v_cmpx_lt_u32_e32 0x387fffff, v6
	s_xor_b32 s25, exec_lo, s25
; %bb.754:
	v_bfe_u32 v3, v2, 21, 1
	s_delay_alu instid0(VALU_DEP_1) | instskip(NEXT) | instid1(VALU_DEP_1)
	v_add3_u32 v3, v2, v3, 0x80fffff
	v_lshrrev_b32_e32 v3, 21, v3
; %bb.755:
	s_and_not1_saveexec_b32 s25, s25
; %bb.756:
	v_add_f32_e64 v3, 0x43000000, |v2|
; %bb.757:
	s_or_b32 exec_lo, exec_lo, s25
                                        ; implicit-def: $vgpr6
.LBB6_758:
	s_and_not1_saveexec_b32 s24, s24
; %bb.759:
	v_mov_b32_e32 v3, 0x7f
	v_cmp_lt_u32_e32 vcc_lo, 0x7f800000, v6
	s_delay_alu instid0(VALU_DEP_2)
	v_cndmask_b32_e32 v3, 0x7c, v3, vcc_lo
; %bb.760:
	s_or_b32 exec_lo, exec_lo, s24
	v_lshrrev_b32_e32 v2, 24, v2
	s_delay_alu instid0(VALU_DEP_1)
	v_and_or_b32 v2, 0x80, v2, v3
	global_store_b8 v[4:5], v2, off
.LBB6_761:
	s_mov_b32 s25, 0
	s_mov_b32 s24, -1
.LBB6_762:
	s_and_not1_b32 vcc_lo, exec_lo, s25
	s_cbranch_vccnz .LBB6_770
; %bb.763:
	s_cmp_gt_i32 s23, 14
	s_mov_b32 s25, -1
	s_cbranch_scc0 .LBB6_767
; %bb.764:
	s_cmp_eq_u32 s23, 15
	s_mov_b32 s0, -1
	s_cbranch_scc0 .LBB6_766
; %bb.765:
	s_wait_xcnt 0x0
	v_cvt_f32_f64_e32 v2, v[0:1]
	s_mov_b32 s24, -1
	s_mov_b32 s0, 0
	s_delay_alu instid0(VALU_DEP_1) | instskip(SKIP_1) | instid1(VALU_DEP_2)
	v_bfe_u32 v3, v2, 16, 1
	v_cmp_o_f32_e32 vcc_lo, v2, v2
	v_add3_u32 v3, v2, v3, 0x7fff
	s_delay_alu instid0(VALU_DEP_1) | instskip(NEXT) | instid1(VALU_DEP_1)
	v_lshrrev_b32_e32 v3, 16, v3
	v_cndmask_b32_e32 v2, 0x7fc0, v3, vcc_lo
	global_store_b16 v[4:5], v2, off
.LBB6_766:
	s_mov_b32 s25, 0
.LBB6_767:
	s_delay_alu instid0(SALU_CYCLE_1)
	s_and_b32 vcc_lo, exec_lo, s25
	s_cbranch_vccz .LBB6_770
; %bb.768:
	s_cmp_eq_u32 s23, 11
	s_mov_b32 s0, -1
	s_cbranch_scc0 .LBB6_770
; %bb.769:
	v_cmp_neq_f64_e32 vcc_lo, 0, v[0:1]
	s_mov_b32 s24, -1
	s_mov_b32 s0, 0
	s_wait_xcnt 0x0
	v_cndmask_b32_e64 v2, 0, 1, vcc_lo
	global_store_b8 v[4:5], v2, off
.LBB6_770:
.LBB6_771:
	s_and_not1_b32 vcc_lo, exec_lo, s24
	s_cbranch_vccnz .LBB6_696
.LBB6_772:
	v_add_nc_u32_e32 v10, 0x80, v10
	s_mov_b32 s22, -1
.LBB6_773:
	s_and_not1_b32 s23, s18, exec_lo
	s_and_b32 s0, s0, exec_lo
	s_and_not1_b32 s24, s17, exec_lo
	s_and_b32 s25, s21, exec_lo
	s_or_b32 s21, s23, s0
	s_or_b32 s0, s24, s25
	s_or_not1_b32 s22, s22, exec_lo
.LBB6_774:
	s_wait_xcnt 0x0
	s_or_b32 exec_lo, exec_lo, s20
	s_mov_b32 s23, 0
	s_mov_b32 s24, 0
	;; [unrolled: 1-line block ×3, first 2 shown]
                                        ; implicit-def: $vgpr0_vgpr1
                                        ; implicit-def: $vgpr2_vgpr3
	s_and_saveexec_b32 s20, s22
	s_cbranch_execz .LBB6_859
; %bb.775:
	v_cmp_gt_i32_e32 vcc_lo, s14, v10
	s_mov_b32 s22, 0
	s_mov_b32 s23, s0
	;; [unrolled: 1-line block ×3, first 2 shown]
                                        ; implicit-def: $vgpr0_vgpr1
                                        ; implicit-def: $vgpr2_vgpr3
	s_and_saveexec_b32 s14, vcc_lo
	s_cbranch_execz .LBB6_858
; %bb.776:
	v_mul_lo_u32 v0, v10, s9
	s_and_b32 s22, 0xffff, s3
	s_delay_alu instid0(SALU_CYCLE_1) | instskip(NEXT) | instid1(VALU_DEP_1)
	s_cmp_lt_i32 s22, 11
	v_ashrrev_i32_e32 v1, 31, v0
	s_delay_alu instid0(VALU_DEP_1)
	v_add_nc_u64_e32 v[0:1], s[6:7], v[0:1]
	s_cbranch_scc1 .LBB6_783
; %bb.777:
	s_cmp_gt_i32 s22, 25
	s_cbranch_scc0 .LBB6_784
; %bb.778:
	s_cmp_gt_i32 s22, 28
	s_cbranch_scc0 .LBB6_785
	;; [unrolled: 3-line block ×4, first 2 shown]
; %bb.781:
	s_cmp_eq_u32 s22, 46
	s_cbranch_scc0 .LBB6_792
; %bb.782:
	s_wait_loadcnt 0x0
	global_load_b32 v2, v[0:1], off
	s_mov_b32 s23, 0
	s_mov_b32 s25, -1
	s_wait_loadcnt 0x0
	v_lshlrev_b32_e32 v2, 16, v2
	s_delay_alu instid0(VALU_DEP_1)
	v_cvt_f64_f32_e32 v[2:3], v2
	s_branch .LBB6_794
.LBB6_783:
	s_mov_b32 s22, -1
	s_mov_b32 s23, s0
                                        ; implicit-def: $vgpr2_vgpr3
	s_branch .LBB6_857
.LBB6_784:
	s_mov_b32 s26, -1
	s_mov_b32 s23, s0
                                        ; implicit-def: $vgpr2_vgpr3
	s_branch .LBB6_823
.LBB6_785:
	s_mov_b32 s26, -1
	s_mov_b32 s23, s0
                                        ; implicit-def: $vgpr2_vgpr3
	s_branch .LBB6_804
.LBB6_786:
	s_mov_b32 s26, -1
	s_mov_b32 s23, s0
                                        ; implicit-def: $vgpr2_vgpr3
	s_branch .LBB6_799
.LBB6_787:
	s_and_not1_saveexec_b32 s26, s26
	s_cbranch_execz .LBB6_723
.LBB6_788:
	v_add_f32_e64 v3, 0x46000000, |v2|
	s_and_not1_b32 s25, s25, exec_lo
	s_delay_alu instid0(VALU_DEP_1) | instskip(NEXT) | instid1(VALU_DEP_1)
	v_and_b32_e32 v3, 0xff, v3
	v_cmp_ne_u32_e32 vcc_lo, 0, v3
	s_and_b32 s27, vcc_lo, exec_lo
	s_delay_alu instid0(SALU_CYCLE_1)
	s_or_b32 s25, s25, s27
	s_or_b32 exec_lo, exec_lo, s26
	v_mov_b32_e32 v6, 0
	s_and_saveexec_b32 s26, s25
	s_cbranch_execnz .LBB6_724
	s_branch .LBB6_725
.LBB6_789:
	s_mov_b32 s26, -1
	s_mov_b32 s23, s0
	s_branch .LBB6_793
.LBB6_790:
	s_and_not1_saveexec_b32 s26, s26
	s_cbranch_execz .LBB6_736
.LBB6_791:
	v_add_f32_e64 v3, 0x42800000, |v2|
	s_and_not1_b32 s25, s25, exec_lo
	s_delay_alu instid0(VALU_DEP_1) | instskip(NEXT) | instid1(VALU_DEP_1)
	v_and_b32_e32 v3, 0xff, v3
	v_cmp_ne_u32_e32 vcc_lo, 0, v3
	s_and_b32 s27, vcc_lo, exec_lo
	s_delay_alu instid0(SALU_CYCLE_1)
	s_or_b32 s25, s25, s27
	s_or_b32 exec_lo, exec_lo, s26
	v_mov_b32_e32 v6, 0
	s_and_saveexec_b32 s26, s25
	s_cbranch_execnz .LBB6_737
	s_branch .LBB6_738
.LBB6_792:
	s_mov_b32 s23, -1
.LBB6_793:
                                        ; implicit-def: $vgpr2_vgpr3
.LBB6_794:
	s_and_b32 vcc_lo, exec_lo, s26
	s_cbranch_vccz .LBB6_798
; %bb.795:
	s_cmp_eq_u32 s22, 44
	s_cbranch_scc0 .LBB6_797
; %bb.796:
	global_load_u8 v4, v[0:1], off
	s_mov_b32 s23, 0
	s_mov_b32 s25, -1
	s_wait_loadcnt 0x0
	v_cmp_ne_u32_e32 vcc_lo, 0xff, v4
	v_lshlrev_b32_e32 v2, 23, v4
	s_delay_alu instid0(VALU_DEP_1) | instskip(NEXT) | instid1(VALU_DEP_1)
	v_cvt_f64_f32_e32 v[2:3], v2
	v_cndmask_b32_e32 v2, 0x20000000, v2, vcc_lo
	s_delay_alu instid0(VALU_DEP_2) | instskip(SKIP_1) | instid1(VALU_DEP_2)
	v_cndmask_b32_e32 v3, 0x7ff80000, v3, vcc_lo
	v_cmp_ne_u32_e32 vcc_lo, 0, v4
	v_cndmask_b32_e32 v3, 0x38000000, v3, vcc_lo
	s_delay_alu instid0(VALU_DEP_4)
	v_cndmask_b32_e32 v2, 0, v2, vcc_lo
	s_branch .LBB6_798
.LBB6_797:
	s_mov_b32 s23, -1
                                        ; implicit-def: $vgpr2_vgpr3
.LBB6_798:
	s_mov_b32 s26, 0
.LBB6_799:
	s_delay_alu instid0(SALU_CYCLE_1)
	s_and_b32 vcc_lo, exec_lo, s26
	s_cbranch_vccz .LBB6_803
; %bb.800:
	s_cmp_eq_u32 s22, 29
	s_cbranch_scc0 .LBB6_802
; %bb.801:
	s_wait_loadcnt 0x0
	global_load_b64 v[2:3], v[0:1], off
	s_mov_b32 s23, 0
	s_mov_b32 s25, -1
	s_mov_b32 s26, 0
	s_wait_loadcnt 0x0
	v_cvt_f64_u32_e32 v[4:5], v3
	v_cvt_f64_u32_e32 v[2:3], v2
	s_delay_alu instid0(VALU_DEP_2) | instskip(NEXT) | instid1(VALU_DEP_1)
	v_ldexp_f64 v[4:5], v[4:5], 32
	v_add_f64_e32 v[2:3], v[4:5], v[2:3]
	s_branch .LBB6_804
.LBB6_802:
	s_mov_b32 s23, -1
                                        ; implicit-def: $vgpr2_vgpr3
.LBB6_803:
	s_mov_b32 s26, 0
.LBB6_804:
	s_delay_alu instid0(SALU_CYCLE_1)
	s_and_b32 vcc_lo, exec_lo, s26
	s_cbranch_vccz .LBB6_822
; %bb.805:
	s_cmp_lt_i32 s22, 27
	s_cbranch_scc1 .LBB6_808
; %bb.806:
	s_cmp_gt_i32 s22, 27
	s_cbranch_scc0 .LBB6_809
; %bb.807:
	s_wait_loadcnt 0x0
	global_load_b32 v2, v[0:1], off
	s_mov_b32 s25, 0
	s_wait_loadcnt 0x0
	v_cvt_f64_u32_e32 v[2:3], v2
	s_branch .LBB6_810
.LBB6_808:
	s_mov_b32 s25, -1
                                        ; implicit-def: $vgpr2_vgpr3
	s_branch .LBB6_813
.LBB6_809:
	s_mov_b32 s25, -1
                                        ; implicit-def: $vgpr2_vgpr3
.LBB6_810:
	s_delay_alu instid0(SALU_CYCLE_1)
	s_and_not1_b32 vcc_lo, exec_lo, s25
	s_cbranch_vccnz .LBB6_812
; %bb.811:
	s_wait_loadcnt 0x0
	global_load_u16 v2, v[0:1], off
	s_wait_loadcnt 0x0
	v_cvt_f64_u32_e32 v[2:3], v2
.LBB6_812:
	s_mov_b32 s25, 0
.LBB6_813:
	s_delay_alu instid0(SALU_CYCLE_1)
	s_and_not1_b32 vcc_lo, exec_lo, s25
	s_cbranch_vccnz .LBB6_821
; %bb.814:
	global_load_u8 v4, v[0:1], off
	s_mov_b32 s25, 0
	s_mov_b32 s26, exec_lo
	s_wait_loadcnt 0x0
	v_cmpx_lt_i16_e32 0x7f, v4
	s_xor_b32 s26, exec_lo, s26
	s_cbranch_execz .LBB6_835
; %bb.815:
	s_mov_b32 s25, -1
	s_mov_b32 s27, exec_lo
	v_cmpx_eq_u16_e32 0x80, v4
; %bb.816:
	s_xor_b32 s25, exec_lo, -1
; %bb.817:
	s_or_b32 exec_lo, exec_lo, s27
	s_delay_alu instid0(SALU_CYCLE_1)
	s_and_b32 s25, s25, exec_lo
	s_or_saveexec_b32 s26, s26
	v_mov_b64_e32 v[2:3], 0x7ff8000020000000
	s_xor_b32 exec_lo, exec_lo, s26
	s_cbranch_execnz .LBB6_836
.LBB6_818:
	s_or_b32 exec_lo, exec_lo, s26
	s_and_saveexec_b32 s26, s25
	s_cbranch_execz .LBB6_820
.LBB6_819:
	v_and_b32_e32 v2, 0xffff, v4
	s_delay_alu instid0(VALU_DEP_1) | instskip(SKIP_1) | instid1(VALU_DEP_2)
	v_and_b32_e32 v3, 7, v2
	v_bfe_u32 v7, v2, 3, 4
	v_clz_i32_u32_e32 v5, v3
	s_delay_alu instid0(VALU_DEP_2) | instskip(NEXT) | instid1(VALU_DEP_2)
	v_cmp_eq_u32_e32 vcc_lo, 0, v7
	v_min_u32_e32 v5, 32, v5
	s_delay_alu instid0(VALU_DEP_1) | instskip(NEXT) | instid1(VALU_DEP_1)
	v_subrev_nc_u32_e32 v6, 28, v5
	v_dual_lshlrev_b32 v2, v6, v2 :: v_dual_sub_nc_u32 v5, 29, v5
	s_delay_alu instid0(VALU_DEP_1) | instskip(NEXT) | instid1(VALU_DEP_2)
	v_dual_lshlrev_b32 v4, 24, v4 :: v_dual_bitop2_b32 v2, 7, v2 bitop3:0x40
	v_cndmask_b32_e32 v5, v7, v5, vcc_lo
	s_delay_alu instid0(VALU_DEP_2) | instskip(NEXT) | instid1(VALU_DEP_3)
	v_cndmask_b32_e32 v2, v3, v2, vcc_lo
	v_and_b32_e32 v3, 0x80000000, v4
	s_delay_alu instid0(VALU_DEP_3) | instskip(NEXT) | instid1(VALU_DEP_3)
	v_lshl_add_u32 v4, v5, 23, 0x3b800000
	v_lshlrev_b32_e32 v2, 20, v2
	s_delay_alu instid0(VALU_DEP_1) | instskip(NEXT) | instid1(VALU_DEP_1)
	v_or3_b32 v2, v3, v4, v2
	v_cvt_f64_f32_e32 v[2:3], v2
.LBB6_820:
	s_or_b32 exec_lo, exec_lo, s26
.LBB6_821:
	s_mov_b32 s25, -1
.LBB6_822:
	s_mov_b32 s26, 0
.LBB6_823:
	s_delay_alu instid0(SALU_CYCLE_1)
	s_and_b32 vcc_lo, exec_lo, s26
	s_cbranch_vccz .LBB6_856
; %bb.824:
	s_cmp_gt_i32 s22, 22
	s_cbranch_scc0 .LBB6_834
; %bb.825:
	s_cmp_lt_i32 s22, 24
	s_cbranch_scc1 .LBB6_837
; %bb.826:
	s_cmp_gt_i32 s22, 24
	s_cbranch_scc0 .LBB6_838
; %bb.827:
	global_load_u8 v4, v[0:1], off
	s_mov_b32 s25, exec_lo
	s_wait_loadcnt 0x0
	v_cmpx_lt_i16_e32 0x7f, v4
	s_xor_b32 s25, exec_lo, s25
	s_cbranch_execz .LBB6_850
; %bb.828:
	s_mov_b32 s24, -1
	s_mov_b32 s26, exec_lo
	v_cmpx_eq_u16_e32 0x80, v4
; %bb.829:
	s_xor_b32 s24, exec_lo, -1
; %bb.830:
	s_or_b32 exec_lo, exec_lo, s26
	s_delay_alu instid0(SALU_CYCLE_1)
	s_and_b32 s24, s24, exec_lo
	s_or_saveexec_b32 s25, s25
	v_mov_b64_e32 v[2:3], 0x7ff8000020000000
	s_xor_b32 exec_lo, exec_lo, s25
	s_cbranch_execnz .LBB6_851
.LBB6_831:
	s_or_b32 exec_lo, exec_lo, s25
	s_and_saveexec_b32 s25, s24
	s_cbranch_execz .LBB6_833
.LBB6_832:
	v_and_b32_e32 v2, 0xffff, v4
	s_delay_alu instid0(VALU_DEP_1) | instskip(SKIP_1) | instid1(VALU_DEP_2)
	v_and_b32_e32 v3, 3, v2
	v_bfe_u32 v7, v2, 2, 5
	v_clz_i32_u32_e32 v5, v3
	s_delay_alu instid0(VALU_DEP_2) | instskip(NEXT) | instid1(VALU_DEP_2)
	v_cmp_eq_u32_e32 vcc_lo, 0, v7
	v_min_u32_e32 v5, 32, v5
	s_delay_alu instid0(VALU_DEP_1) | instskip(NEXT) | instid1(VALU_DEP_1)
	v_subrev_nc_u32_e32 v6, 29, v5
	v_dual_lshlrev_b32 v2, v6, v2 :: v_dual_sub_nc_u32 v5, 30, v5
	s_delay_alu instid0(VALU_DEP_1) | instskip(NEXT) | instid1(VALU_DEP_2)
	v_dual_lshlrev_b32 v4, 24, v4 :: v_dual_bitop2_b32 v2, 3, v2 bitop3:0x40
	v_cndmask_b32_e32 v5, v7, v5, vcc_lo
	s_delay_alu instid0(VALU_DEP_2) | instskip(NEXT) | instid1(VALU_DEP_3)
	v_cndmask_b32_e32 v2, v3, v2, vcc_lo
	v_and_b32_e32 v3, 0x80000000, v4
	s_delay_alu instid0(VALU_DEP_3) | instskip(NEXT) | instid1(VALU_DEP_3)
	v_lshl_add_u32 v4, v5, 23, 0x37800000
	v_lshlrev_b32_e32 v2, 21, v2
	s_delay_alu instid0(VALU_DEP_1) | instskip(NEXT) | instid1(VALU_DEP_1)
	v_or3_b32 v2, v3, v4, v2
	v_cvt_f64_f32_e32 v[2:3], v2
.LBB6_833:
	s_or_b32 exec_lo, exec_lo, s25
	s_mov_b32 s24, 0
	s_branch .LBB6_839
.LBB6_834:
	s_mov_b32 s24, -1
                                        ; implicit-def: $vgpr2_vgpr3
	s_branch .LBB6_845
.LBB6_835:
	s_or_saveexec_b32 s26, s26
	v_mov_b64_e32 v[2:3], 0x7ff8000020000000
	s_xor_b32 exec_lo, exec_lo, s26
	s_cbranch_execz .LBB6_818
.LBB6_836:
	v_cmp_ne_u16_e32 vcc_lo, 0, v4
	v_mov_b64_e32 v[2:3], 0
	s_and_not1_b32 s25, s25, exec_lo
	s_and_b32 s27, vcc_lo, exec_lo
	s_delay_alu instid0(SALU_CYCLE_1)
	s_or_b32 s25, s25, s27
	s_or_b32 exec_lo, exec_lo, s26
	s_and_saveexec_b32 s26, s25
	s_cbranch_execnz .LBB6_819
	s_branch .LBB6_820
.LBB6_837:
	s_mov_b32 s24, -1
                                        ; implicit-def: $vgpr2_vgpr3
	s_branch .LBB6_842
.LBB6_838:
	s_mov_b32 s24, -1
                                        ; implicit-def: $vgpr2_vgpr3
.LBB6_839:
	s_delay_alu instid0(SALU_CYCLE_1)
	s_and_b32 vcc_lo, exec_lo, s24
	s_cbranch_vccz .LBB6_841
; %bb.840:
	s_wait_loadcnt 0x0
	global_load_u8 v2, v[0:1], off
	s_wait_loadcnt 0x0
	v_lshlrev_b32_e32 v2, 24, v2
	s_delay_alu instid0(VALU_DEP_1) | instskip(NEXT) | instid1(VALU_DEP_1)
	v_and_b32_e32 v3, 0x7f000000, v2
	v_clz_i32_u32_e32 v4, v3
	v_cmp_ne_u32_e32 vcc_lo, 0, v3
	v_add_nc_u32_e32 v6, 0x1000000, v3
	s_delay_alu instid0(VALU_DEP_3) | instskip(NEXT) | instid1(VALU_DEP_1)
	v_min_u32_e32 v4, 32, v4
	v_sub_nc_u32_e64 v4, v4, 4 clamp
	s_delay_alu instid0(VALU_DEP_1) | instskip(NEXT) | instid1(VALU_DEP_1)
	v_dual_lshlrev_b32 v5, v4, v3 :: v_dual_lshlrev_b32 v4, 23, v4
	v_lshrrev_b32_e32 v5, 4, v5
	s_delay_alu instid0(VALU_DEP_1) | instskip(NEXT) | instid1(VALU_DEP_1)
	v_dual_sub_nc_u32 v4, v5, v4 :: v_dual_ashrrev_i32 v5, 8, v6
	v_add_nc_u32_e32 v4, 0x3c000000, v4
	s_delay_alu instid0(VALU_DEP_1) | instskip(NEXT) | instid1(VALU_DEP_1)
	v_and_or_b32 v4, 0x7f800000, v5, v4
	v_cndmask_b32_e32 v3, 0, v4, vcc_lo
	s_delay_alu instid0(VALU_DEP_1) | instskip(NEXT) | instid1(VALU_DEP_1)
	v_and_or_b32 v2, 0x80000000, v2, v3
	v_cvt_f64_f32_e32 v[2:3], v2
.LBB6_841:
	s_mov_b32 s24, 0
.LBB6_842:
	s_delay_alu instid0(SALU_CYCLE_1)
	s_and_not1_b32 vcc_lo, exec_lo, s24
	s_cbranch_vccnz .LBB6_844
; %bb.843:
	s_wait_loadcnt 0x0
	global_load_u8 v2, v[0:1], off
	s_wait_loadcnt 0x0
	v_lshlrev_b32_e32 v3, 25, v2
	v_lshlrev_b16 v2, 8, v2
	s_delay_alu instid0(VALU_DEP_1) | instskip(SKIP_1) | instid1(VALU_DEP_2)
	v_and_or_b32 v5, 0x7f00, v2, 0.5
	v_bfe_i32 v2, v2, 0, 16
	v_dual_add_f32 v5, -0.5, v5 :: v_dual_lshrrev_b32 v4, 4, v3
	v_cmp_gt_u32_e32 vcc_lo, 0x8000000, v3
	s_delay_alu instid0(VALU_DEP_2) | instskip(NEXT) | instid1(VALU_DEP_1)
	v_or_b32_e32 v4, 0x70000000, v4
	v_mul_f32_e32 v4, 0x7800000, v4
	s_delay_alu instid0(VALU_DEP_1) | instskip(NEXT) | instid1(VALU_DEP_1)
	v_cndmask_b32_e32 v3, v4, v5, vcc_lo
	v_and_or_b32 v2, 0x80000000, v2, v3
	s_delay_alu instid0(VALU_DEP_1)
	v_cvt_f64_f32_e32 v[2:3], v2
.LBB6_844:
	s_mov_b32 s24, 0
	s_mov_b32 s25, -1
.LBB6_845:
	s_and_not1_b32 vcc_lo, exec_lo, s24
	s_mov_b32 s24, 0
	s_cbranch_vccnz .LBB6_856
; %bb.846:
	s_cmp_gt_i32 s22, 14
	s_cbranch_scc0 .LBB6_849
; %bb.847:
	s_cmp_eq_u32 s22, 15
	s_cbranch_scc0 .LBB6_852
; %bb.848:
	s_wait_loadcnt 0x0
	global_load_u16 v2, v[0:1], off
	s_mov_b32 s23, 0
	s_mov_b32 s25, -1
	s_wait_loadcnt 0x0
	v_lshlrev_b32_e32 v2, 16, v2
	s_delay_alu instid0(VALU_DEP_1)
	v_cvt_f64_f32_e32 v[2:3], v2
	s_branch .LBB6_854
.LBB6_849:
	s_mov_b32 s24, -1
	s_branch .LBB6_853
.LBB6_850:
	s_or_saveexec_b32 s25, s25
	v_mov_b64_e32 v[2:3], 0x7ff8000020000000
	s_xor_b32 exec_lo, exec_lo, s25
	s_cbranch_execz .LBB6_831
.LBB6_851:
	v_cmp_ne_u16_e32 vcc_lo, 0, v4
	v_mov_b64_e32 v[2:3], 0
	s_and_not1_b32 s24, s24, exec_lo
	s_and_b32 s26, vcc_lo, exec_lo
	s_delay_alu instid0(SALU_CYCLE_1)
	s_or_b32 s24, s24, s26
	s_or_b32 exec_lo, exec_lo, s25
	s_and_saveexec_b32 s25, s24
	s_cbranch_execnz .LBB6_832
	s_branch .LBB6_833
.LBB6_852:
	s_mov_b32 s23, -1
.LBB6_853:
                                        ; implicit-def: $vgpr2_vgpr3
.LBB6_854:
	s_and_b32 vcc_lo, exec_lo, s24
	s_mov_b32 s24, 0
	s_cbranch_vccz .LBB6_856
; %bb.855:
	s_cmp_lg_u32 s22, 11
	s_mov_b32 s24, -1
	s_cselect_b32 s22, -1, 0
	s_and_not1_b32 s23, s23, exec_lo
	s_and_b32 s22, s22, exec_lo
	s_delay_alu instid0(SALU_CYCLE_1)
	s_or_b32 s23, s23, s22
.LBB6_856:
	s_mov_b32 s22, 0
.LBB6_857:
	s_and_not1_b32 s27, s0, exec_lo
	s_and_b32 s23, s23, exec_lo
	s_and_b32 s25, s25, exec_lo
	;; [unrolled: 1-line block ×4, first 2 shown]
	s_or_b32 s23, s27, s23
.LBB6_858:
	s_wait_xcnt 0x0
	s_or_b32 exec_lo, exec_lo, s14
	s_delay_alu instid0(SALU_CYCLE_1)
	s_and_not1_b32 s0, s0, exec_lo
	s_and_b32 s14, s23, exec_lo
	s_and_b32 s25, s25, exec_lo
	;; [unrolled: 1-line block ×4, first 2 shown]
	s_or_b32 s0, s0, s14
.LBB6_859:
	s_or_b32 exec_lo, exec_lo, s20
	s_delay_alu instid0(SALU_CYCLE_1)
	s_and_not1_b32 s14, s18, exec_lo
	s_and_b32 s18, s21, exec_lo
	s_and_b32 s0, s0, exec_lo
	s_or_b32 s18, s14, s18
	s_and_not1_b32 s14, s17, exec_lo
	s_and_b32 s22, s25, exec_lo
	s_and_b32 s21, s24, exec_lo
	;; [unrolled: 1-line block ×3, first 2 shown]
	s_or_b32 s17, s14, s0
.LBB6_860:
	s_or_b32 exec_lo, exec_lo, s19
	s_delay_alu instid0(SALU_CYCLE_1)
	s_and_not1_b32 s0, s13, exec_lo
	s_and_b32 s13, s18, exec_lo
	s_and_not1_b32 s14, s15, exec_lo
	s_and_b32 s15, s17, exec_lo
	s_or_b32 s13, s0, s13
	s_and_b32 s0, s22, exec_lo
	s_and_b32 s18, s21, exec_lo
	;; [unrolled: 1-line block ×3, first 2 shown]
	s_or_b32 s15, s14, s15
	s_or_b32 exec_lo, exec_lo, s16
	s_mov_b32 s14, 0
	s_and_saveexec_b32 s16, s15
	s_cbranch_execz .LBB6_262
.LBB6_861:
	s_mov_b32 s14, exec_lo
	s_and_not1_b32 s17, s17, exec_lo
	s_trap 2
	s_or_b32 exec_lo, exec_lo, s16
	s_and_saveexec_b32 s15, s17
	s_delay_alu instid0(SALU_CYCLE_1)
	s_xor_b32 s15, exec_lo, s15
	s_cbranch_execnz .LBB6_263
.LBB6_862:
	s_or_b32 exec_lo, exec_lo, s15
	s_and_saveexec_b32 s15, s18
	s_cbranch_execz .LBB6_908
.LBB6_863:
	s_sext_i32_i16 s16, s3
	s_delay_alu instid0(SALU_CYCLE_1)
	s_cmp_lt_i32 s16, 5
	s_cbranch_scc1 .LBB6_868
; %bb.864:
	s_cmp_lt_i32 s16, 8
	s_cbranch_scc1 .LBB6_869
; %bb.865:
	;; [unrolled: 3-line block ×3, first 2 shown]
	s_cmp_gt_i32 s16, 9
	s_cbranch_scc0 .LBB6_871
; %bb.867:
	s_wait_loadcnt 0x0
	global_load_b64 v[2:3], v[0:1], off
	s_mov_b32 s16, 0
	s_branch .LBB6_872
.LBB6_868:
                                        ; implicit-def: $vgpr2_vgpr3
	s_branch .LBB6_889
.LBB6_869:
                                        ; implicit-def: $vgpr2_vgpr3
	s_branch .LBB6_878
.LBB6_870:
	s_mov_b32 s16, -1
                                        ; implicit-def: $vgpr2_vgpr3
	s_branch .LBB6_875
.LBB6_871:
	s_mov_b32 s16, -1
                                        ; implicit-def: $vgpr2_vgpr3
.LBB6_872:
	s_delay_alu instid0(SALU_CYCLE_1)
	s_and_not1_b32 vcc_lo, exec_lo, s16
	s_cbranch_vccnz .LBB6_874
; %bb.873:
	s_wait_loadcnt 0x0
	global_load_b32 v2, v[0:1], off
	s_wait_loadcnt 0x0
	v_cvt_f64_f32_e32 v[2:3], v2
.LBB6_874:
	s_mov_b32 s16, 0
.LBB6_875:
	s_delay_alu instid0(SALU_CYCLE_1)
	s_and_not1_b32 vcc_lo, exec_lo, s16
	s_cbranch_vccnz .LBB6_877
; %bb.876:
	s_wait_loadcnt 0x0
	global_load_b32 v2, v[0:1], off
	s_wait_loadcnt 0x0
	v_cvt_f32_f16_e32 v2, v2
	s_delay_alu instid0(VALU_DEP_1)
	v_cvt_f64_f32_e32 v[2:3], v2
.LBB6_877:
	s_cbranch_execnz .LBB6_888
.LBB6_878:
	s_sext_i32_i16 s16, s3
	s_delay_alu instid0(SALU_CYCLE_1)
	s_cmp_lt_i32 s16, 6
	s_cbranch_scc1 .LBB6_881
; %bb.879:
	s_cmp_gt_i32 s16, 6
	s_cbranch_scc0 .LBB6_882
; %bb.880:
	s_wait_loadcnt 0x0
	global_load_b64 v[2:3], v[0:1], off
	s_mov_b32 s16, 0
	s_branch .LBB6_883
.LBB6_881:
	s_mov_b32 s16, -1
                                        ; implicit-def: $vgpr2_vgpr3
	s_branch .LBB6_886
.LBB6_882:
	s_mov_b32 s16, -1
                                        ; implicit-def: $vgpr2_vgpr3
.LBB6_883:
	s_delay_alu instid0(SALU_CYCLE_1)
	s_and_not1_b32 vcc_lo, exec_lo, s16
	s_cbranch_vccnz .LBB6_885
; %bb.884:
	s_wait_loadcnt 0x0
	global_load_b32 v2, v[0:1], off
	s_wait_loadcnt 0x0
	v_cvt_f64_f32_e32 v[2:3], v2
.LBB6_885:
	s_mov_b32 s16, 0
.LBB6_886:
	s_delay_alu instid0(SALU_CYCLE_1)
	s_and_not1_b32 vcc_lo, exec_lo, s16
	s_cbranch_vccnz .LBB6_888
; %bb.887:
	s_wait_loadcnt 0x0
	global_load_u16 v2, v[0:1], off
	s_wait_loadcnt 0x0
	v_cvt_f32_f16_e32 v2, v2
	s_delay_alu instid0(VALU_DEP_1)
	v_cvt_f64_f32_e32 v[2:3], v2
.LBB6_888:
	s_cbranch_execnz .LBB6_907
.LBB6_889:
	s_sext_i32_i16 s16, s3
	s_delay_alu instid0(SALU_CYCLE_1)
	s_cmp_lt_i32 s16, 2
	s_cbranch_scc1 .LBB6_893
; %bb.890:
	s_cmp_lt_i32 s16, 3
	s_cbranch_scc1 .LBB6_894
; %bb.891:
	s_cmp_gt_i32 s16, 3
	s_cbranch_scc0 .LBB6_895
; %bb.892:
	s_wait_loadcnt 0x0
	global_load_b64 v[2:3], v[0:1], off
	s_mov_b32 s16, 0
	s_wait_loadcnt 0x0
	v_cvt_f64_i32_e32 v[4:5], v3
	v_cvt_f64_u32_e32 v[2:3], v2
	s_delay_alu instid0(VALU_DEP_2) | instskip(NEXT) | instid1(VALU_DEP_1)
	v_ldexp_f64 v[4:5], v[4:5], 32
	v_add_f64_e32 v[2:3], v[4:5], v[2:3]
	s_branch .LBB6_896
.LBB6_893:
                                        ; implicit-def: $vgpr2_vgpr3
	s_branch .LBB6_902
.LBB6_894:
	s_mov_b32 s16, -1
                                        ; implicit-def: $vgpr2_vgpr3
	s_branch .LBB6_899
.LBB6_895:
	s_mov_b32 s16, -1
                                        ; implicit-def: $vgpr2_vgpr3
.LBB6_896:
	s_delay_alu instid0(SALU_CYCLE_1)
	s_and_not1_b32 vcc_lo, exec_lo, s16
	s_cbranch_vccnz .LBB6_898
; %bb.897:
	s_wait_loadcnt 0x0
	global_load_b32 v2, v[0:1], off
	s_wait_loadcnt 0x0
	v_cvt_f64_i32_e32 v[2:3], v2
.LBB6_898:
	s_mov_b32 s16, 0
.LBB6_899:
	s_delay_alu instid0(SALU_CYCLE_1)
	s_and_not1_b32 vcc_lo, exec_lo, s16
	s_cbranch_vccnz .LBB6_901
; %bb.900:
	s_wait_loadcnt 0x0
	global_load_i16 v2, v[0:1], off
	s_wait_loadcnt 0x0
	v_cvt_f64_i32_e32 v[2:3], v2
.LBB6_901:
	s_cbranch_execnz .LBB6_907
.LBB6_902:
	s_sext_i32_i16 s16, s3
	s_delay_alu instid0(SALU_CYCLE_1)
	s_cmp_gt_i32 s16, 0
	s_mov_b32 s16, 0
	s_cbranch_scc0 .LBB6_904
; %bb.903:
	s_wait_loadcnt 0x0
	global_load_i8 v2, v[0:1], off
	s_wait_loadcnt 0x0
	v_cvt_f64_i32_e32 v[2:3], v2
	s_branch .LBB6_905
.LBB6_904:
	s_mov_b32 s16, -1
                                        ; implicit-def: $vgpr2_vgpr3
.LBB6_905:
	s_delay_alu instid0(SALU_CYCLE_1)
	s_and_not1_b32 vcc_lo, exec_lo, s16
	s_cbranch_vccnz .LBB6_907
; %bb.906:
	global_load_u8 v0, v[0:1], off
	s_wait_loadcnt 0x0
	v_cvt_f64_u32_e32 v[2:3], v0
.LBB6_907:
	s_or_b32 s0, s0, exec_lo
.LBB6_908:
	s_wait_xcnt 0x0
	s_or_b32 exec_lo, exec_lo, s15
	s_mov_b32 s18, 0
	s_mov_b32 s17, 0
                                        ; implicit-def: $sgpr15
                                        ; implicit-def: $vgpr4_vgpr5
                                        ; implicit-def: $vgpr0_vgpr1
	s_and_saveexec_b32 s16, s0
	s_cbranch_execz .LBB6_983
; %bb.909:
	s_wait_loadcnt 0x0
	s_delay_alu instid0(VALU_DEP_1)
	v_cmp_nge_f64_e64 s0, v[2:3], -s[10:11]
	v_cmp_nge_f64_e32 vcc_lo, s[10:11], v[2:3]
	v_mul_lo_u32 v0, v10, s8
	s_and_b32 s15, s2, 0xff
	s_mov_b32 s19, 0
	s_mov_b32 s18, -1
	s_or_b32 vcc_lo, s0, vcc_lo
	s_delay_alu instid0(VALU_DEP_1) | instskip(SKIP_2) | instid1(VALU_DEP_1)
	v_ashrrev_i32_e32 v1, 31, v0
	s_cmp_lt_i32 s15, 11
	s_mov_b32 s0, s13
	v_add_nc_u64_e32 v[4:5], s[4:5], v[0:1]
	v_dual_cndmask_b32 v1, 0, v3 :: v_dual_cndmask_b32 v0, 0, v2
	s_cbranch_scc1 .LBB6_987
; %bb.910:
	s_and_b32 s17, 0xffff, s15
	s_mov_b32 s0, s13
	s_cmp_gt_i32 s17, 25
	s_cbranch_scc0 .LBB6_943
; %bb.911:
	s_cmp_gt_i32 s17, 28
	s_mov_b32 s0, s13
	s_cbranch_scc0 .LBB6_927
; %bb.912:
	s_cmp_gt_i32 s17, 43
	s_mov_b32 s0, s13
	;; [unrolled: 4-line block ×3, first 2 shown]
	s_cbranch_scc0 .LBB6_917
; %bb.914:
	s_cmp_eq_u32 s17, 46
	s_mov_b32 s0, -1
	s_cbranch_scc0 .LBB6_916
; %bb.915:
	v_cvt_f32_f64_e32 v2, v[0:1]
	s_mov_b32 s0, 0
	s_delay_alu instid0(VALU_DEP_1) | instskip(SKIP_1) | instid1(VALU_DEP_2)
	v_bfe_u32 v3, v2, 16, 1
	v_cmp_o_f32_e32 vcc_lo, v2, v2
	v_add3_u32 v3, v2, v3, 0x7fff
	s_delay_alu instid0(VALU_DEP_1) | instskip(NEXT) | instid1(VALU_DEP_1)
	v_lshrrev_b32_e32 v3, 16, v3
	v_cndmask_b32_e32 v2, 0x7fc0, v3, vcc_lo
	global_store_b32 v[4:5], v2, off
.LBB6_916:
	s_mov_b32 s18, 0
.LBB6_917:
	s_delay_alu instid0(SALU_CYCLE_1)
	s_and_b32 vcc_lo, exec_lo, s18
	s_cbranch_vccz .LBB6_922
; %bb.918:
	s_cmp_eq_u32 s17, 44
	s_mov_b32 s0, -1
	s_cbranch_scc0 .LBB6_922
; %bb.919:
	s_wait_xcnt 0x0
	v_cvt_f32_f64_e32 v2, v[0:1]
	v_mov_b32_e32 v3, 0xff
	s_mov_b32 s18, exec_lo
	s_delay_alu instid0(VALU_DEP_2) | instskip(NEXT) | instid1(VALU_DEP_1)
	v_bfe_u32 v6, v2, 23, 8
	v_cmpx_ne_u32_e32 0xff, v6
	s_cbranch_execz .LBB6_921
; %bb.920:
	v_and_b32_e32 v3, 0x400000, v2
	v_and_or_b32 v6, 0x3fffff, v2, v6
	v_lshrrev_b32_e32 v2, 23, v2
	s_delay_alu instid0(VALU_DEP_3) | instskip(NEXT) | instid1(VALU_DEP_3)
	v_cmp_ne_u32_e32 vcc_lo, 0, v3
	v_cmp_ne_u32_e64 s0, 0, v6
	s_and_b32 s0, vcc_lo, s0
	s_delay_alu instid0(SALU_CYCLE_1) | instskip(NEXT) | instid1(VALU_DEP_1)
	v_cndmask_b32_e64 v3, 0, 1, s0
	v_add_nc_u32_e32 v3, v2, v3
.LBB6_921:
	s_or_b32 exec_lo, exec_lo, s18
	s_mov_b32 s0, 0
	global_store_b8 v[4:5], v3, off
.LBB6_922:
	s_mov_b32 s18, 0
.LBB6_923:
	s_delay_alu instid0(SALU_CYCLE_1)
	s_and_b32 vcc_lo, exec_lo, s18
	s_cbranch_vccz .LBB6_926
; %bb.924:
	s_cmp_eq_u32 s17, 29
	s_mov_b32 s0, -1
	s_cbranch_scc0 .LBB6_926
; %bb.925:
	s_wait_xcnt 0x0
	v_trunc_f64_e32 v[2:3], v[0:1]
	s_mov_b32 s0, 0
	s_delay_alu instid0(VALU_DEP_1) | instskip(NEXT) | instid1(VALU_DEP_1)
	v_ldexp_f64 v[6:7], v[2:3], 0xffffffe0
	v_floor_f64_e32 v[6:7], v[6:7]
	s_delay_alu instid0(VALU_DEP_1) | instskip(SKIP_1) | instid1(VALU_DEP_2)
	v_fmamk_f64 v[2:3], v[6:7], 0xc1f00000, v[2:3]
	v_cvt_u32_f64_e32 v7, v[6:7]
	v_cvt_u32_f64_e32 v6, v[2:3]
	global_store_b64 v[4:5], v[6:7], off
.LBB6_926:
	s_mov_b32 s18, 0
.LBB6_927:
	s_delay_alu instid0(SALU_CYCLE_1)
	s_and_b32 vcc_lo, exec_lo, s18
	s_cbranch_vccz .LBB6_942
; %bb.928:
	s_cmp_lt_i32 s17, 27
	s_mov_b32 s18, -1
	s_cbranch_scc1 .LBB6_934
; %bb.929:
	s_wait_xcnt 0x0
	v_cvt_u32_f64_e32 v2, v[0:1]
	s_cmp_gt_i32 s17, 27
	s_cbranch_scc0 .LBB6_931
; %bb.930:
	s_mov_b32 s18, 0
	global_store_b32 v[4:5], v2, off
.LBB6_931:
	s_and_not1_b32 vcc_lo, exec_lo, s18
	s_cbranch_vccnz .LBB6_933
; %bb.932:
	global_store_b16 v[4:5], v2, off
.LBB6_933:
	s_mov_b32 s18, 0
.LBB6_934:
	s_delay_alu instid0(SALU_CYCLE_1)
	s_and_not1_b32 vcc_lo, exec_lo, s18
	s_cbranch_vccnz .LBB6_942
; %bb.935:
	s_wait_xcnt 0x0
	v_cvt_f32_f64_e32 v2, v[0:1]
	v_mov_b32_e32 v6, 0x80
	s_mov_b32 s18, exec_lo
	s_delay_alu instid0(VALU_DEP_2) | instskip(NEXT) | instid1(VALU_DEP_1)
	v_and_b32_e32 v3, 0x7fffffff, v2
	v_cmpx_gt_u32_e32 0x43800000, v3
	s_cbranch_execz .LBB6_941
; %bb.936:
	v_cmp_lt_u32_e32 vcc_lo, 0x3bffffff, v3
                                        ; implicit-def: $vgpr3
	s_and_saveexec_b32 s20, vcc_lo
	s_delay_alu instid0(SALU_CYCLE_1)
	s_xor_b32 s20, exec_lo, s20
	s_cbranch_execz .LBB6_1042
; %bb.937:
	v_bfe_u32 v3, v2, 20, 1
	s_mov_b32 s19, exec_lo
	s_delay_alu instid0(VALU_DEP_1) | instskip(NEXT) | instid1(VALU_DEP_1)
	v_add3_u32 v3, v2, v3, 0x487ffff
	v_lshrrev_b32_e32 v3, 20, v3
	s_and_not1_saveexec_b32 s20, s20
	s_cbranch_execnz .LBB6_1043
.LBB6_938:
	s_or_b32 exec_lo, exec_lo, s20
	v_mov_b32_e32 v6, 0
	s_and_saveexec_b32 s20, s19
.LBB6_939:
	v_lshrrev_b32_e32 v2, 24, v2
	s_delay_alu instid0(VALU_DEP_1)
	v_and_or_b32 v6, 0x80, v2, v3
.LBB6_940:
	s_or_b32 exec_lo, exec_lo, s20
.LBB6_941:
	s_delay_alu instid0(SALU_CYCLE_1)
	s_or_b32 exec_lo, exec_lo, s18
	global_store_b8 v[4:5], v6, off
.LBB6_942:
	s_mov_b32 s18, 0
.LBB6_943:
	s_delay_alu instid0(SALU_CYCLE_1)
	s_and_b32 vcc_lo, exec_lo, s18
	s_mov_b32 s18, 0
	s_cbranch_vccz .LBB6_986
; %bb.944:
	s_cmp_gt_i32 s17, 22
	s_mov_b32 s19, -1
	s_cbranch_scc0 .LBB6_976
; %bb.945:
	s_cmp_lt_i32 s17, 24
	s_cbranch_scc1 .LBB6_965
; %bb.946:
	s_cmp_gt_i32 s17, 24
	s_cbranch_scc0 .LBB6_954
; %bb.947:
	s_wait_xcnt 0x0
	v_cvt_f32_f64_e32 v2, v[0:1]
	v_mov_b32_e32 v6, 0x80
	s_mov_b32 s19, exec_lo
	s_delay_alu instid0(VALU_DEP_2) | instskip(NEXT) | instid1(VALU_DEP_1)
	v_and_b32_e32 v3, 0x7fffffff, v2
	v_cmpx_gt_u32_e32 0x47800000, v3
	s_cbranch_execz .LBB6_953
; %bb.948:
	v_cmp_lt_u32_e32 vcc_lo, 0x37ffffff, v3
	s_mov_b32 s20, 0
                                        ; implicit-def: $vgpr3
	s_and_saveexec_b32 s21, vcc_lo
	s_delay_alu instid0(SALU_CYCLE_1)
	s_xor_b32 s21, exec_lo, s21
	s_cbranch_execz .LBB6_1168
; %bb.949:
	v_bfe_u32 v3, v2, 21, 1
	s_mov_b32 s20, exec_lo
	s_delay_alu instid0(VALU_DEP_1) | instskip(NEXT) | instid1(VALU_DEP_1)
	v_add3_u32 v3, v2, v3, 0x88fffff
	v_lshrrev_b32_e32 v3, 21, v3
	s_and_not1_saveexec_b32 s21, s21
	s_cbranch_execnz .LBB6_1169
.LBB6_950:
	s_or_b32 exec_lo, exec_lo, s21
	v_mov_b32_e32 v6, 0
	s_and_saveexec_b32 s21, s20
.LBB6_951:
	v_lshrrev_b32_e32 v2, 24, v2
	s_delay_alu instid0(VALU_DEP_1)
	v_and_or_b32 v6, 0x80, v2, v3
.LBB6_952:
	s_or_b32 exec_lo, exec_lo, s21
.LBB6_953:
	s_delay_alu instid0(SALU_CYCLE_1)
	s_or_b32 exec_lo, exec_lo, s19
	s_mov_b32 s19, 0
	global_store_b8 v[4:5], v6, off
.LBB6_954:
	s_and_b32 vcc_lo, exec_lo, s19
	s_cbranch_vccz .LBB6_964
; %bb.955:
	s_wait_xcnt 0x0
	v_cvt_f32_f64_e32 v2, v[0:1]
	s_mov_b32 s19, exec_lo
                                        ; implicit-def: $vgpr3
	s_delay_alu instid0(VALU_DEP_1) | instskip(NEXT) | instid1(VALU_DEP_1)
	v_and_b32_e32 v6, 0x7fffffff, v2
	v_cmpx_gt_u32_e32 0x43f00000, v6
	s_xor_b32 s19, exec_lo, s19
	s_cbranch_execz .LBB6_961
; %bb.956:
	s_mov_b32 s20, exec_lo
                                        ; implicit-def: $vgpr3
	v_cmpx_lt_u32_e32 0x3c7fffff, v6
	s_xor_b32 s20, exec_lo, s20
; %bb.957:
	v_bfe_u32 v3, v2, 20, 1
	s_delay_alu instid0(VALU_DEP_1) | instskip(NEXT) | instid1(VALU_DEP_1)
	v_add3_u32 v3, v2, v3, 0x407ffff
	v_and_b32_e32 v6, 0xff00000, v3
	v_lshrrev_b32_e32 v3, 20, v3
	s_delay_alu instid0(VALU_DEP_2) | instskip(NEXT) | instid1(VALU_DEP_2)
	v_cmp_ne_u32_e32 vcc_lo, 0x7f00000, v6
	v_cndmask_b32_e32 v3, 0x7e, v3, vcc_lo
; %bb.958:
	s_and_not1_saveexec_b32 s20, s20
; %bb.959:
	v_add_f32_e64 v3, 0x46800000, |v2|
; %bb.960:
	s_or_b32 exec_lo, exec_lo, s20
                                        ; implicit-def: $vgpr6
.LBB6_961:
	s_and_not1_saveexec_b32 s19, s19
; %bb.962:
	v_mov_b32_e32 v3, 0x7f
	v_cmp_lt_u32_e32 vcc_lo, 0x7f800000, v6
	s_delay_alu instid0(VALU_DEP_2)
	v_cndmask_b32_e32 v3, 0x7e, v3, vcc_lo
; %bb.963:
	s_or_b32 exec_lo, exec_lo, s19
	v_lshrrev_b32_e32 v2, 24, v2
	s_delay_alu instid0(VALU_DEP_1)
	v_and_or_b32 v2, 0x80, v2, v3
	global_store_b8 v[4:5], v2, off
.LBB6_964:
	s_mov_b32 s19, 0
.LBB6_965:
	s_delay_alu instid0(SALU_CYCLE_1)
	s_and_not1_b32 vcc_lo, exec_lo, s19
	s_cbranch_vccnz .LBB6_975
; %bb.966:
	s_wait_xcnt 0x0
	v_cvt_f32_f64_e32 v2, v[0:1]
	s_mov_b32 s19, exec_lo
                                        ; implicit-def: $vgpr3
	s_delay_alu instid0(VALU_DEP_1) | instskip(NEXT) | instid1(VALU_DEP_1)
	v_and_b32_e32 v6, 0x7fffffff, v2
	v_cmpx_gt_u32_e32 0x47800000, v6
	s_xor_b32 s19, exec_lo, s19
	s_cbranch_execz .LBB6_972
; %bb.967:
	s_mov_b32 s20, exec_lo
                                        ; implicit-def: $vgpr3
	v_cmpx_lt_u32_e32 0x387fffff, v6
	s_xor_b32 s20, exec_lo, s20
; %bb.968:
	v_bfe_u32 v3, v2, 21, 1
	s_delay_alu instid0(VALU_DEP_1) | instskip(NEXT) | instid1(VALU_DEP_1)
	v_add3_u32 v3, v2, v3, 0x80fffff
	v_lshrrev_b32_e32 v3, 21, v3
; %bb.969:
	s_and_not1_saveexec_b32 s20, s20
; %bb.970:
	v_add_f32_e64 v3, 0x43000000, |v2|
; %bb.971:
	s_or_b32 exec_lo, exec_lo, s20
                                        ; implicit-def: $vgpr6
.LBB6_972:
	s_and_not1_saveexec_b32 s19, s19
; %bb.973:
	v_mov_b32_e32 v3, 0x7f
	v_cmp_lt_u32_e32 vcc_lo, 0x7f800000, v6
	s_delay_alu instid0(VALU_DEP_2)
	v_cndmask_b32_e32 v3, 0x7c, v3, vcc_lo
; %bb.974:
	s_or_b32 exec_lo, exec_lo, s19
	v_lshrrev_b32_e32 v2, 24, v2
	s_delay_alu instid0(VALU_DEP_1)
	v_and_or_b32 v2, 0x80, v2, v3
	global_store_b8 v[4:5], v2, off
.LBB6_975:
	s_mov_b32 s19, 0
.LBB6_976:
	s_delay_alu instid0(SALU_CYCLE_1)
	s_and_not1_b32 vcc_lo, exec_lo, s19
	s_mov_b32 s19, 0
	s_cbranch_vccnz .LBB6_987
; %bb.977:
	s_cmp_gt_i32 s17, 14
	s_mov_b32 s19, -1
	s_cbranch_scc0 .LBB6_981
; %bb.978:
	s_cmp_eq_u32 s17, 15
	s_mov_b32 s0, -1
	s_cbranch_scc0 .LBB6_980
; %bb.979:
	s_wait_xcnt 0x0
	v_cvt_f32_f64_e32 v2, v[0:1]
	s_mov_b32 s0, 0
	s_delay_alu instid0(VALU_DEP_1) | instskip(SKIP_1) | instid1(VALU_DEP_2)
	v_bfe_u32 v3, v2, 16, 1
	v_cmp_o_f32_e32 vcc_lo, v2, v2
	v_add3_u32 v3, v2, v3, 0x7fff
	s_delay_alu instid0(VALU_DEP_1) | instskip(NEXT) | instid1(VALU_DEP_1)
	v_lshrrev_b32_e32 v3, 16, v3
	v_cndmask_b32_e32 v2, 0x7fc0, v3, vcc_lo
	global_store_b16 v[4:5], v2, off
.LBB6_980:
	s_mov_b32 s19, 0
.LBB6_981:
	s_delay_alu instid0(SALU_CYCLE_1)
	s_and_b32 vcc_lo, exec_lo, s19
	s_mov_b32 s19, 0
	s_cbranch_vccz .LBB6_987
; %bb.982:
	s_cmp_lg_u32 s17, 11
	s_mov_b32 s19, -1
	s_cselect_b32 s17, -1, 0
	s_and_not1_b32 s0, s0, exec_lo
	s_and_b32 s17, s17, exec_lo
	s_delay_alu instid0(SALU_CYCLE_1)
	s_or_b32 s0, s0, s17
	s_branch .LBB6_987
.LBB6_983:
	s_or_b32 exec_lo, exec_lo, s16
	s_and_saveexec_b32 s0, s13
	s_cbranch_execnz .LBB6_988
.LBB6_984:
	s_or_b32 exec_lo, exec_lo, s0
	s_and_saveexec_b32 s0, s18
	s_delay_alu instid0(SALU_CYCLE_1)
	s_xor_b32 s0, exec_lo, s0
	s_cbranch_execz .LBB6_989
.LBB6_985:
	v_cmp_neq_f64_e32 vcc_lo, 0, v[0:1]
	s_wait_loadcnt 0x0
	v_cndmask_b32_e64 v2, 0, 1, vcc_lo
	global_store_b8 v[4:5], v2, off
	s_wait_xcnt 0x0
	s_or_b32 exec_lo, exec_lo, s0
	s_and_saveexec_b32 s0, s17
	s_delay_alu instid0(SALU_CYCLE_1)
	s_xor_b32 s0, exec_lo, s0
	s_cbranch_execz .LBB6_1027
	s_branch .LBB6_990
.LBB6_986:
	s_mov_b32 s19, 0
.LBB6_987:
	s_and_not1_b32 s13, s13, exec_lo
	s_and_b32 s0, s0, exec_lo
	s_and_b32 s17, s18, exec_lo
	;; [unrolled: 1-line block ×3, first 2 shown]
	s_or_b32 s13, s13, s0
	s_wait_xcnt 0x0
	s_or_b32 exec_lo, exec_lo, s16
	s_and_saveexec_b32 s0, s13
	s_cbranch_execz .LBB6_984
.LBB6_988:
	s_or_b32 s14, s14, exec_lo
	s_and_not1_b32 s18, s18, exec_lo
	s_trap 2
	s_or_b32 exec_lo, exec_lo, s0
	s_and_saveexec_b32 s0, s18
	s_delay_alu instid0(SALU_CYCLE_1)
	s_xor_b32 s0, exec_lo, s0
	s_cbranch_execnz .LBB6_985
.LBB6_989:
	s_or_b32 exec_lo, exec_lo, s0
	s_and_saveexec_b32 s0, s17
	s_delay_alu instid0(SALU_CYCLE_1)
	s_xor_b32 s0, exec_lo, s0
	s_cbranch_execz .LBB6_1027
.LBB6_990:
	s_sext_i32_i16 s16, s15
	s_mov_b32 s13, -1
	s_cmp_lt_i32 s16, 5
	s_cbranch_scc1 .LBB6_1011
; %bb.991:
	s_cmp_lt_i32 s16, 8
	s_cbranch_scc1 .LBB6_1001
; %bb.992:
	;; [unrolled: 3-line block ×3, first 2 shown]
	s_cmp_gt_i32 s16, 9
	s_cbranch_scc0 .LBB6_995
; %bb.994:
	s_wait_loadcnt 0x0
	v_mov_b32_e32 v2, 0
	s_mov_b32 s13, 0
	s_delay_alu instid0(VALU_DEP_1)
	v_mov_b32_e32 v3, v2
	global_store_b128 v[4:5], v[0:3], off
.LBB6_995:
	s_and_not1_b32 vcc_lo, exec_lo, s13
	s_cbranch_vccnz .LBB6_997
; %bb.996:
	s_wait_loadcnt 0x0
	v_cvt_f32_f64_e32 v2, v[0:1]
	v_mov_b32_e32 v3, 0
	global_store_b64 v[4:5], v[2:3], off
.LBB6_997:
	s_mov_b32 s13, 0
.LBB6_998:
	s_delay_alu instid0(SALU_CYCLE_1)
	s_and_not1_b32 vcc_lo, exec_lo, s13
	s_cbranch_vccnz .LBB6_1000
; %bb.999:
	s_wait_loadcnt 0x0
	v_and_or_b32 v2, 0x1ff, v1, v0
	v_lshrrev_b32_e32 v3, 8, v1
	v_bfe_u32 v6, v1, 20, 11
	s_delay_alu instid0(VALU_DEP_3) | instskip(NEXT) | instid1(VALU_DEP_2)
	v_cmp_ne_u32_e32 vcc_lo, 0, v2
	v_sub_nc_u32_e32 v7, 0x3f1, v6
	v_cndmask_b32_e64 v2, 0, 1, vcc_lo
	s_delay_alu instid0(VALU_DEP_1) | instskip(NEXT) | instid1(VALU_DEP_3)
	v_and_or_b32 v2, 0xffe, v3, v2
	v_med3_i32 v3, v7, 0, 13
	s_delay_alu instid0(VALU_DEP_2) | instskip(NEXT) | instid1(VALU_DEP_1)
	v_or_b32_e32 v7, 0x1000, v2
	v_lshrrev_b32_e32 v8, v3, v7
	s_delay_alu instid0(VALU_DEP_1) | instskip(NEXT) | instid1(VALU_DEP_1)
	v_lshlrev_b32_e32 v3, v3, v8
	v_cmp_ne_u32_e32 vcc_lo, v3, v7
	v_cndmask_b32_e64 v3, 0, 1, vcc_lo
	s_delay_alu instid0(VALU_DEP_1) | instskip(SKIP_1) | instid1(VALU_DEP_1)
	v_or_b32_e32 v3, v8, v3
	v_add_nc_u32_e32 v6, 0xfffffc10, v6
	v_lshl_or_b32 v7, v6, 12, v2
	v_cmp_gt_i32_e32 vcc_lo, 1, v6
	s_delay_alu instid0(VALU_DEP_2) | instskip(NEXT) | instid1(VALU_DEP_1)
	v_cndmask_b32_e32 v3, v7, v3, vcc_lo
	v_dual_lshrrev_b32 v3, 2, v3 :: v_dual_bitop2_b32 v7, 7, v3 bitop3:0x40
	s_delay_alu instid0(VALU_DEP_1) | instskip(SKIP_4) | instid1(VALU_DEP_2)
	v_cmp_lt_i32_e32 vcc_lo, 5, v7
	v_cndmask_b32_e64 v8, 0, 1, vcc_lo
	v_cmp_eq_u32_e32 vcc_lo, 3, v7
	v_cndmask_b32_e64 v7, 0, 1, vcc_lo
	v_cmp_ne_u32_e32 vcc_lo, 0, v2
	v_or_b32_e32 v7, v7, v8
	s_delay_alu instid0(VALU_DEP_1) | instskip(NEXT) | instid1(VALU_DEP_1)
	v_dual_mov_b32 v8, 0x7e00 :: v_dual_add_nc_u32 v3, v3, v7
	v_cndmask_b32_e32 v2, 0x7c00, v8, vcc_lo
	v_cmp_gt_i32_e32 vcc_lo, 31, v6
	v_lshrrev_b32_e32 v7, 16, v1
	s_delay_alu instid0(VALU_DEP_4) | instskip(SKIP_1) | instid1(VALU_DEP_2)
	v_cndmask_b32_e32 v3, 0x7c00, v3, vcc_lo
	v_cmp_eq_u32_e32 vcc_lo, 0x40f, v6
	v_cndmask_b32_e32 v2, v3, v2, vcc_lo
	s_delay_alu instid0(VALU_DEP_4) | instskip(NEXT) | instid1(VALU_DEP_1)
	v_and_b32_e32 v3, 0x8000, v7
	v_bitop3_b32 v2, v3, 0xffff, v2 bitop3:0xc8
	global_store_b32 v[4:5], v2, off
.LBB6_1000:
	s_mov_b32 s13, 0
.LBB6_1001:
	s_delay_alu instid0(SALU_CYCLE_1)
	s_and_not1_b32 vcc_lo, exec_lo, s13
	s_cbranch_vccnz .LBB6_1010
; %bb.1002:
	s_sext_i32_i16 s16, s15
	s_mov_b32 s13, -1
	s_cmp_lt_i32 s16, 6
	s_cbranch_scc1 .LBB6_1008
; %bb.1003:
	s_cmp_gt_i32 s16, 6
	s_cbranch_scc0 .LBB6_1005
; %bb.1004:
	s_mov_b32 s13, 0
	global_store_b64 v[4:5], v[0:1], off
.LBB6_1005:
	s_and_not1_b32 vcc_lo, exec_lo, s13
	s_cbranch_vccnz .LBB6_1007
; %bb.1006:
	s_wait_loadcnt 0x0
	v_cvt_f32_f64_e32 v2, v[0:1]
	global_store_b32 v[4:5], v2, off
.LBB6_1007:
	s_mov_b32 s13, 0
.LBB6_1008:
	s_delay_alu instid0(SALU_CYCLE_1)
	s_and_not1_b32 vcc_lo, exec_lo, s13
	s_cbranch_vccnz .LBB6_1010
; %bb.1009:
	s_wait_loadcnt 0x0
	v_and_or_b32 v2, 0x1ff, v1, v0
	v_lshrrev_b32_e32 v3, 8, v1
	v_bfe_u32 v6, v1, 20, 11
	s_delay_alu instid0(VALU_DEP_3) | instskip(NEXT) | instid1(VALU_DEP_2)
	v_cmp_ne_u32_e32 vcc_lo, 0, v2
	v_sub_nc_u32_e32 v7, 0x3f1, v6
	v_cndmask_b32_e64 v2, 0, 1, vcc_lo
	s_delay_alu instid0(VALU_DEP_1) | instskip(NEXT) | instid1(VALU_DEP_3)
	v_and_or_b32 v2, 0xffe, v3, v2
	v_med3_i32 v3, v7, 0, 13
	s_delay_alu instid0(VALU_DEP_2) | instskip(NEXT) | instid1(VALU_DEP_1)
	v_or_b32_e32 v7, 0x1000, v2
	v_lshrrev_b32_e32 v8, v3, v7
	s_delay_alu instid0(VALU_DEP_1) | instskip(NEXT) | instid1(VALU_DEP_1)
	v_lshlrev_b32_e32 v3, v3, v8
	v_cmp_ne_u32_e32 vcc_lo, v3, v7
	v_cndmask_b32_e64 v3, 0, 1, vcc_lo
	s_delay_alu instid0(VALU_DEP_1) | instskip(SKIP_1) | instid1(VALU_DEP_1)
	v_or_b32_e32 v3, v8, v3
	v_add_nc_u32_e32 v6, 0xfffffc10, v6
	v_lshl_or_b32 v7, v6, 12, v2
	v_cmp_gt_i32_e32 vcc_lo, 1, v6
	s_delay_alu instid0(VALU_DEP_2) | instskip(NEXT) | instid1(VALU_DEP_1)
	v_cndmask_b32_e32 v3, v7, v3, vcc_lo
	v_dual_lshrrev_b32 v3, 2, v3 :: v_dual_bitop2_b32 v7, 7, v3 bitop3:0x40
	s_delay_alu instid0(VALU_DEP_1) | instskip(SKIP_4) | instid1(VALU_DEP_2)
	v_cmp_lt_i32_e32 vcc_lo, 5, v7
	v_cndmask_b32_e64 v8, 0, 1, vcc_lo
	v_cmp_eq_u32_e32 vcc_lo, 3, v7
	v_cndmask_b32_e64 v7, 0, 1, vcc_lo
	v_cmp_ne_u32_e32 vcc_lo, 0, v2
	v_or_b32_e32 v7, v7, v8
	s_delay_alu instid0(VALU_DEP_1) | instskip(NEXT) | instid1(VALU_DEP_1)
	v_dual_mov_b32 v8, 0x7e00 :: v_dual_add_nc_u32 v3, v3, v7
	v_cndmask_b32_e32 v2, 0x7c00, v8, vcc_lo
	v_cmp_gt_i32_e32 vcc_lo, 31, v6
	s_delay_alu instid0(VALU_DEP_3) | instskip(SKIP_1) | instid1(VALU_DEP_2)
	v_cndmask_b32_e32 v3, 0x7c00, v3, vcc_lo
	v_cmp_eq_u32_e32 vcc_lo, 0x40f, v6
	v_dual_cndmask_b32 v2, v3, v2 :: v_dual_lshrrev_b32 v3, 16, v1
	s_delay_alu instid0(VALU_DEP_1)
	v_and_or_b32 v2, 0x8000, v3, v2
	global_store_b16 v[4:5], v2, off
.LBB6_1010:
	s_mov_b32 s13, 0
.LBB6_1011:
	s_delay_alu instid0(SALU_CYCLE_1)
	s_and_not1_b32 vcc_lo, exec_lo, s13
	s_cbranch_vccnz .LBB6_1027
; %bb.1012:
	s_sext_i32_i16 s16, s15
	s_mov_b32 s13, -1
	s_cmp_lt_i32 s16, 2
	s_cbranch_scc1 .LBB6_1022
; %bb.1013:
	s_cmp_lt_i32 s16, 3
	s_cbranch_scc1 .LBB6_1019
; %bb.1014:
	s_cmp_gt_i32 s16, 3
	s_cbranch_scc0 .LBB6_1016
; %bb.1015:
	s_wait_loadcnt 0x0
	v_trunc_f64_e32 v[2:3], v[0:1]
	s_mov_b32 s13, 0
	s_delay_alu instid0(VALU_DEP_1) | instskip(NEXT) | instid1(VALU_DEP_1)
	v_ldexp_f64 v[6:7], v[2:3], 0xffffffe0
	v_floor_f64_e32 v[6:7], v[6:7]
	s_delay_alu instid0(VALU_DEP_1) | instskip(SKIP_1) | instid1(VALU_DEP_2)
	v_fmamk_f64 v[2:3], v[6:7], 0xc1f00000, v[2:3]
	v_cvt_i32_f64_e32 v7, v[6:7]
	v_cvt_u32_f64_e32 v6, v[2:3]
	global_store_b64 v[4:5], v[6:7], off
.LBB6_1016:
	s_and_not1_b32 vcc_lo, exec_lo, s13
	s_cbranch_vccnz .LBB6_1018
; %bb.1017:
	s_wait_loadcnt 0x0
	v_cvt_i32_f64_e32 v2, v[0:1]
	global_store_b32 v[4:5], v2, off
.LBB6_1018:
	s_mov_b32 s13, 0
.LBB6_1019:
	s_delay_alu instid0(SALU_CYCLE_1)
	s_and_not1_b32 vcc_lo, exec_lo, s13
	s_cbranch_vccnz .LBB6_1021
; %bb.1020:
	s_wait_loadcnt 0x0
	v_cvt_i32_f64_e32 v2, v[0:1]
	global_store_b16 v[4:5], v2, off
.LBB6_1021:
	s_mov_b32 s13, 0
.LBB6_1022:
	s_delay_alu instid0(SALU_CYCLE_1)
	s_and_not1_b32 vcc_lo, exec_lo, s13
	s_cbranch_vccnz .LBB6_1027
; %bb.1023:
	s_sext_i32_i16 s13, s15
	s_delay_alu instid0(SALU_CYCLE_1)
	s_cmp_gt_i32 s13, 0
	s_mov_b32 s13, -1
	s_cbranch_scc0 .LBB6_1025
; %bb.1024:
	s_wait_loadcnt 0x0
	v_cvt_i32_f64_e32 v2, v[0:1]
	s_mov_b32 s13, 0
	global_store_b8 v[4:5], v2, off
.LBB6_1025:
	s_and_not1_b32 vcc_lo, exec_lo, s13
	s_cbranch_vccnz .LBB6_1027
; %bb.1026:
	s_wait_xcnt 0x0
	v_trunc_f64_e32 v[0:1], v[0:1]
	s_wait_loadcnt 0x0
	s_delay_alu instid0(VALU_DEP_1) | instskip(NEXT) | instid1(VALU_DEP_1)
	v_ldexp_f64 v[2:3], v[0:1], 0xffffffe0
	v_floor_f64_e32 v[2:3], v[2:3]
	s_delay_alu instid0(VALU_DEP_1) | instskip(NEXT) | instid1(VALU_DEP_1)
	v_fmamk_f64 v[0:1], v[2:3], 0xc1f00000, v[0:1]
	v_cvt_u32_f64_e32 v0, v[0:1]
	global_store_b8 v[4:5], v0, off
.LBB6_1027:
	s_wait_xcnt 0x0
	s_or_b32 exec_lo, exec_lo, s0
	s_delay_alu instid0(SALU_CYCLE_1)
	s_and_b32 s13, s14, exec_lo
                                        ; implicit-def: $vgpr10
.LBB6_1028:
	s_or_saveexec_b32 s12, s12
	s_mov_b32 s0, 0
                                        ; implicit-def: $sgpr14
                                        ; implicit-def: $vgpr6_vgpr7
                                        ; implicit-def: $vgpr0_vgpr1
	s_xor_b32 exec_lo, exec_lo, s12
	s_cbranch_execz .LBB6_1977
; %bb.1029:
	s_wait_loadcnt 0x0
	v_mul_lo_u32 v2, s9, v10
	s_and_b32 s0, 0xffff, s3
	s_delay_alu instid0(SALU_CYCLE_1) | instskip(NEXT) | instid1(VALU_DEP_1)
	s_cmp_lt_i32 s0, 11
	v_ashrrev_i32_e32 v3, 31, v2
	s_delay_alu instid0(VALU_DEP_1)
	v_add_nc_u64_e32 v[4:5], s[6:7], v[2:3]
	s_cbranch_scc1 .LBB6_1036
; %bb.1030:
	s_cmp_gt_i32 s0, 25
	s_mov_b32 s3, 0
	s_cbranch_scc0 .LBB6_1038
; %bb.1031:
	s_cmp_gt_i32 s0, 28
	s_cbranch_scc0 .LBB6_1039
; %bb.1032:
	s_cmp_gt_i32 s0, 43
	;; [unrolled: 3-line block ×3, first 2 shown]
	s_cbranch_scc0 .LBB6_1041
; %bb.1034:
	s_cmp_eq_u32 s0, 46
	s_mov_b32 s15, 0
	s_cbranch_scc0 .LBB6_1044
; %bb.1035:
	global_load_b32 v0, v[4:5], off
	s_mov_b32 s14, -1
	s_wait_loadcnt 0x0
	v_lshlrev_b32_e32 v0, 16, v0
	s_delay_alu instid0(VALU_DEP_1)
	v_cvt_f64_f32_e32 v[0:1], v0
	s_branch .LBB6_1046
.LBB6_1036:
	s_mov_b32 s14, 0
	s_mov_b32 s1, s13
                                        ; implicit-def: $vgpr0_vgpr1
	s_cbranch_execnz .LBB6_1109
.LBB6_1037:
	s_and_not1_b32 vcc_lo, exec_lo, s14
	s_cbranch_vccz .LBB6_1154
	s_branch .LBB6_1975
.LBB6_1038:
	s_mov_b32 s14, 0
                                        ; implicit-def: $vgpr0_vgpr1
	s_cbranch_execnz .LBB6_1074
	s_branch .LBB6_1105
.LBB6_1039:
	s_mov_b32 s15, -1
	s_mov_b32 s14, 0
                                        ; implicit-def: $vgpr0_vgpr1
	s_branch .LBB6_1055
.LBB6_1040:
	s_mov_b32 s14, 0
                                        ; implicit-def: $vgpr0_vgpr1
	s_cbranch_execnz .LBB6_1051
	s_branch .LBB6_1054
.LBB6_1041:
	s_mov_b32 s15, -1
	s_branch .LBB6_1045
.LBB6_1042:
	s_and_not1_saveexec_b32 s20, s20
	s_cbranch_execz .LBB6_938
.LBB6_1043:
	v_add_f32_e64 v3, 0x46000000, |v2|
	s_and_not1_b32 s19, s19, exec_lo
	s_delay_alu instid0(VALU_DEP_1) | instskip(NEXT) | instid1(VALU_DEP_1)
	v_and_b32_e32 v3, 0xff, v3
	v_cmp_ne_u32_e32 vcc_lo, 0, v3
	s_and_b32 s21, vcc_lo, exec_lo
	s_delay_alu instid0(SALU_CYCLE_1)
	s_or_b32 s19, s19, s21
	s_or_b32 exec_lo, exec_lo, s20
	v_mov_b32_e32 v6, 0
	s_and_saveexec_b32 s20, s19
	s_cbranch_execnz .LBB6_939
	s_branch .LBB6_940
.LBB6_1044:
	s_mov_b32 s1, -1
.LBB6_1045:
	s_mov_b32 s14, 0
                                        ; implicit-def: $vgpr0_vgpr1
.LBB6_1046:
	s_and_b32 vcc_lo, exec_lo, s15
	s_cbranch_vccz .LBB6_1049
; %bb.1047:
	s_cmp_eq_u32 s0, 44
	s_cbranch_scc0 .LBB6_1050
; %bb.1048:
	global_load_u8 v3, v[4:5], off
	s_mov_b32 s1, 0
	s_mov_b32 s14, -1
	s_wait_loadcnt 0x0
	v_cmp_ne_u32_e32 vcc_lo, 0xff, v3
	v_lshlrev_b32_e32 v0, 23, v3
	s_delay_alu instid0(VALU_DEP_1) | instskip(NEXT) | instid1(VALU_DEP_1)
	v_cvt_f64_f32_e32 v[0:1], v0
	v_cndmask_b32_e32 v0, 0x20000000, v0, vcc_lo
	s_delay_alu instid0(VALU_DEP_2) | instskip(SKIP_1) | instid1(VALU_DEP_2)
	v_cndmask_b32_e32 v1, 0x7ff80000, v1, vcc_lo
	v_cmp_ne_u32_e32 vcc_lo, 0, v3
	v_cndmask_b32_e32 v1, 0x38000000, v1, vcc_lo
	s_delay_alu instid0(VALU_DEP_4)
	v_cndmask_b32_e32 v0, 0, v0, vcc_lo
.LBB6_1049:
	s_branch .LBB6_1054
.LBB6_1050:
	s_mov_b32 s1, -1
                                        ; implicit-def: $vgpr0_vgpr1
	s_branch .LBB6_1054
.LBB6_1051:
	s_cmp_eq_u32 s0, 29
	s_cbranch_scc0 .LBB6_1053
; %bb.1052:
	global_load_b64 v[0:1], v[4:5], off
	s_mov_b32 s1, 0
	s_mov_b32 s14, -1
	s_mov_b32 s15, 0
	s_wait_loadcnt 0x0
	v_cvt_f64_u32_e32 v[6:7], v1
	v_cvt_f64_u32_e32 v[0:1], v0
	s_delay_alu instid0(VALU_DEP_2) | instskip(NEXT) | instid1(VALU_DEP_1)
	v_ldexp_f64 v[6:7], v[6:7], 32
	v_add_f64_e32 v[0:1], v[6:7], v[0:1]
	s_branch .LBB6_1055
.LBB6_1053:
	s_mov_b32 s1, -1
                                        ; implicit-def: $vgpr0_vgpr1
.LBB6_1054:
	s_mov_b32 s15, 0
.LBB6_1055:
	s_delay_alu instid0(SALU_CYCLE_1)
	s_and_b32 vcc_lo, exec_lo, s15
	s_cbranch_vccz .LBB6_1073
; %bb.1056:
	s_cmp_lt_i32 s0, 27
	s_cbranch_scc1 .LBB6_1059
; %bb.1057:
	s_cmp_gt_i32 s0, 27
	s_cbranch_scc0 .LBB6_1060
; %bb.1058:
	global_load_b32 v0, v[4:5], off
	s_mov_b32 s14, 0
	s_wait_loadcnt 0x0
	v_cvt_f64_u32_e32 v[0:1], v0
	s_branch .LBB6_1061
.LBB6_1059:
	s_mov_b32 s14, -1
                                        ; implicit-def: $vgpr0_vgpr1
	s_branch .LBB6_1064
.LBB6_1060:
	s_mov_b32 s14, -1
                                        ; implicit-def: $vgpr0_vgpr1
.LBB6_1061:
	s_delay_alu instid0(SALU_CYCLE_1)
	s_and_not1_b32 vcc_lo, exec_lo, s14
	s_cbranch_vccnz .LBB6_1063
; %bb.1062:
	global_load_u16 v0, v[4:5], off
	s_wait_loadcnt 0x0
	v_cvt_f64_u32_e32 v[0:1], v0
.LBB6_1063:
	s_mov_b32 s14, 0
.LBB6_1064:
	s_delay_alu instid0(SALU_CYCLE_1)
	s_and_not1_b32 vcc_lo, exec_lo, s14
	s_cbranch_vccnz .LBB6_1072
; %bb.1065:
	global_load_u8 v3, v[4:5], off
	s_mov_b32 s14, 0
	s_mov_b32 s15, exec_lo
	s_wait_loadcnt 0x0
	v_cmpx_lt_i16_e32 0x7f, v3
	s_xor_b32 s15, exec_lo, s15
	s_cbranch_execz .LBB6_1085
; %bb.1066:
	s_mov_b32 s14, -1
	s_mov_b32 s16, exec_lo
	v_cmpx_eq_u16_e32 0x80, v3
; %bb.1067:
	s_xor_b32 s14, exec_lo, -1
; %bb.1068:
	s_or_b32 exec_lo, exec_lo, s16
	s_delay_alu instid0(SALU_CYCLE_1)
	s_and_b32 s14, s14, exec_lo
	s_or_saveexec_b32 s15, s15
	v_mov_b64_e32 v[0:1], 0x7ff8000020000000
	s_xor_b32 exec_lo, exec_lo, s15
	s_cbranch_execnz .LBB6_1086
.LBB6_1069:
	s_or_b32 exec_lo, exec_lo, s15
	s_and_saveexec_b32 s15, s14
	s_cbranch_execz .LBB6_1071
.LBB6_1070:
	v_and_b32_e32 v0, 0xffff, v3
	s_delay_alu instid0(VALU_DEP_1) | instskip(SKIP_1) | instid1(VALU_DEP_2)
	v_and_b32_e32 v1, 7, v0
	v_bfe_u32 v8, v0, 3, 4
	v_clz_i32_u32_e32 v6, v1
	s_delay_alu instid0(VALU_DEP_2) | instskip(NEXT) | instid1(VALU_DEP_2)
	v_cmp_eq_u32_e32 vcc_lo, 0, v8
	v_min_u32_e32 v6, 32, v6
	s_delay_alu instid0(VALU_DEP_1) | instskip(NEXT) | instid1(VALU_DEP_1)
	v_subrev_nc_u32_e32 v7, 28, v6
	v_dual_lshlrev_b32 v0, v7, v0 :: v_dual_sub_nc_u32 v6, 29, v6
	s_delay_alu instid0(VALU_DEP_1) | instskip(NEXT) | instid1(VALU_DEP_1)
	v_dual_lshlrev_b32 v3, 24, v3 :: v_dual_bitop2_b32 v0, 7, v0 bitop3:0x40
	v_dual_cndmask_b32 v6, v8, v6, vcc_lo :: v_dual_cndmask_b32 v0, v1, v0, vcc_lo
	s_delay_alu instid0(VALU_DEP_2) | instskip(NEXT) | instid1(VALU_DEP_2)
	v_and_b32_e32 v1, 0x80000000, v3
	v_lshl_add_u32 v3, v6, 23, 0x3b800000
	s_delay_alu instid0(VALU_DEP_3) | instskip(NEXT) | instid1(VALU_DEP_1)
	v_lshlrev_b32_e32 v0, 20, v0
	v_or3_b32 v0, v1, v3, v0
	s_delay_alu instid0(VALU_DEP_1)
	v_cvt_f64_f32_e32 v[0:1], v0
.LBB6_1071:
	s_or_b32 exec_lo, exec_lo, s15
.LBB6_1072:
	s_mov_b32 s14, -1
.LBB6_1073:
	s_branch .LBB6_1105
.LBB6_1074:
	s_cmp_gt_i32 s0, 22
	s_cbranch_scc0 .LBB6_1084
; %bb.1075:
	s_cmp_lt_i32 s0, 24
	s_cbranch_scc1 .LBB6_1087
; %bb.1076:
	s_cmp_gt_i32 s0, 24
	s_cbranch_scc0 .LBB6_1088
; %bb.1077:
	global_load_u8 v3, v[4:5], off
	s_mov_b32 s14, exec_lo
	s_wait_loadcnt 0x0
	v_cmpx_lt_i16_e32 0x7f, v3
	s_xor_b32 s14, exec_lo, s14
	s_cbranch_execz .LBB6_1099
; %bb.1078:
	s_mov_b32 s3, -1
	s_mov_b32 s15, exec_lo
	v_cmpx_eq_u16_e32 0x80, v3
; %bb.1079:
	s_xor_b32 s3, exec_lo, -1
; %bb.1080:
	s_or_b32 exec_lo, exec_lo, s15
	s_delay_alu instid0(SALU_CYCLE_1)
	s_and_b32 s3, s3, exec_lo
	s_or_saveexec_b32 s14, s14
	v_mov_b64_e32 v[0:1], 0x7ff8000020000000
	s_xor_b32 exec_lo, exec_lo, s14
	s_cbranch_execnz .LBB6_1100
.LBB6_1081:
	s_or_b32 exec_lo, exec_lo, s14
	s_and_saveexec_b32 s14, s3
	s_cbranch_execz .LBB6_1083
.LBB6_1082:
	v_and_b32_e32 v0, 0xffff, v3
	s_delay_alu instid0(VALU_DEP_1) | instskip(SKIP_1) | instid1(VALU_DEP_2)
	v_and_b32_e32 v1, 3, v0
	v_bfe_u32 v8, v0, 2, 5
	v_clz_i32_u32_e32 v6, v1
	s_delay_alu instid0(VALU_DEP_2) | instskip(NEXT) | instid1(VALU_DEP_2)
	v_cmp_eq_u32_e32 vcc_lo, 0, v8
	v_min_u32_e32 v6, 32, v6
	s_delay_alu instid0(VALU_DEP_1) | instskip(NEXT) | instid1(VALU_DEP_1)
	v_subrev_nc_u32_e32 v7, 29, v6
	v_dual_lshlrev_b32 v0, v7, v0 :: v_dual_sub_nc_u32 v6, 30, v6
	s_delay_alu instid0(VALU_DEP_1) | instskip(NEXT) | instid1(VALU_DEP_1)
	v_dual_lshlrev_b32 v3, 24, v3 :: v_dual_bitop2_b32 v0, 3, v0 bitop3:0x40
	v_dual_cndmask_b32 v6, v8, v6, vcc_lo :: v_dual_cndmask_b32 v0, v1, v0, vcc_lo
	s_delay_alu instid0(VALU_DEP_2) | instskip(NEXT) | instid1(VALU_DEP_2)
	v_and_b32_e32 v1, 0x80000000, v3
	v_lshl_add_u32 v3, v6, 23, 0x37800000
	s_delay_alu instid0(VALU_DEP_3) | instskip(NEXT) | instid1(VALU_DEP_1)
	v_lshlrev_b32_e32 v0, 21, v0
	v_or3_b32 v0, v1, v3, v0
	s_delay_alu instid0(VALU_DEP_1)
	v_cvt_f64_f32_e32 v[0:1], v0
.LBB6_1083:
	s_or_b32 exec_lo, exec_lo, s14
	s_mov_b32 s3, 0
	s_branch .LBB6_1089
.LBB6_1084:
                                        ; implicit-def: $vgpr0_vgpr1
	s_mov_b32 s3, 0
	s_branch .LBB6_1095
.LBB6_1085:
	s_or_saveexec_b32 s15, s15
	v_mov_b64_e32 v[0:1], 0x7ff8000020000000
	s_xor_b32 exec_lo, exec_lo, s15
	s_cbranch_execz .LBB6_1069
.LBB6_1086:
	v_cmp_ne_u16_e32 vcc_lo, 0, v3
	v_mov_b64_e32 v[0:1], 0
	s_and_not1_b32 s14, s14, exec_lo
	s_and_b32 s16, vcc_lo, exec_lo
	s_delay_alu instid0(SALU_CYCLE_1)
	s_or_b32 s14, s14, s16
	s_or_b32 exec_lo, exec_lo, s15
	s_and_saveexec_b32 s15, s14
	s_cbranch_execnz .LBB6_1070
	s_branch .LBB6_1071
.LBB6_1087:
	s_mov_b32 s3, -1
                                        ; implicit-def: $vgpr0_vgpr1
	s_branch .LBB6_1092
.LBB6_1088:
	s_mov_b32 s3, -1
                                        ; implicit-def: $vgpr0_vgpr1
.LBB6_1089:
	s_delay_alu instid0(SALU_CYCLE_1)
	s_and_b32 vcc_lo, exec_lo, s3
	s_cbranch_vccz .LBB6_1091
; %bb.1090:
	global_load_u8 v0, v[4:5], off
	s_wait_loadcnt 0x0
	v_lshlrev_b32_e32 v0, 24, v0
	s_delay_alu instid0(VALU_DEP_1) | instskip(NEXT) | instid1(VALU_DEP_1)
	v_and_b32_e32 v1, 0x7f000000, v0
	v_clz_i32_u32_e32 v3, v1
	v_add_nc_u32_e32 v7, 0x1000000, v1
	v_cmp_ne_u32_e32 vcc_lo, 0, v1
	s_delay_alu instid0(VALU_DEP_3) | instskip(NEXT) | instid1(VALU_DEP_1)
	v_min_u32_e32 v3, 32, v3
	v_sub_nc_u32_e64 v3, v3, 4 clamp
	s_delay_alu instid0(VALU_DEP_1) | instskip(NEXT) | instid1(VALU_DEP_1)
	v_dual_lshlrev_b32 v6, v3, v1 :: v_dual_lshlrev_b32 v3, 23, v3
	v_lshrrev_b32_e32 v6, 4, v6
	s_delay_alu instid0(VALU_DEP_1) | instskip(SKIP_1) | instid1(VALU_DEP_2)
	v_sub_nc_u32_e32 v3, v6, v3
	v_ashrrev_i32_e32 v6, 8, v7
	v_add_nc_u32_e32 v3, 0x3c000000, v3
	s_delay_alu instid0(VALU_DEP_1) | instskip(NEXT) | instid1(VALU_DEP_1)
	v_and_or_b32 v3, 0x7f800000, v6, v3
	v_cndmask_b32_e32 v1, 0, v3, vcc_lo
	s_delay_alu instid0(VALU_DEP_1) | instskip(NEXT) | instid1(VALU_DEP_1)
	v_and_or_b32 v0, 0x80000000, v0, v1
	v_cvt_f64_f32_e32 v[0:1], v0
.LBB6_1091:
	s_mov_b32 s3, 0
.LBB6_1092:
	s_delay_alu instid0(SALU_CYCLE_1)
	s_and_not1_b32 vcc_lo, exec_lo, s3
	s_cbranch_vccnz .LBB6_1094
; %bb.1093:
	global_load_u8 v0, v[4:5], off
	s_wait_loadcnt 0x0
	v_lshlrev_b32_e32 v1, 25, v0
	v_lshlrev_b16 v0, 8, v0
	s_delay_alu instid0(VALU_DEP_1) | instskip(SKIP_1) | instid1(VALU_DEP_2)
	v_and_or_b32 v6, 0x7f00, v0, 0.5
	v_bfe_i32 v0, v0, 0, 16
	v_dual_add_f32 v6, -0.5, v6 :: v_dual_lshrrev_b32 v3, 4, v1
	v_cmp_gt_u32_e32 vcc_lo, 0x8000000, v1
	s_delay_alu instid0(VALU_DEP_2) | instskip(NEXT) | instid1(VALU_DEP_1)
	v_or_b32_e32 v3, 0x70000000, v3
	v_mul_f32_e32 v3, 0x7800000, v3
	s_delay_alu instid0(VALU_DEP_1) | instskip(NEXT) | instid1(VALU_DEP_1)
	v_cndmask_b32_e32 v1, v3, v6, vcc_lo
	v_and_or_b32 v0, 0x80000000, v0, v1
	s_delay_alu instid0(VALU_DEP_1)
	v_cvt_f64_f32_e32 v[0:1], v0
.LBB6_1094:
	s_mov_b32 s14, -1
	s_mov_b32 s3, 0
	s_cbranch_execnz .LBB6_1105
.LBB6_1095:
	s_cmp_gt_i32 s0, 14
	s_cbranch_scc0 .LBB6_1098
; %bb.1096:
	s_cmp_eq_u32 s0, 15
	s_cbranch_scc0 .LBB6_1101
; %bb.1097:
	global_load_u16 v0, v[4:5], off
	s_mov_b32 s1, 0
	s_mov_b32 s14, -1
	s_wait_loadcnt 0x0
	v_lshlrev_b32_e32 v0, 16, v0
	s_delay_alu instid0(VALU_DEP_1)
	v_cvt_f64_f32_e32 v[0:1], v0
	s_branch .LBB6_1103
.LBB6_1098:
	s_mov_b32 s3, -1
	s_branch .LBB6_1102
.LBB6_1099:
	s_or_saveexec_b32 s14, s14
	v_mov_b64_e32 v[0:1], 0x7ff8000020000000
	s_xor_b32 exec_lo, exec_lo, s14
	s_cbranch_execz .LBB6_1081
.LBB6_1100:
	v_cmp_ne_u16_e32 vcc_lo, 0, v3
	v_mov_b64_e32 v[0:1], 0
	s_and_not1_b32 s3, s3, exec_lo
	s_and_b32 s15, vcc_lo, exec_lo
	s_delay_alu instid0(SALU_CYCLE_1)
	s_or_b32 s3, s3, s15
	s_or_b32 exec_lo, exec_lo, s14
	s_and_saveexec_b32 s14, s3
	s_cbranch_execnz .LBB6_1082
	s_branch .LBB6_1083
.LBB6_1101:
	s_mov_b32 s1, -1
.LBB6_1102:
                                        ; implicit-def: $vgpr0_vgpr1
.LBB6_1103:
	s_and_b32 vcc_lo, exec_lo, s3
	s_mov_b32 s3, 0
	s_cbranch_vccz .LBB6_1105
; %bb.1104:
	s_cmp_lg_u32 s0, 11
	s_mov_b32 s3, -1
	s_cselect_b32 s1, -1, 0
.LBB6_1105:
	s_delay_alu instid0(SALU_CYCLE_1)
	s_and_b32 vcc_lo, exec_lo, s1
	s_mov_b32 s1, s13
	s_cbranch_vccnz .LBB6_1166
; %bb.1106:
	s_and_not1_b32 vcc_lo, exec_lo, s3
	s_cbranch_vccnz .LBB6_1108
.LBB6_1107:
	global_load_u8 v0, v[4:5], off
	s_mov_b32 s14, -1
	s_wait_loadcnt 0x0
	v_cmp_ne_u16_e32 vcc_lo, 0, v0
	v_mov_b32_e32 v0, 0
	v_cndmask_b32_e64 v1, 0, 0x3ff00000, vcc_lo
.LBB6_1108:
	s_branch .LBB6_1037
.LBB6_1109:
	s_cmp_lt_i32 s0, 5
	s_cbranch_scc1 .LBB6_1114
; %bb.1110:
	s_cmp_lt_i32 s0, 8
	s_cbranch_scc1 .LBB6_1115
; %bb.1111:
	;; [unrolled: 3-line block ×3, first 2 shown]
	s_cmp_gt_i32 s0, 9
	s_cbranch_scc0 .LBB6_1117
; %bb.1113:
	global_load_b64 v[0:1], v[4:5], off
	s_mov_b32 s3, 0
	s_branch .LBB6_1118
.LBB6_1114:
                                        ; implicit-def: $vgpr0_vgpr1
	s_branch .LBB6_1135
.LBB6_1115:
                                        ; implicit-def: $vgpr0_vgpr1
	s_branch .LBB6_1124
.LBB6_1116:
	s_mov_b32 s3, -1
                                        ; implicit-def: $vgpr0_vgpr1
	s_branch .LBB6_1121
.LBB6_1117:
	s_mov_b32 s3, -1
                                        ; implicit-def: $vgpr0_vgpr1
.LBB6_1118:
	s_delay_alu instid0(SALU_CYCLE_1)
	s_and_not1_b32 vcc_lo, exec_lo, s3
	s_cbranch_vccnz .LBB6_1120
; %bb.1119:
	s_wait_loadcnt 0x0
	global_load_b32 v0, v[4:5], off
	s_wait_loadcnt 0x0
	v_cvt_f64_f32_e32 v[0:1], v0
.LBB6_1120:
	s_mov_b32 s3, 0
.LBB6_1121:
	s_delay_alu instid0(SALU_CYCLE_1)
	s_and_not1_b32 vcc_lo, exec_lo, s3
	s_cbranch_vccnz .LBB6_1123
; %bb.1122:
	s_wait_loadcnt 0x0
	global_load_b32 v0, v[4:5], off
	s_wait_loadcnt 0x0
	v_cvt_f32_f16_e32 v0, v0
	s_delay_alu instid0(VALU_DEP_1)
	v_cvt_f64_f32_e32 v[0:1], v0
.LBB6_1123:
	s_cbranch_execnz .LBB6_1134
.LBB6_1124:
	s_cmp_lt_i32 s0, 6
	s_cbranch_scc1 .LBB6_1127
; %bb.1125:
	s_cmp_gt_i32 s0, 6
	s_cbranch_scc0 .LBB6_1128
; %bb.1126:
	s_wait_loadcnt 0x0
	global_load_b64 v[0:1], v[4:5], off
	s_mov_b32 s3, 0
	s_branch .LBB6_1129
.LBB6_1127:
	s_mov_b32 s3, -1
                                        ; implicit-def: $vgpr0_vgpr1
	s_branch .LBB6_1132
.LBB6_1128:
	s_mov_b32 s3, -1
                                        ; implicit-def: $vgpr0_vgpr1
.LBB6_1129:
	s_delay_alu instid0(SALU_CYCLE_1)
	s_and_not1_b32 vcc_lo, exec_lo, s3
	s_cbranch_vccnz .LBB6_1131
; %bb.1130:
	s_wait_loadcnt 0x0
	global_load_b32 v0, v[4:5], off
	s_wait_loadcnt 0x0
	v_cvt_f64_f32_e32 v[0:1], v0
.LBB6_1131:
	s_mov_b32 s3, 0
.LBB6_1132:
	s_delay_alu instid0(SALU_CYCLE_1)
	s_and_not1_b32 vcc_lo, exec_lo, s3
	s_cbranch_vccnz .LBB6_1134
; %bb.1133:
	s_wait_loadcnt 0x0
	global_load_u16 v0, v[4:5], off
	s_wait_loadcnt 0x0
	v_cvt_f32_f16_e32 v0, v0
	s_delay_alu instid0(VALU_DEP_1)
	v_cvt_f64_f32_e32 v[0:1], v0
.LBB6_1134:
	s_cbranch_execnz .LBB6_1153
.LBB6_1135:
	s_cmp_lt_i32 s0, 2
	s_cbranch_scc1 .LBB6_1139
; %bb.1136:
	s_cmp_lt_i32 s0, 3
	s_cbranch_scc1 .LBB6_1140
; %bb.1137:
	s_cmp_gt_i32 s0, 3
	s_cbranch_scc0 .LBB6_1141
; %bb.1138:
	s_wait_loadcnt 0x0
	global_load_b64 v[0:1], v[4:5], off
	s_mov_b32 s3, 0
	s_wait_loadcnt 0x0
	v_cvt_f64_i32_e32 v[6:7], v1
	v_cvt_f64_u32_e32 v[0:1], v0
	s_delay_alu instid0(VALU_DEP_2) | instskip(NEXT) | instid1(VALU_DEP_1)
	v_ldexp_f64 v[6:7], v[6:7], 32
	v_add_f64_e32 v[0:1], v[6:7], v[0:1]
	s_branch .LBB6_1142
.LBB6_1139:
                                        ; implicit-def: $vgpr0_vgpr1
	s_branch .LBB6_1148
.LBB6_1140:
	s_mov_b32 s3, -1
                                        ; implicit-def: $vgpr0_vgpr1
	s_branch .LBB6_1145
.LBB6_1141:
	s_mov_b32 s3, -1
                                        ; implicit-def: $vgpr0_vgpr1
.LBB6_1142:
	s_delay_alu instid0(SALU_CYCLE_1)
	s_and_not1_b32 vcc_lo, exec_lo, s3
	s_cbranch_vccnz .LBB6_1144
; %bb.1143:
	s_wait_loadcnt 0x0
	global_load_b32 v0, v[4:5], off
	s_wait_loadcnt 0x0
	v_cvt_f64_i32_e32 v[0:1], v0
.LBB6_1144:
	s_mov_b32 s3, 0
.LBB6_1145:
	s_delay_alu instid0(SALU_CYCLE_1)
	s_and_not1_b32 vcc_lo, exec_lo, s3
	s_cbranch_vccnz .LBB6_1147
; %bb.1146:
	s_wait_loadcnt 0x0
	global_load_i16 v0, v[4:5], off
	s_wait_loadcnt 0x0
	v_cvt_f64_i32_e32 v[0:1], v0
.LBB6_1147:
	s_cbranch_execnz .LBB6_1153
.LBB6_1148:
	s_cmp_gt_i32 s0, 0
	s_mov_b32 s3, 0
	s_cbranch_scc0 .LBB6_1150
; %bb.1149:
	s_wait_loadcnt 0x0
	global_load_i8 v0, v[4:5], off
	s_wait_loadcnt 0x0
	v_cvt_f64_i32_e32 v[0:1], v0
	s_branch .LBB6_1151
.LBB6_1150:
	s_mov_b32 s3, -1
                                        ; implicit-def: $vgpr0_vgpr1
.LBB6_1151:
	s_delay_alu instid0(SALU_CYCLE_1)
	s_and_not1_b32 vcc_lo, exec_lo, s3
	s_cbranch_vccnz .LBB6_1153
; %bb.1152:
	s_wait_loadcnt 0x0
	global_load_u8 v0, v[4:5], off
	s_wait_loadcnt 0x0
	v_cvt_f64_u32_e32 v[0:1], v0
.LBB6_1153:
.LBB6_1154:
	s_lshl_b32 s3, s9, 7
	s_cmp_lt_i32 s0, 11
	v_add_nc_u32_e32 v2, s3, v2
	s_delay_alu instid0(VALU_DEP_1) | instskip(SKIP_1) | instid1(VALU_DEP_1)
	v_ashrrev_i32_e32 v3, 31, v2
	s_wait_xcnt 0x0
	v_add_nc_u64_e32 v[4:5], s[6:7], v[2:3]
	s_cbranch_scc1 .LBB6_1161
; %bb.1155:
	s_cmp_gt_i32 s0, 25
	s_mov_b32 s14, 0
	s_cbranch_scc0 .LBB6_1163
; %bb.1156:
	s_cmp_gt_i32 s0, 28
	s_cbranch_scc0 .LBB6_1164
; %bb.1157:
	s_cmp_gt_i32 s0, 43
	;; [unrolled: 3-line block ×3, first 2 shown]
	s_cbranch_scc0 .LBB6_1167
; %bb.1159:
	s_cmp_eq_u32 s0, 46
	s_mov_b32 s16, 0
	s_cbranch_scc0 .LBB6_1170
; %bb.1160:
	global_load_b32 v3, v[4:5], off
	s_mov_b32 s9, 0
	s_mov_b32 s15, -1
	s_wait_loadcnt 0x0
	v_lshlrev_b32_e32 v3, 16, v3
	s_delay_alu instid0(VALU_DEP_1)
	v_cvt_f64_f32_e32 v[8:9], v3
	s_branch .LBB6_1172
.LBB6_1161:
	s_mov_b32 s15, 0
                                        ; implicit-def: $vgpr8_vgpr9
	s_cbranch_execnz .LBB6_1237
.LBB6_1162:
	s_and_not1_b32 vcc_lo, exec_lo, s15
	s_cbranch_vccz .LBB6_1284
	s_branch .LBB6_1975
.LBB6_1163:
	s_mov_b32 s15, 0
	s_mov_b32 s9, 0
                                        ; implicit-def: $vgpr8_vgpr9
	s_cbranch_execnz .LBB6_1201
	s_branch .LBB6_1233
.LBB6_1164:
	s_mov_b32 s16, -1
	s_mov_b32 s15, 0
	s_mov_b32 s9, 0
                                        ; implicit-def: $vgpr8_vgpr9
	s_branch .LBB6_1182
.LBB6_1165:
	s_mov_b32 s16, -1
	s_mov_b32 s15, 0
	s_mov_b32 s9, 0
                                        ; implicit-def: $vgpr8_vgpr9
	s_branch .LBB6_1177
.LBB6_1166:
	s_or_b32 s1, s13, exec_lo
	s_trap 2
	s_cbranch_execz .LBB6_1107
	s_branch .LBB6_1108
.LBB6_1167:
	s_mov_b32 s16, -1
	s_mov_b32 s15, 0
	s_mov_b32 s9, 0
	s_branch .LBB6_1171
.LBB6_1168:
	s_and_not1_saveexec_b32 s21, s21
	s_cbranch_execz .LBB6_950
.LBB6_1169:
	v_add_f32_e64 v3, 0x42800000, |v2|
	s_and_not1_b32 s20, s20, exec_lo
	s_delay_alu instid0(VALU_DEP_1) | instskip(NEXT) | instid1(VALU_DEP_1)
	v_and_b32_e32 v3, 0xff, v3
	v_cmp_ne_u32_e32 vcc_lo, 0, v3
	s_and_b32 s22, vcc_lo, exec_lo
	s_delay_alu instid0(SALU_CYCLE_1)
	s_or_b32 s20, s20, s22
	s_or_b32 exec_lo, exec_lo, s21
	v_mov_b32_e32 v6, 0
	s_and_saveexec_b32 s21, s20
	s_cbranch_execnz .LBB6_951
	s_branch .LBB6_952
.LBB6_1170:
	s_mov_b32 s9, -1
	s_mov_b32 s15, 0
.LBB6_1171:
                                        ; implicit-def: $vgpr8_vgpr9
.LBB6_1172:
	s_and_b32 vcc_lo, exec_lo, s16
	s_cbranch_vccz .LBB6_1176
; %bb.1173:
	s_cmp_eq_u32 s0, 44
	s_cbranch_scc0 .LBB6_1175
; %bb.1174:
	global_load_u8 v3, v[4:5], off
	s_mov_b32 s9, 0
	s_mov_b32 s15, -1
	s_wait_loadcnt 0x0
	v_lshlrev_b32_e32 v6, 23, v3
	v_cmp_ne_u32_e32 vcc_lo, 0xff, v3
	s_delay_alu instid0(VALU_DEP_2) | instskip(NEXT) | instid1(VALU_DEP_1)
	v_cvt_f64_f32_e32 v[6:7], v6
	v_cndmask_b32_e32 v6, 0x20000000, v6, vcc_lo
	s_delay_alu instid0(VALU_DEP_2) | instskip(SKIP_1) | instid1(VALU_DEP_2)
	v_cndmask_b32_e32 v7, 0x7ff80000, v7, vcc_lo
	v_cmp_ne_u32_e32 vcc_lo, 0, v3
	v_cndmask_b32_e32 v9, 0x38000000, v7, vcc_lo
	s_delay_alu instid0(VALU_DEP_4)
	v_cndmask_b32_e32 v8, 0, v6, vcc_lo
	s_branch .LBB6_1176
.LBB6_1175:
	s_mov_b32 s9, -1
                                        ; implicit-def: $vgpr8_vgpr9
.LBB6_1176:
	s_mov_b32 s16, 0
.LBB6_1177:
	s_delay_alu instid0(SALU_CYCLE_1)
	s_and_b32 vcc_lo, exec_lo, s16
	s_cbranch_vccz .LBB6_1181
; %bb.1178:
	s_cmp_eq_u32 s0, 29
	s_cbranch_scc0 .LBB6_1180
; %bb.1179:
	global_load_b64 v[6:7], v[4:5], off
	s_mov_b32 s9, 0
	s_mov_b32 s15, -1
	s_mov_b32 s16, 0
	s_wait_loadcnt 0x0
	v_cvt_f64_u32_e32 v[8:9], v7
	v_cvt_f64_u32_e32 v[6:7], v6
	s_delay_alu instid0(VALU_DEP_2) | instskip(NEXT) | instid1(VALU_DEP_1)
	v_ldexp_f64 v[8:9], v[8:9], 32
	v_add_f64_e32 v[8:9], v[8:9], v[6:7]
	s_branch .LBB6_1182
.LBB6_1180:
	s_mov_b32 s9, -1
                                        ; implicit-def: $vgpr8_vgpr9
.LBB6_1181:
	s_mov_b32 s16, 0
.LBB6_1182:
	s_delay_alu instid0(SALU_CYCLE_1)
	s_and_b32 vcc_lo, exec_lo, s16
	s_cbranch_vccz .LBB6_1200
; %bb.1183:
	s_cmp_lt_i32 s0, 27
	s_cbranch_scc1 .LBB6_1186
; %bb.1184:
	s_cmp_gt_i32 s0, 27
	s_cbranch_scc0 .LBB6_1187
; %bb.1185:
	global_load_b32 v3, v[4:5], off
	s_mov_b32 s15, 0
	s_wait_loadcnt 0x0
	v_cvt_f64_u32_e32 v[8:9], v3
	s_branch .LBB6_1188
.LBB6_1186:
	s_mov_b32 s15, -1
                                        ; implicit-def: $vgpr8_vgpr9
	s_branch .LBB6_1191
.LBB6_1187:
	s_mov_b32 s15, -1
                                        ; implicit-def: $vgpr8_vgpr9
.LBB6_1188:
	s_delay_alu instid0(SALU_CYCLE_1)
	s_and_not1_b32 vcc_lo, exec_lo, s15
	s_cbranch_vccnz .LBB6_1190
; %bb.1189:
	global_load_u16 v3, v[4:5], off
	s_wait_loadcnt 0x0
	v_cvt_f64_u32_e32 v[8:9], v3
.LBB6_1190:
	s_mov_b32 s15, 0
.LBB6_1191:
	s_delay_alu instid0(SALU_CYCLE_1)
	s_and_not1_b32 vcc_lo, exec_lo, s15
	s_cbranch_vccnz .LBB6_1199
; %bb.1192:
	global_load_u8 v3, v[4:5], off
	s_mov_b32 s15, 0
	s_mov_b32 s16, exec_lo
	s_wait_loadcnt 0x0
	v_cmpx_lt_i16_e32 0x7f, v3
	s_xor_b32 s16, exec_lo, s16
	s_cbranch_execz .LBB6_1212
; %bb.1193:
	s_mov_b32 s15, -1
	s_mov_b32 s17, exec_lo
	v_cmpx_eq_u16_e32 0x80, v3
; %bb.1194:
	s_xor_b32 s15, exec_lo, -1
; %bb.1195:
	s_or_b32 exec_lo, exec_lo, s17
	s_delay_alu instid0(SALU_CYCLE_1)
	s_and_b32 s15, s15, exec_lo
	s_or_saveexec_b32 s16, s16
	v_mov_b64_e32 v[8:9], 0x7ff8000020000000
	s_xor_b32 exec_lo, exec_lo, s16
	s_cbranch_execnz .LBB6_1213
.LBB6_1196:
	s_or_b32 exec_lo, exec_lo, s16
	s_and_saveexec_b32 s16, s15
	s_cbranch_execz .LBB6_1198
.LBB6_1197:
	v_and_b32_e32 v6, 0xffff, v3
	s_delay_alu instid0(VALU_DEP_1) | instskip(SKIP_1) | instid1(VALU_DEP_2)
	v_and_b32_e32 v7, 7, v6
	v_bfe_u32 v11, v6, 3, 4
	v_clz_i32_u32_e32 v8, v7
	s_delay_alu instid0(VALU_DEP_2) | instskip(NEXT) | instid1(VALU_DEP_2)
	v_cmp_eq_u32_e32 vcc_lo, 0, v11
	v_min_u32_e32 v8, 32, v8
	s_delay_alu instid0(VALU_DEP_1) | instskip(NEXT) | instid1(VALU_DEP_1)
	v_subrev_nc_u32_e32 v9, 28, v8
	v_dual_lshlrev_b32 v6, v9, v6 :: v_dual_sub_nc_u32 v8, 29, v8
	s_delay_alu instid0(VALU_DEP_1) | instskip(NEXT) | instid1(VALU_DEP_2)
	v_dual_lshlrev_b32 v3, 24, v3 :: v_dual_bitop2_b32 v6, 7, v6 bitop3:0x40
	v_cndmask_b32_e32 v8, v11, v8, vcc_lo
	s_delay_alu instid0(VALU_DEP_2) | instskip(NEXT) | instid1(VALU_DEP_3)
	v_cndmask_b32_e32 v6, v7, v6, vcc_lo
	v_and_b32_e32 v3, 0x80000000, v3
	s_delay_alu instid0(VALU_DEP_3) | instskip(NEXT) | instid1(VALU_DEP_3)
	v_lshl_add_u32 v7, v8, 23, 0x3b800000
	v_lshlrev_b32_e32 v6, 20, v6
	s_delay_alu instid0(VALU_DEP_1) | instskip(NEXT) | instid1(VALU_DEP_1)
	v_or3_b32 v3, v3, v7, v6
	v_cvt_f64_f32_e32 v[8:9], v3
.LBB6_1198:
	s_or_b32 exec_lo, exec_lo, s16
.LBB6_1199:
	s_mov_b32 s15, -1
.LBB6_1200:
	s_branch .LBB6_1233
.LBB6_1201:
	s_cmp_gt_i32 s0, 22
	s_cbranch_scc0 .LBB6_1211
; %bb.1202:
	s_cmp_lt_i32 s0, 24
	s_cbranch_scc1 .LBB6_1214
; %bb.1203:
	s_cmp_gt_i32 s0, 24
	s_cbranch_scc0 .LBB6_1215
; %bb.1204:
	global_load_u8 v3, v[4:5], off
	s_mov_b32 s15, exec_lo
	s_wait_loadcnt 0x0
	v_cmpx_lt_i16_e32 0x7f, v3
	s_xor_b32 s15, exec_lo, s15
	s_cbranch_execz .LBB6_1227
; %bb.1205:
	s_mov_b32 s14, -1
	s_mov_b32 s16, exec_lo
	v_cmpx_eq_u16_e32 0x80, v3
; %bb.1206:
	s_xor_b32 s14, exec_lo, -1
; %bb.1207:
	s_or_b32 exec_lo, exec_lo, s16
	s_delay_alu instid0(SALU_CYCLE_1)
	s_and_b32 s14, s14, exec_lo
	s_or_saveexec_b32 s15, s15
	v_mov_b64_e32 v[8:9], 0x7ff8000020000000
	s_xor_b32 exec_lo, exec_lo, s15
	s_cbranch_execnz .LBB6_1228
.LBB6_1208:
	s_or_b32 exec_lo, exec_lo, s15
	s_and_saveexec_b32 s15, s14
	s_cbranch_execz .LBB6_1210
.LBB6_1209:
	v_and_b32_e32 v6, 0xffff, v3
	s_delay_alu instid0(VALU_DEP_1) | instskip(SKIP_1) | instid1(VALU_DEP_2)
	v_and_b32_e32 v7, 3, v6
	v_bfe_u32 v11, v6, 2, 5
	v_clz_i32_u32_e32 v8, v7
	s_delay_alu instid0(VALU_DEP_2) | instskip(NEXT) | instid1(VALU_DEP_2)
	v_cmp_eq_u32_e32 vcc_lo, 0, v11
	v_min_u32_e32 v8, 32, v8
	s_delay_alu instid0(VALU_DEP_1) | instskip(NEXT) | instid1(VALU_DEP_1)
	v_subrev_nc_u32_e32 v9, 29, v8
	v_dual_lshlrev_b32 v6, v9, v6 :: v_dual_sub_nc_u32 v8, 30, v8
	s_delay_alu instid0(VALU_DEP_1) | instskip(NEXT) | instid1(VALU_DEP_2)
	v_dual_lshlrev_b32 v3, 24, v3 :: v_dual_bitop2_b32 v6, 3, v6 bitop3:0x40
	v_cndmask_b32_e32 v8, v11, v8, vcc_lo
	s_delay_alu instid0(VALU_DEP_2) | instskip(NEXT) | instid1(VALU_DEP_3)
	v_cndmask_b32_e32 v6, v7, v6, vcc_lo
	v_and_b32_e32 v3, 0x80000000, v3
	s_delay_alu instid0(VALU_DEP_3) | instskip(NEXT) | instid1(VALU_DEP_3)
	v_lshl_add_u32 v7, v8, 23, 0x37800000
	v_lshlrev_b32_e32 v6, 21, v6
	s_delay_alu instid0(VALU_DEP_1) | instskip(NEXT) | instid1(VALU_DEP_1)
	v_or3_b32 v3, v3, v7, v6
	v_cvt_f64_f32_e32 v[8:9], v3
.LBB6_1210:
	s_or_b32 exec_lo, exec_lo, s15
	s_mov_b32 s14, 0
	s_branch .LBB6_1216
.LBB6_1211:
	s_mov_b32 s14, -1
                                        ; implicit-def: $vgpr8_vgpr9
	s_branch .LBB6_1222
.LBB6_1212:
	s_or_saveexec_b32 s16, s16
	v_mov_b64_e32 v[8:9], 0x7ff8000020000000
	s_xor_b32 exec_lo, exec_lo, s16
	s_cbranch_execz .LBB6_1196
.LBB6_1213:
	v_cmp_ne_u16_e32 vcc_lo, 0, v3
	v_mov_b64_e32 v[8:9], 0
	s_and_not1_b32 s15, s15, exec_lo
	s_and_b32 s17, vcc_lo, exec_lo
	s_delay_alu instid0(SALU_CYCLE_1)
	s_or_b32 s15, s15, s17
	s_or_b32 exec_lo, exec_lo, s16
	s_and_saveexec_b32 s16, s15
	s_cbranch_execnz .LBB6_1197
	s_branch .LBB6_1198
.LBB6_1214:
	s_mov_b32 s14, -1
                                        ; implicit-def: $vgpr8_vgpr9
	s_branch .LBB6_1219
.LBB6_1215:
	s_mov_b32 s14, -1
                                        ; implicit-def: $vgpr8_vgpr9
.LBB6_1216:
	s_delay_alu instid0(SALU_CYCLE_1)
	s_and_b32 vcc_lo, exec_lo, s14
	s_cbranch_vccz .LBB6_1218
; %bb.1217:
	global_load_u8 v3, v[4:5], off
	s_wait_loadcnt 0x0
	v_lshlrev_b32_e32 v3, 24, v3
	s_delay_alu instid0(VALU_DEP_1) | instskip(NEXT) | instid1(VALU_DEP_1)
	v_and_b32_e32 v6, 0x7f000000, v3
	v_clz_i32_u32_e32 v7, v6
	v_cmp_ne_u32_e32 vcc_lo, 0, v6
	v_add_nc_u32_e32 v9, 0x1000000, v6
	s_delay_alu instid0(VALU_DEP_3) | instskip(NEXT) | instid1(VALU_DEP_1)
	v_min_u32_e32 v7, 32, v7
	v_sub_nc_u32_e64 v7, v7, 4 clamp
	s_delay_alu instid0(VALU_DEP_1) | instskip(NEXT) | instid1(VALU_DEP_1)
	v_dual_lshlrev_b32 v8, v7, v6 :: v_dual_lshlrev_b32 v7, 23, v7
	v_lshrrev_b32_e32 v8, 4, v8
	s_delay_alu instid0(VALU_DEP_1) | instskip(NEXT) | instid1(VALU_DEP_1)
	v_dual_sub_nc_u32 v7, v8, v7 :: v_dual_ashrrev_i32 v8, 8, v9
	v_add_nc_u32_e32 v7, 0x3c000000, v7
	s_delay_alu instid0(VALU_DEP_1) | instskip(NEXT) | instid1(VALU_DEP_1)
	v_and_or_b32 v7, 0x7f800000, v8, v7
	v_cndmask_b32_e32 v6, 0, v7, vcc_lo
	s_delay_alu instid0(VALU_DEP_1) | instskip(NEXT) | instid1(VALU_DEP_1)
	v_and_or_b32 v3, 0x80000000, v3, v6
	v_cvt_f64_f32_e32 v[8:9], v3
.LBB6_1218:
	s_mov_b32 s14, 0
.LBB6_1219:
	s_delay_alu instid0(SALU_CYCLE_1)
	s_and_not1_b32 vcc_lo, exec_lo, s14
	s_cbranch_vccnz .LBB6_1221
; %bb.1220:
	global_load_u8 v3, v[4:5], off
	s_wait_loadcnt 0x0
	v_lshlrev_b32_e32 v6, 25, v3
	v_lshlrev_b16 v3, 8, v3
	s_delay_alu instid0(VALU_DEP_1) | instskip(SKIP_1) | instid1(VALU_DEP_2)
	v_and_or_b32 v8, 0x7f00, v3, 0.5
	v_bfe_i32 v3, v3, 0, 16
	v_dual_add_f32 v8, -0.5, v8 :: v_dual_lshrrev_b32 v7, 4, v6
	v_cmp_gt_u32_e32 vcc_lo, 0x8000000, v6
	s_delay_alu instid0(VALU_DEP_2) | instskip(NEXT) | instid1(VALU_DEP_1)
	v_or_b32_e32 v7, 0x70000000, v7
	v_mul_f32_e32 v7, 0x7800000, v7
	s_delay_alu instid0(VALU_DEP_1) | instskip(NEXT) | instid1(VALU_DEP_1)
	v_cndmask_b32_e32 v6, v7, v8, vcc_lo
	v_and_or_b32 v3, 0x80000000, v3, v6
	s_delay_alu instid0(VALU_DEP_1)
	v_cvt_f64_f32_e32 v[8:9], v3
.LBB6_1221:
	s_mov_b32 s14, 0
	s_mov_b32 s15, -1
.LBB6_1222:
	s_and_not1_b32 vcc_lo, exec_lo, s14
	s_mov_b32 s14, 0
	s_cbranch_vccnz .LBB6_1233
; %bb.1223:
	s_cmp_gt_i32 s0, 14
	s_cbranch_scc0 .LBB6_1226
; %bb.1224:
	s_cmp_eq_u32 s0, 15
	s_cbranch_scc0 .LBB6_1229
; %bb.1225:
	global_load_u16 v3, v[4:5], off
	s_mov_b32 s9, 0
	s_mov_b32 s15, -1
	s_wait_loadcnt 0x0
	v_lshlrev_b32_e32 v3, 16, v3
	s_delay_alu instid0(VALU_DEP_1)
	v_cvt_f64_f32_e32 v[8:9], v3
	s_branch .LBB6_1231
.LBB6_1226:
	s_mov_b32 s14, -1
	s_branch .LBB6_1230
.LBB6_1227:
	s_or_saveexec_b32 s15, s15
	v_mov_b64_e32 v[8:9], 0x7ff8000020000000
	s_xor_b32 exec_lo, exec_lo, s15
	s_cbranch_execz .LBB6_1208
.LBB6_1228:
	v_cmp_ne_u16_e32 vcc_lo, 0, v3
	v_mov_b64_e32 v[8:9], 0
	s_and_not1_b32 s14, s14, exec_lo
	s_and_b32 s16, vcc_lo, exec_lo
	s_delay_alu instid0(SALU_CYCLE_1)
	s_or_b32 s14, s14, s16
	s_or_b32 exec_lo, exec_lo, s15
	s_and_saveexec_b32 s15, s14
	s_cbranch_execnz .LBB6_1209
	s_branch .LBB6_1210
.LBB6_1229:
	s_mov_b32 s9, -1
.LBB6_1230:
                                        ; implicit-def: $vgpr8_vgpr9
.LBB6_1231:
	s_and_b32 vcc_lo, exec_lo, s14
	s_mov_b32 s14, 0
	s_cbranch_vccz .LBB6_1233
; %bb.1232:
	s_cmp_lg_u32 s0, 11
	s_mov_b32 s14, -1
	s_cselect_b32 s9, -1, 0
.LBB6_1233:
	s_delay_alu instid0(SALU_CYCLE_1)
	s_and_b32 vcc_lo, exec_lo, s9
	s_cbranch_vccnz .LBB6_1296
; %bb.1234:
	s_and_not1_b32 vcc_lo, exec_lo, s14
	s_cbranch_vccnz .LBB6_1236
.LBB6_1235:
	global_load_u8 v3, v[4:5], off
	v_mov_b32_e32 v8, 0
	s_mov_b32 s15, -1
	s_wait_loadcnt 0x0
	v_cmp_ne_u16_e32 vcc_lo, 0, v3
	v_cndmask_b32_e64 v9, 0, 0x3ff00000, vcc_lo
.LBB6_1236:
	s_branch .LBB6_1162
.LBB6_1237:
	s_cmp_lt_i32 s0, 5
	s_cbranch_scc1 .LBB6_1242
; %bb.1238:
	s_cmp_lt_i32 s0, 8
	s_cbranch_scc1 .LBB6_1243
; %bb.1239:
	;; [unrolled: 3-line block ×3, first 2 shown]
	s_cmp_gt_i32 s0, 9
	s_cbranch_scc0 .LBB6_1245
; %bb.1241:
	global_load_b64 v[8:9], v[4:5], off
	s_mov_b32 s9, 0
	s_branch .LBB6_1246
.LBB6_1242:
                                        ; implicit-def: $vgpr8_vgpr9
	s_branch .LBB6_1264
.LBB6_1243:
	s_mov_b32 s9, -1
                                        ; implicit-def: $vgpr8_vgpr9
	s_branch .LBB6_1252
.LBB6_1244:
	s_mov_b32 s9, -1
                                        ; implicit-def: $vgpr8_vgpr9
	s_branch .LBB6_1249
.LBB6_1245:
	s_mov_b32 s9, -1
                                        ; implicit-def: $vgpr8_vgpr9
.LBB6_1246:
	s_delay_alu instid0(SALU_CYCLE_1)
	s_and_not1_b32 vcc_lo, exec_lo, s9
	s_cbranch_vccnz .LBB6_1248
; %bb.1247:
	global_load_b32 v3, v[4:5], off
	s_wait_loadcnt 0x0
	v_cvt_f64_f32_e32 v[8:9], v3
.LBB6_1248:
	s_mov_b32 s9, 0
.LBB6_1249:
	s_delay_alu instid0(SALU_CYCLE_1)
	s_and_not1_b32 vcc_lo, exec_lo, s9
	s_cbranch_vccnz .LBB6_1251
; %bb.1250:
	global_load_b32 v3, v[4:5], off
	s_wait_loadcnt 0x0
	v_cvt_f32_f16_e32 v3, v3
	s_delay_alu instid0(VALU_DEP_1)
	v_cvt_f64_f32_e32 v[8:9], v3
.LBB6_1251:
	s_mov_b32 s9, 0
.LBB6_1252:
	s_delay_alu instid0(SALU_CYCLE_1)
	s_and_not1_b32 vcc_lo, exec_lo, s9
	s_cbranch_vccnz .LBB6_1263
; %bb.1253:
	s_cmp_lt_i32 s0, 6
	s_cbranch_scc1 .LBB6_1256
; %bb.1254:
	s_cmp_gt_i32 s0, 6
	s_cbranch_scc0 .LBB6_1257
; %bb.1255:
	s_wait_loadcnt 0x0
	global_load_b64 v[8:9], v[4:5], off
	s_mov_b32 s9, 0
	s_branch .LBB6_1258
.LBB6_1256:
	s_mov_b32 s9, -1
                                        ; implicit-def: $vgpr8_vgpr9
	s_branch .LBB6_1261
.LBB6_1257:
	s_mov_b32 s9, -1
                                        ; implicit-def: $vgpr8_vgpr9
.LBB6_1258:
	s_delay_alu instid0(SALU_CYCLE_1)
	s_and_not1_b32 vcc_lo, exec_lo, s9
	s_cbranch_vccnz .LBB6_1260
; %bb.1259:
	global_load_b32 v3, v[4:5], off
	s_wait_loadcnt 0x0
	v_cvt_f64_f32_e32 v[8:9], v3
.LBB6_1260:
	s_mov_b32 s9, 0
.LBB6_1261:
	s_delay_alu instid0(SALU_CYCLE_1)
	s_and_not1_b32 vcc_lo, exec_lo, s9
	s_cbranch_vccnz .LBB6_1263
; %bb.1262:
	global_load_u16 v3, v[4:5], off
	s_wait_loadcnt 0x0
	v_cvt_f32_f16_e32 v3, v3
	s_delay_alu instid0(VALU_DEP_1)
	v_cvt_f64_f32_e32 v[8:9], v3
.LBB6_1263:
	s_cbranch_execnz .LBB6_1283
.LBB6_1264:
	s_cmp_lt_i32 s0, 2
	s_cbranch_scc1 .LBB6_1268
; %bb.1265:
	s_cmp_lt_i32 s0, 3
	s_cbranch_scc1 .LBB6_1269
; %bb.1266:
	s_cmp_gt_i32 s0, 3
	s_cbranch_scc0 .LBB6_1270
; %bb.1267:
	global_load_b64 v[6:7], v[4:5], off
	s_mov_b32 s9, 0
	s_wait_loadcnt 0x0
	v_cvt_f64_i32_e32 v[8:9], v7
	v_cvt_f64_u32_e32 v[6:7], v6
	s_delay_alu instid0(VALU_DEP_2) | instskip(NEXT) | instid1(VALU_DEP_1)
	v_ldexp_f64 v[8:9], v[8:9], 32
	v_add_f64_e32 v[8:9], v[8:9], v[6:7]
	s_branch .LBB6_1271
.LBB6_1268:
	s_mov_b32 s9, -1
                                        ; implicit-def: $vgpr8_vgpr9
	s_branch .LBB6_1277
.LBB6_1269:
	s_mov_b32 s9, -1
                                        ; implicit-def: $vgpr8_vgpr9
	s_branch .LBB6_1274
.LBB6_1270:
	s_mov_b32 s9, -1
                                        ; implicit-def: $vgpr8_vgpr9
.LBB6_1271:
	s_delay_alu instid0(SALU_CYCLE_1)
	s_and_not1_b32 vcc_lo, exec_lo, s9
	s_cbranch_vccnz .LBB6_1273
; %bb.1272:
	global_load_b32 v3, v[4:5], off
	s_wait_loadcnt 0x0
	v_cvt_f64_i32_e32 v[8:9], v3
.LBB6_1273:
	s_mov_b32 s9, 0
.LBB6_1274:
	s_delay_alu instid0(SALU_CYCLE_1)
	s_and_not1_b32 vcc_lo, exec_lo, s9
	s_cbranch_vccnz .LBB6_1276
; %bb.1275:
	global_load_i16 v3, v[4:5], off
	s_wait_loadcnt 0x0
	v_cvt_f64_i32_e32 v[8:9], v3
.LBB6_1276:
	s_mov_b32 s9, 0
.LBB6_1277:
	s_delay_alu instid0(SALU_CYCLE_1)
	s_and_not1_b32 vcc_lo, exec_lo, s9
	s_cbranch_vccnz .LBB6_1283
; %bb.1278:
	s_cmp_gt_i32 s0, 0
	s_mov_b32 s9, 0
	s_cbranch_scc0 .LBB6_1280
; %bb.1279:
	global_load_i8 v3, v[4:5], off
	s_wait_loadcnt 0x0
	v_cvt_f64_i32_e32 v[8:9], v3
	s_branch .LBB6_1281
.LBB6_1280:
	s_mov_b32 s9, -1
                                        ; implicit-def: $vgpr8_vgpr9
.LBB6_1281:
	s_delay_alu instid0(SALU_CYCLE_1)
	s_and_not1_b32 vcc_lo, exec_lo, s9
	s_cbranch_vccnz .LBB6_1283
; %bb.1282:
	global_load_u8 v3, v[4:5], off
	s_wait_loadcnt 0x0
	v_cvt_f64_u32_e32 v[8:9], v3
.LBB6_1283:
.LBB6_1284:
	v_add_nc_u32_e32 v2, s3, v2
	s_cmp_lt_i32 s0, 11
	s_delay_alu instid0(VALU_DEP_1) | instskip(SKIP_1) | instid1(VALU_DEP_1)
	v_ashrrev_i32_e32 v3, 31, v2
	s_wait_xcnt 0x0
	v_add_nc_u64_e32 v[4:5], s[6:7], v[2:3]
	s_cbranch_scc1 .LBB6_1291
; %bb.1285:
	s_cmp_gt_i32 s0, 25
	s_mov_b32 s14, 0
	s_cbranch_scc0 .LBB6_1293
; %bb.1286:
	s_cmp_gt_i32 s0, 28
	s_cbranch_scc0 .LBB6_1294
; %bb.1287:
	s_cmp_gt_i32 s0, 43
	;; [unrolled: 3-line block ×3, first 2 shown]
	s_cbranch_scc0 .LBB6_1297
; %bb.1289:
	s_cmp_eq_u32 s0, 46
	s_mov_b32 s16, 0
	s_cbranch_scc0 .LBB6_1298
; %bb.1290:
	global_load_b32 v3, v[4:5], off
	s_mov_b32 s9, 0
	s_mov_b32 s15, -1
	s_wait_loadcnt 0x0
	v_lshlrev_b32_e32 v3, 16, v3
	s_delay_alu instid0(VALU_DEP_1)
	v_cvt_f64_f32_e32 v[6:7], v3
	s_branch .LBB6_1300
.LBB6_1291:
	s_mov_b32 s15, 0
                                        ; implicit-def: $vgpr6_vgpr7
	s_cbranch_execnz .LBB6_1366
.LBB6_1292:
	s_and_not1_b32 vcc_lo, exec_lo, s15
	s_cbranch_vccz .LBB6_1414
	s_branch .LBB6_1975
.LBB6_1293:
	s_mov_b32 s16, -1
	s_mov_b32 s15, 0
	s_mov_b32 s9, 0
                                        ; implicit-def: $vgpr6_vgpr7
	s_branch .LBB6_1329
.LBB6_1294:
	s_mov_b32 s16, -1
	s_mov_b32 s15, 0
	s_mov_b32 s9, 0
                                        ; implicit-def: $vgpr6_vgpr7
	s_branch .LBB6_1310
.LBB6_1295:
	s_mov_b32 s16, -1
	s_mov_b32 s15, 0
	s_mov_b32 s9, 0
                                        ; implicit-def: $vgpr6_vgpr7
	s_branch .LBB6_1305
.LBB6_1296:
	s_or_b32 s1, s1, exec_lo
	s_trap 2
	s_cbranch_execz .LBB6_1235
	s_branch .LBB6_1236
.LBB6_1297:
	s_mov_b32 s16, -1
	s_mov_b32 s15, 0
	s_mov_b32 s9, 0
	s_branch .LBB6_1299
.LBB6_1298:
	s_mov_b32 s9, -1
	s_mov_b32 s15, 0
.LBB6_1299:
                                        ; implicit-def: $vgpr6_vgpr7
.LBB6_1300:
	s_and_b32 vcc_lo, exec_lo, s16
	s_cbranch_vccz .LBB6_1304
; %bb.1301:
	s_cmp_eq_u32 s0, 44
	s_cbranch_scc0 .LBB6_1303
; %bb.1302:
	global_load_u8 v3, v[4:5], off
	s_mov_b32 s9, 0
	s_mov_b32 s15, -1
	s_wait_loadcnt 0x0
	v_lshlrev_b32_e32 v6, 23, v3
	v_cmp_ne_u32_e32 vcc_lo, 0xff, v3
	s_delay_alu instid0(VALU_DEP_2) | instskip(NEXT) | instid1(VALU_DEP_1)
	v_cvt_f64_f32_e32 v[6:7], v6
	v_cndmask_b32_e32 v6, 0x20000000, v6, vcc_lo
	s_delay_alu instid0(VALU_DEP_2) | instskip(SKIP_1) | instid1(VALU_DEP_2)
	v_cndmask_b32_e32 v7, 0x7ff80000, v7, vcc_lo
	v_cmp_ne_u32_e32 vcc_lo, 0, v3
	v_cndmask_b32_e32 v7, 0x38000000, v7, vcc_lo
	s_delay_alu instid0(VALU_DEP_4)
	v_cndmask_b32_e32 v6, 0, v6, vcc_lo
	s_branch .LBB6_1304
.LBB6_1303:
	s_mov_b32 s9, -1
                                        ; implicit-def: $vgpr6_vgpr7
.LBB6_1304:
	s_mov_b32 s16, 0
.LBB6_1305:
	s_delay_alu instid0(SALU_CYCLE_1)
	s_and_b32 vcc_lo, exec_lo, s16
	s_cbranch_vccz .LBB6_1309
; %bb.1306:
	s_cmp_eq_u32 s0, 29
	s_cbranch_scc0 .LBB6_1308
; %bb.1307:
	global_load_b64 v[6:7], v[4:5], off
	s_mov_b32 s9, 0
	s_mov_b32 s15, -1
	s_mov_b32 s16, 0
	s_wait_loadcnt 0x0
	v_cvt_f64_u32_e32 v[12:13], v7
	v_cvt_f64_u32_e32 v[6:7], v6
	s_delay_alu instid0(VALU_DEP_2) | instskip(NEXT) | instid1(VALU_DEP_1)
	v_ldexp_f64 v[12:13], v[12:13], 32
	v_add_f64_e32 v[6:7], v[12:13], v[6:7]
	s_branch .LBB6_1310
.LBB6_1308:
	s_mov_b32 s9, -1
                                        ; implicit-def: $vgpr6_vgpr7
.LBB6_1309:
	s_mov_b32 s16, 0
.LBB6_1310:
	s_delay_alu instid0(SALU_CYCLE_1)
	s_and_b32 vcc_lo, exec_lo, s16
	s_cbranch_vccz .LBB6_1328
; %bb.1311:
	s_cmp_lt_i32 s0, 27
	s_cbranch_scc1 .LBB6_1314
; %bb.1312:
	s_cmp_gt_i32 s0, 27
	s_cbranch_scc0 .LBB6_1315
; %bb.1313:
	global_load_b32 v3, v[4:5], off
	s_mov_b32 s15, 0
	s_wait_loadcnt 0x0
	v_cvt_f64_u32_e32 v[6:7], v3
	s_branch .LBB6_1316
.LBB6_1314:
	s_mov_b32 s15, -1
                                        ; implicit-def: $vgpr6_vgpr7
	s_branch .LBB6_1319
.LBB6_1315:
	s_mov_b32 s15, -1
                                        ; implicit-def: $vgpr6_vgpr7
.LBB6_1316:
	s_delay_alu instid0(SALU_CYCLE_1)
	s_and_not1_b32 vcc_lo, exec_lo, s15
	s_cbranch_vccnz .LBB6_1318
; %bb.1317:
	global_load_u16 v3, v[4:5], off
	s_wait_loadcnt 0x0
	v_cvt_f64_u32_e32 v[6:7], v3
.LBB6_1318:
	s_mov_b32 s15, 0
.LBB6_1319:
	s_delay_alu instid0(SALU_CYCLE_1)
	s_and_not1_b32 vcc_lo, exec_lo, s15
	s_cbranch_vccnz .LBB6_1327
; %bb.1320:
	global_load_u8 v3, v[4:5], off
	s_mov_b32 s15, 0
	s_mov_b32 s16, exec_lo
	s_wait_loadcnt 0x0
	v_cmpx_lt_i16_e32 0x7f, v3
	s_xor_b32 s16, exec_lo, s16
	s_cbranch_execz .LBB6_1341
; %bb.1321:
	s_mov_b32 s15, -1
	s_mov_b32 s17, exec_lo
	v_cmpx_eq_u16_e32 0x80, v3
; %bb.1322:
	s_xor_b32 s15, exec_lo, -1
; %bb.1323:
	s_or_b32 exec_lo, exec_lo, s17
	s_delay_alu instid0(SALU_CYCLE_1)
	s_and_b32 s15, s15, exec_lo
	s_or_saveexec_b32 s16, s16
	v_mov_b64_e32 v[6:7], 0x7ff8000020000000
	s_xor_b32 exec_lo, exec_lo, s16
	s_cbranch_execnz .LBB6_1342
.LBB6_1324:
	s_or_b32 exec_lo, exec_lo, s16
	s_and_saveexec_b32 s16, s15
	s_cbranch_execz .LBB6_1326
.LBB6_1325:
	v_and_b32_e32 v6, 0xffff, v3
	s_delay_alu instid0(VALU_DEP_1) | instskip(SKIP_1) | instid1(VALU_DEP_2)
	v_and_b32_e32 v7, 7, v6
	v_bfe_u32 v13, v6, 3, 4
	v_clz_i32_u32_e32 v11, v7
	s_delay_alu instid0(VALU_DEP_2) | instskip(NEXT) | instid1(VALU_DEP_2)
	v_cmp_eq_u32_e32 vcc_lo, 0, v13
	v_min_u32_e32 v11, 32, v11
	s_delay_alu instid0(VALU_DEP_1) | instskip(NEXT) | instid1(VALU_DEP_1)
	v_subrev_nc_u32_e32 v12, 28, v11
	v_dual_lshlrev_b32 v6, v12, v6 :: v_dual_sub_nc_u32 v11, 29, v11
	s_delay_alu instid0(VALU_DEP_1) | instskip(NEXT) | instid1(VALU_DEP_1)
	v_dual_lshlrev_b32 v3, 24, v3 :: v_dual_bitop2_b32 v6, 7, v6 bitop3:0x40
	v_dual_cndmask_b32 v6, v7, v6 :: v_dual_cndmask_b32 v11, v13, v11
	s_delay_alu instid0(VALU_DEP_2) | instskip(NEXT) | instid1(VALU_DEP_2)
	v_and_b32_e32 v3, 0x80000000, v3
	v_lshlrev_b32_e32 v6, 20, v6
	s_delay_alu instid0(VALU_DEP_3) | instskip(NEXT) | instid1(VALU_DEP_1)
	v_lshl_add_u32 v7, v11, 23, 0x3b800000
	v_or3_b32 v3, v3, v7, v6
	s_delay_alu instid0(VALU_DEP_1)
	v_cvt_f64_f32_e32 v[6:7], v3
.LBB6_1326:
	s_or_b32 exec_lo, exec_lo, s16
.LBB6_1327:
	s_mov_b32 s15, -1
.LBB6_1328:
	s_mov_b32 s16, 0
.LBB6_1329:
	s_delay_alu instid0(SALU_CYCLE_1)
	s_and_b32 vcc_lo, exec_lo, s16
	s_cbranch_vccz .LBB6_1362
; %bb.1330:
	s_cmp_gt_i32 s0, 22
	s_cbranch_scc0 .LBB6_1340
; %bb.1331:
	s_cmp_lt_i32 s0, 24
	s_cbranch_scc1 .LBB6_1343
; %bb.1332:
	s_cmp_gt_i32 s0, 24
	s_cbranch_scc0 .LBB6_1344
; %bb.1333:
	global_load_u8 v3, v[4:5], off
	s_mov_b32 s15, exec_lo
	s_wait_loadcnt 0x0
	v_cmpx_lt_i16_e32 0x7f, v3
	s_xor_b32 s15, exec_lo, s15
	s_cbranch_execz .LBB6_1356
; %bb.1334:
	s_mov_b32 s14, -1
	s_mov_b32 s16, exec_lo
	v_cmpx_eq_u16_e32 0x80, v3
; %bb.1335:
	s_xor_b32 s14, exec_lo, -1
; %bb.1336:
	s_or_b32 exec_lo, exec_lo, s16
	s_delay_alu instid0(SALU_CYCLE_1)
	s_and_b32 s14, s14, exec_lo
	s_or_saveexec_b32 s15, s15
	v_mov_b64_e32 v[6:7], 0x7ff8000020000000
	s_xor_b32 exec_lo, exec_lo, s15
	s_cbranch_execnz .LBB6_1357
.LBB6_1337:
	s_or_b32 exec_lo, exec_lo, s15
	s_and_saveexec_b32 s15, s14
	s_cbranch_execz .LBB6_1339
.LBB6_1338:
	v_and_b32_e32 v6, 0xffff, v3
	s_delay_alu instid0(VALU_DEP_1) | instskip(SKIP_1) | instid1(VALU_DEP_2)
	v_and_b32_e32 v7, 3, v6
	v_bfe_u32 v13, v6, 2, 5
	v_clz_i32_u32_e32 v11, v7
	s_delay_alu instid0(VALU_DEP_2) | instskip(NEXT) | instid1(VALU_DEP_2)
	v_cmp_eq_u32_e32 vcc_lo, 0, v13
	v_min_u32_e32 v11, 32, v11
	s_delay_alu instid0(VALU_DEP_1) | instskip(NEXT) | instid1(VALU_DEP_1)
	v_subrev_nc_u32_e32 v12, 29, v11
	v_dual_lshlrev_b32 v6, v12, v6 :: v_dual_sub_nc_u32 v11, 30, v11
	s_delay_alu instid0(VALU_DEP_1) | instskip(NEXT) | instid1(VALU_DEP_1)
	v_dual_lshlrev_b32 v3, 24, v3 :: v_dual_bitop2_b32 v6, 3, v6 bitop3:0x40
	v_dual_cndmask_b32 v6, v7, v6 :: v_dual_cndmask_b32 v11, v13, v11
	s_delay_alu instid0(VALU_DEP_2) | instskip(NEXT) | instid1(VALU_DEP_2)
	v_and_b32_e32 v3, 0x80000000, v3
	v_lshlrev_b32_e32 v6, 21, v6
	s_delay_alu instid0(VALU_DEP_3) | instskip(NEXT) | instid1(VALU_DEP_1)
	v_lshl_add_u32 v7, v11, 23, 0x37800000
	v_or3_b32 v3, v3, v7, v6
	s_delay_alu instid0(VALU_DEP_1)
	v_cvt_f64_f32_e32 v[6:7], v3
.LBB6_1339:
	s_or_b32 exec_lo, exec_lo, s15
	s_mov_b32 s14, 0
	s_branch .LBB6_1345
.LBB6_1340:
	s_mov_b32 s14, -1
                                        ; implicit-def: $vgpr6_vgpr7
	s_branch .LBB6_1351
.LBB6_1341:
	s_or_saveexec_b32 s16, s16
	v_mov_b64_e32 v[6:7], 0x7ff8000020000000
	s_xor_b32 exec_lo, exec_lo, s16
	s_cbranch_execz .LBB6_1324
.LBB6_1342:
	v_cmp_ne_u16_e32 vcc_lo, 0, v3
	v_mov_b64_e32 v[6:7], 0
	s_and_not1_b32 s15, s15, exec_lo
	s_and_b32 s17, vcc_lo, exec_lo
	s_delay_alu instid0(SALU_CYCLE_1)
	s_or_b32 s15, s15, s17
	s_or_b32 exec_lo, exec_lo, s16
	s_and_saveexec_b32 s16, s15
	s_cbranch_execnz .LBB6_1325
	s_branch .LBB6_1326
.LBB6_1343:
	s_mov_b32 s14, -1
                                        ; implicit-def: $vgpr6_vgpr7
	s_branch .LBB6_1348
.LBB6_1344:
	s_mov_b32 s14, -1
                                        ; implicit-def: $vgpr6_vgpr7
.LBB6_1345:
	s_delay_alu instid0(SALU_CYCLE_1)
	s_and_b32 vcc_lo, exec_lo, s14
	s_cbranch_vccz .LBB6_1347
; %bb.1346:
	global_load_u8 v3, v[4:5], off
	s_wait_loadcnt 0x0
	v_lshlrev_b32_e32 v3, 24, v3
	s_delay_alu instid0(VALU_DEP_1) | instskip(NEXT) | instid1(VALU_DEP_1)
	v_and_b32_e32 v6, 0x7f000000, v3
	v_clz_i32_u32_e32 v7, v6
	v_add_nc_u32_e32 v12, 0x1000000, v6
	v_cmp_ne_u32_e32 vcc_lo, 0, v6
	s_delay_alu instid0(VALU_DEP_3) | instskip(NEXT) | instid1(VALU_DEP_1)
	v_min_u32_e32 v7, 32, v7
	v_sub_nc_u32_e64 v7, v7, 4 clamp
	s_delay_alu instid0(VALU_DEP_1) | instskip(NEXT) | instid1(VALU_DEP_1)
	v_dual_lshlrev_b32 v11, v7, v6 :: v_dual_lshlrev_b32 v7, 23, v7
	v_lshrrev_b32_e32 v11, 4, v11
	s_delay_alu instid0(VALU_DEP_1) | instskip(NEXT) | instid1(VALU_DEP_1)
	v_dual_sub_nc_u32 v7, v11, v7 :: v_dual_ashrrev_i32 v11, 8, v12
	v_add_nc_u32_e32 v7, 0x3c000000, v7
	s_delay_alu instid0(VALU_DEP_1) | instskip(NEXT) | instid1(VALU_DEP_1)
	v_and_or_b32 v7, 0x7f800000, v11, v7
	v_cndmask_b32_e32 v6, 0, v7, vcc_lo
	s_delay_alu instid0(VALU_DEP_1) | instskip(NEXT) | instid1(VALU_DEP_1)
	v_and_or_b32 v3, 0x80000000, v3, v6
	v_cvt_f64_f32_e32 v[6:7], v3
.LBB6_1347:
	s_mov_b32 s14, 0
.LBB6_1348:
	s_delay_alu instid0(SALU_CYCLE_1)
	s_and_not1_b32 vcc_lo, exec_lo, s14
	s_cbranch_vccnz .LBB6_1350
; %bb.1349:
	global_load_u8 v3, v[4:5], off
	s_wait_loadcnt 0x0
	v_lshlrev_b32_e32 v6, 25, v3
	v_lshlrev_b16 v3, 8, v3
	s_delay_alu instid0(VALU_DEP_2) | instskip(NEXT) | instid1(VALU_DEP_2)
	v_cmp_gt_u32_e32 vcc_lo, 0x8000000, v6
	v_and_or_b32 v11, 0x7f00, v3, 0.5
	v_lshrrev_b32_e32 v7, 4, v6
	v_bfe_i32 v3, v3, 0, 16
	s_delay_alu instid0(VALU_DEP_3) | instskip(NEXT) | instid1(VALU_DEP_3)
	v_add_f32_e32 v11, -0.5, v11
	v_or_b32_e32 v7, 0x70000000, v7
	s_delay_alu instid0(VALU_DEP_1) | instskip(NEXT) | instid1(VALU_DEP_1)
	v_mul_f32_e32 v7, 0x7800000, v7
	v_cndmask_b32_e32 v6, v7, v11, vcc_lo
	s_delay_alu instid0(VALU_DEP_1) | instskip(NEXT) | instid1(VALU_DEP_1)
	v_and_or_b32 v3, 0x80000000, v3, v6
	v_cvt_f64_f32_e32 v[6:7], v3
.LBB6_1350:
	s_mov_b32 s14, 0
	s_mov_b32 s15, -1
.LBB6_1351:
	s_and_not1_b32 vcc_lo, exec_lo, s14
	s_mov_b32 s14, 0
	s_cbranch_vccnz .LBB6_1362
; %bb.1352:
	s_cmp_gt_i32 s0, 14
	s_cbranch_scc0 .LBB6_1355
; %bb.1353:
	s_cmp_eq_u32 s0, 15
	s_cbranch_scc0 .LBB6_1358
; %bb.1354:
	global_load_u16 v3, v[4:5], off
	s_mov_b32 s9, 0
	s_mov_b32 s15, -1
	s_wait_loadcnt 0x0
	v_lshlrev_b32_e32 v3, 16, v3
	s_delay_alu instid0(VALU_DEP_1)
	v_cvt_f64_f32_e32 v[6:7], v3
	s_branch .LBB6_1360
.LBB6_1355:
	s_mov_b32 s14, -1
	s_branch .LBB6_1359
.LBB6_1356:
	s_or_saveexec_b32 s15, s15
	v_mov_b64_e32 v[6:7], 0x7ff8000020000000
	s_xor_b32 exec_lo, exec_lo, s15
	s_cbranch_execz .LBB6_1337
.LBB6_1357:
	v_cmp_ne_u16_e32 vcc_lo, 0, v3
	v_mov_b64_e32 v[6:7], 0
	s_and_not1_b32 s14, s14, exec_lo
	s_and_b32 s16, vcc_lo, exec_lo
	s_delay_alu instid0(SALU_CYCLE_1)
	s_or_b32 s14, s14, s16
	s_or_b32 exec_lo, exec_lo, s15
	s_and_saveexec_b32 s15, s14
	s_cbranch_execnz .LBB6_1338
	s_branch .LBB6_1339
.LBB6_1358:
	s_mov_b32 s9, -1
.LBB6_1359:
                                        ; implicit-def: $vgpr6_vgpr7
.LBB6_1360:
	s_and_b32 vcc_lo, exec_lo, s14
	s_mov_b32 s14, 0
	s_cbranch_vccz .LBB6_1362
; %bb.1361:
	s_cmp_lg_u32 s0, 11
	s_mov_b32 s14, -1
	s_cselect_b32 s9, -1, 0
.LBB6_1362:
	s_delay_alu instid0(SALU_CYCLE_1)
	s_and_b32 vcc_lo, exec_lo, s9
	s_cbranch_vccnz .LBB6_1425
; %bb.1363:
	s_and_not1_b32 vcc_lo, exec_lo, s14
	s_cbranch_vccnz .LBB6_1365
.LBB6_1364:
	global_load_u8 v3, v[4:5], off
	v_mov_b32_e32 v6, 0
	s_mov_b32 s15, -1
	s_wait_loadcnt 0x0
	v_cmp_ne_u16_e32 vcc_lo, 0, v3
	v_cndmask_b32_e64 v7, 0, 0x3ff00000, vcc_lo
.LBB6_1365:
	s_branch .LBB6_1292
.LBB6_1366:
	s_cmp_lt_i32 s0, 5
	s_cbranch_scc1 .LBB6_1371
; %bb.1367:
	s_cmp_lt_i32 s0, 8
	s_cbranch_scc1 .LBB6_1372
; %bb.1368:
	;; [unrolled: 3-line block ×3, first 2 shown]
	s_cmp_gt_i32 s0, 9
	s_cbranch_scc0 .LBB6_1374
; %bb.1370:
	global_load_b64 v[6:7], v[4:5], off
	s_mov_b32 s9, 0
	s_branch .LBB6_1375
.LBB6_1371:
	s_mov_b32 s9, -1
                                        ; implicit-def: $vgpr6_vgpr7
	s_branch .LBB6_1393
.LBB6_1372:
	s_mov_b32 s9, -1
                                        ; implicit-def: $vgpr6_vgpr7
	s_branch .LBB6_1381
.LBB6_1373:
	s_mov_b32 s9, -1
                                        ; implicit-def: $vgpr6_vgpr7
	s_branch .LBB6_1378
.LBB6_1374:
	s_mov_b32 s9, -1
                                        ; implicit-def: $vgpr6_vgpr7
.LBB6_1375:
	s_delay_alu instid0(SALU_CYCLE_1)
	s_and_not1_b32 vcc_lo, exec_lo, s9
	s_cbranch_vccnz .LBB6_1377
; %bb.1376:
	global_load_b32 v3, v[4:5], off
	s_wait_loadcnt 0x0
	v_cvt_f64_f32_e32 v[6:7], v3
.LBB6_1377:
	s_mov_b32 s9, 0
.LBB6_1378:
	s_delay_alu instid0(SALU_CYCLE_1)
	s_and_not1_b32 vcc_lo, exec_lo, s9
	s_cbranch_vccnz .LBB6_1380
; %bb.1379:
	global_load_b32 v3, v[4:5], off
	s_wait_loadcnt 0x0
	v_cvt_f32_f16_e32 v3, v3
	s_delay_alu instid0(VALU_DEP_1)
	v_cvt_f64_f32_e32 v[6:7], v3
.LBB6_1380:
	s_mov_b32 s9, 0
.LBB6_1381:
	s_delay_alu instid0(SALU_CYCLE_1)
	s_and_not1_b32 vcc_lo, exec_lo, s9
	s_cbranch_vccnz .LBB6_1392
; %bb.1382:
	s_cmp_lt_i32 s0, 6
	s_cbranch_scc1 .LBB6_1385
; %bb.1383:
	s_cmp_gt_i32 s0, 6
	s_cbranch_scc0 .LBB6_1386
; %bb.1384:
	s_wait_loadcnt 0x0
	global_load_b64 v[6:7], v[4:5], off
	s_mov_b32 s9, 0
	s_branch .LBB6_1387
.LBB6_1385:
	s_mov_b32 s9, -1
                                        ; implicit-def: $vgpr6_vgpr7
	s_branch .LBB6_1390
.LBB6_1386:
	s_mov_b32 s9, -1
                                        ; implicit-def: $vgpr6_vgpr7
.LBB6_1387:
	s_delay_alu instid0(SALU_CYCLE_1)
	s_and_not1_b32 vcc_lo, exec_lo, s9
	s_cbranch_vccnz .LBB6_1389
; %bb.1388:
	global_load_b32 v3, v[4:5], off
	s_wait_loadcnt 0x0
	v_cvt_f64_f32_e32 v[6:7], v3
.LBB6_1389:
	s_mov_b32 s9, 0
.LBB6_1390:
	s_delay_alu instid0(SALU_CYCLE_1)
	s_and_not1_b32 vcc_lo, exec_lo, s9
	s_cbranch_vccnz .LBB6_1392
; %bb.1391:
	global_load_u16 v3, v[4:5], off
	s_wait_loadcnt 0x0
	v_cvt_f32_f16_e32 v3, v3
	s_delay_alu instid0(VALU_DEP_1)
	v_cvt_f64_f32_e32 v[6:7], v3
.LBB6_1392:
	s_mov_b32 s9, 0
.LBB6_1393:
	s_delay_alu instid0(SALU_CYCLE_1)
	s_and_not1_b32 vcc_lo, exec_lo, s9
	s_cbranch_vccnz .LBB6_1413
; %bb.1394:
	s_cmp_lt_i32 s0, 2
	s_cbranch_scc1 .LBB6_1398
; %bb.1395:
	s_cmp_lt_i32 s0, 3
	s_cbranch_scc1 .LBB6_1399
; %bb.1396:
	s_cmp_gt_i32 s0, 3
	s_cbranch_scc0 .LBB6_1400
; %bb.1397:
	s_wait_loadcnt 0x0
	global_load_b64 v[6:7], v[4:5], off
	s_mov_b32 s9, 0
	s_wait_loadcnt 0x0
	v_cvt_f64_i32_e32 v[12:13], v7
	v_cvt_f64_u32_e32 v[6:7], v6
	s_delay_alu instid0(VALU_DEP_2) | instskip(NEXT) | instid1(VALU_DEP_1)
	v_ldexp_f64 v[12:13], v[12:13], 32
	v_add_f64_e32 v[6:7], v[12:13], v[6:7]
	s_branch .LBB6_1401
.LBB6_1398:
	s_mov_b32 s9, -1
                                        ; implicit-def: $vgpr6_vgpr7
	s_branch .LBB6_1407
.LBB6_1399:
	s_mov_b32 s9, -1
                                        ; implicit-def: $vgpr6_vgpr7
	s_branch .LBB6_1404
.LBB6_1400:
	s_mov_b32 s9, -1
                                        ; implicit-def: $vgpr6_vgpr7
.LBB6_1401:
	s_delay_alu instid0(SALU_CYCLE_1)
	s_and_not1_b32 vcc_lo, exec_lo, s9
	s_cbranch_vccnz .LBB6_1403
; %bb.1402:
	global_load_b32 v3, v[4:5], off
	s_wait_loadcnt 0x0
	v_cvt_f64_i32_e32 v[6:7], v3
.LBB6_1403:
	s_mov_b32 s9, 0
.LBB6_1404:
	s_delay_alu instid0(SALU_CYCLE_1)
	s_and_not1_b32 vcc_lo, exec_lo, s9
	s_cbranch_vccnz .LBB6_1406
; %bb.1405:
	global_load_i16 v3, v[4:5], off
	s_wait_loadcnt 0x0
	v_cvt_f64_i32_e32 v[6:7], v3
.LBB6_1406:
	s_mov_b32 s9, 0
.LBB6_1407:
	s_delay_alu instid0(SALU_CYCLE_1)
	s_and_not1_b32 vcc_lo, exec_lo, s9
	s_cbranch_vccnz .LBB6_1413
; %bb.1408:
	s_cmp_gt_i32 s0, 0
	s_mov_b32 s9, 0
	s_cbranch_scc0 .LBB6_1410
; %bb.1409:
	global_load_i8 v3, v[4:5], off
	s_wait_loadcnt 0x0
	v_cvt_f64_i32_e32 v[6:7], v3
	s_branch .LBB6_1411
.LBB6_1410:
	s_mov_b32 s9, -1
                                        ; implicit-def: $vgpr6_vgpr7
.LBB6_1411:
	s_delay_alu instid0(SALU_CYCLE_1)
	s_and_not1_b32 vcc_lo, exec_lo, s9
	s_cbranch_vccnz .LBB6_1413
; %bb.1412:
	global_load_u8 v3, v[4:5], off
	s_wait_loadcnt 0x0
	v_cvt_f64_u32_e32 v[6:7], v3
.LBB6_1413:
.LBB6_1414:
	v_add_nc_u32_e32 v2, s3, v2
	s_cmp_lt_i32 s0, 11
	s_delay_alu instid0(VALU_DEP_1) | instskip(NEXT) | instid1(VALU_DEP_1)
	v_ashrrev_i32_e32 v3, 31, v2
	v_add_nc_u64_e32 v[2:3], s[6:7], v[2:3]
	s_cbranch_scc1 .LBB6_1421
; %bb.1415:
	s_cmp_gt_i32 s0, 25
	s_mov_b32 s6, 0
	s_cbranch_scc0 .LBB6_1422
; %bb.1416:
	s_cmp_gt_i32 s0, 28
	s_cbranch_scc0 .LBB6_1423
; %bb.1417:
	s_cmp_gt_i32 s0, 43
	;; [unrolled: 3-line block ×3, first 2 shown]
	s_cbranch_scc0 .LBB6_1426
; %bb.1419:
	s_cmp_eq_u32 s0, 46
	s_mov_b32 s9, 0
	s_cbranch_scc0 .LBB6_1427
; %bb.1420:
	global_load_b32 v4, v[2:3], off
	s_mov_b32 s3, 0
	s_mov_b32 s7, -1
	s_wait_loadcnt 0x0
	v_lshlrev_b32_e32 v4, 16, v4
	s_delay_alu instid0(VALU_DEP_1)
	v_cvt_f64_f32_e32 v[4:5], v4
	s_branch .LBB6_1429
.LBB6_1421:
	s_mov_b32 s3, -1
	s_mov_b32 s7, 0
                                        ; implicit-def: $vgpr4_vgpr5
	s_branch .LBB6_1495
.LBB6_1422:
	s_mov_b32 s9, -1
	s_mov_b32 s7, 0
	s_mov_b32 s3, 0
                                        ; implicit-def: $vgpr4_vgpr5
	s_branch .LBB6_1458
.LBB6_1423:
	s_mov_b32 s9, -1
	s_mov_b32 s7, 0
	s_mov_b32 s3, 0
                                        ; implicit-def: $vgpr4_vgpr5
	s_branch .LBB6_1439
.LBB6_1424:
	s_mov_b32 s9, -1
	s_mov_b32 s7, 0
	s_mov_b32 s3, 0
                                        ; implicit-def: $vgpr4_vgpr5
	s_branch .LBB6_1434
.LBB6_1425:
	s_or_b32 s1, s1, exec_lo
	s_trap 2
	s_cbranch_execz .LBB6_1364
	s_branch .LBB6_1365
.LBB6_1426:
	s_mov_b32 s9, -1
	s_mov_b32 s7, 0
	s_mov_b32 s3, 0
	s_branch .LBB6_1428
.LBB6_1427:
	s_mov_b32 s3, -1
	s_mov_b32 s7, 0
.LBB6_1428:
                                        ; implicit-def: $vgpr4_vgpr5
.LBB6_1429:
	s_and_b32 vcc_lo, exec_lo, s9
	s_cbranch_vccz .LBB6_1433
; %bb.1430:
	s_cmp_eq_u32 s0, 44
	s_cbranch_scc0 .LBB6_1432
; %bb.1431:
	global_load_u8 v11, v[2:3], off
	s_mov_b32 s3, 0
	s_mov_b32 s7, -1
	s_wait_loadcnt 0x0
	v_cmp_ne_u32_e32 vcc_lo, 0xff, v11
	s_wait_xcnt 0x1
	v_lshlrev_b32_e32 v4, 23, v11
	s_delay_alu instid0(VALU_DEP_1) | instskip(NEXT) | instid1(VALU_DEP_1)
	v_cvt_f64_f32_e32 v[4:5], v4
	v_cndmask_b32_e32 v4, 0x20000000, v4, vcc_lo
	s_delay_alu instid0(VALU_DEP_2) | instskip(SKIP_1) | instid1(VALU_DEP_2)
	v_cndmask_b32_e32 v5, 0x7ff80000, v5, vcc_lo
	v_cmp_ne_u32_e32 vcc_lo, 0, v11
	v_cndmask_b32_e32 v5, 0x38000000, v5, vcc_lo
	s_delay_alu instid0(VALU_DEP_4)
	v_cndmask_b32_e32 v4, 0, v4, vcc_lo
	s_branch .LBB6_1433
.LBB6_1432:
	s_mov_b32 s3, -1
                                        ; implicit-def: $vgpr4_vgpr5
.LBB6_1433:
	s_mov_b32 s9, 0
.LBB6_1434:
	s_delay_alu instid0(SALU_CYCLE_1)
	s_and_b32 vcc_lo, exec_lo, s9
	s_cbranch_vccz .LBB6_1438
; %bb.1435:
	s_cmp_eq_u32 s0, 29
	s_cbranch_scc0 .LBB6_1437
; %bb.1436:
	global_load_b64 v[4:5], v[2:3], off
	s_mov_b32 s3, 0
	s_mov_b32 s7, -1
	s_mov_b32 s9, 0
	s_wait_loadcnt 0x0
	v_cvt_f64_u32_e32 v[12:13], v5
	v_cvt_f64_u32_e32 v[4:5], v4
	s_delay_alu instid0(VALU_DEP_2) | instskip(NEXT) | instid1(VALU_DEP_1)
	v_ldexp_f64 v[12:13], v[12:13], 32
	v_add_f64_e32 v[4:5], v[12:13], v[4:5]
	s_branch .LBB6_1439
.LBB6_1437:
	s_mov_b32 s3, -1
                                        ; implicit-def: $vgpr4_vgpr5
.LBB6_1438:
	s_mov_b32 s9, 0
.LBB6_1439:
	s_delay_alu instid0(SALU_CYCLE_1)
	s_and_b32 vcc_lo, exec_lo, s9
	s_cbranch_vccz .LBB6_1457
; %bb.1440:
	s_cmp_lt_i32 s0, 27
	s_cbranch_scc1 .LBB6_1443
; %bb.1441:
	s_cmp_gt_i32 s0, 27
	s_cbranch_scc0 .LBB6_1444
; %bb.1442:
	global_load_b32 v4, v[2:3], off
	s_mov_b32 s7, 0
	s_wait_loadcnt 0x0
	v_cvt_f64_u32_e32 v[4:5], v4
	s_branch .LBB6_1445
.LBB6_1443:
	s_mov_b32 s7, -1
                                        ; implicit-def: $vgpr4_vgpr5
	s_branch .LBB6_1448
.LBB6_1444:
	s_mov_b32 s7, -1
                                        ; implicit-def: $vgpr4_vgpr5
.LBB6_1445:
	s_delay_alu instid0(SALU_CYCLE_1)
	s_and_not1_b32 vcc_lo, exec_lo, s7
	s_cbranch_vccnz .LBB6_1447
; %bb.1446:
	global_load_u16 v4, v[2:3], off
	s_wait_loadcnt 0x0
	v_cvt_f64_u32_e32 v[4:5], v4
.LBB6_1447:
	s_mov_b32 s7, 0
.LBB6_1448:
	s_delay_alu instid0(SALU_CYCLE_1)
	s_and_not1_b32 vcc_lo, exec_lo, s7
	s_cbranch_vccnz .LBB6_1456
; %bb.1449:
	global_load_u8 v11, v[2:3], off
	s_mov_b32 s7, 0
	s_mov_b32 s9, exec_lo
	s_wait_loadcnt 0x0
	v_cmpx_lt_i16_e32 0x7f, v11
	s_xor_b32 s9, exec_lo, s9
	s_cbranch_execz .LBB6_1470
; %bb.1450:
	s_mov_b32 s7, -1
	s_mov_b32 s14, exec_lo
	v_cmpx_eq_u16_e32 0x80, v11
; %bb.1451:
	s_xor_b32 s7, exec_lo, -1
; %bb.1452:
	s_or_b32 exec_lo, exec_lo, s14
	s_delay_alu instid0(SALU_CYCLE_1)
	s_and_b32 s7, s7, exec_lo
	s_or_saveexec_b32 s9, s9
	v_mov_b64_e32 v[4:5], 0x7ff8000020000000
	s_xor_b32 exec_lo, exec_lo, s9
	s_cbranch_execnz .LBB6_1471
.LBB6_1453:
	s_or_b32 exec_lo, exec_lo, s9
	s_and_saveexec_b32 s9, s7
	s_cbranch_execz .LBB6_1455
.LBB6_1454:
	v_and_b32_e32 v4, 0xffff, v11
	s_delay_alu instid0(VALU_DEP_1) | instskip(SKIP_1) | instid1(VALU_DEP_2)
	v_dual_lshlrev_b32 v11, 24, v11 :: v_dual_bitop2_b32 v5, 7, v4 bitop3:0x40
	v_bfe_u32 v14, v4, 3, 4
	v_clz_i32_u32_e32 v12, v5
	s_delay_alu instid0(VALU_DEP_2) | instskip(NEXT) | instid1(VALU_DEP_2)
	v_cmp_eq_u32_e32 vcc_lo, 0, v14
	v_min_u32_e32 v12, 32, v12
	s_delay_alu instid0(VALU_DEP_1) | instskip(SKIP_1) | instid1(VALU_DEP_2)
	v_subrev_nc_u32_e32 v13, 28, v12
	v_sub_nc_u32_e32 v12, 29, v12
	v_lshlrev_b32_e32 v4, v13, v4
	s_delay_alu instid0(VALU_DEP_2) | instskip(NEXT) | instid1(VALU_DEP_2)
	v_cndmask_b32_e32 v12, v14, v12, vcc_lo
	v_and_b32_e32 v4, 7, v4
	s_delay_alu instid0(VALU_DEP_1) | instskip(SKIP_1) | instid1(VALU_DEP_4)
	v_cndmask_b32_e32 v4, v5, v4, vcc_lo
	v_and_b32_e32 v5, 0x80000000, v11
	v_lshl_add_u32 v11, v12, 23, 0x3b800000
	s_delay_alu instid0(VALU_DEP_3) | instskip(NEXT) | instid1(VALU_DEP_1)
	v_lshlrev_b32_e32 v4, 20, v4
	v_or3_b32 v4, v5, v11, v4
	s_delay_alu instid0(VALU_DEP_1)
	v_cvt_f64_f32_e32 v[4:5], v4
.LBB6_1455:
	s_or_b32 exec_lo, exec_lo, s9
.LBB6_1456:
	s_mov_b32 s7, -1
.LBB6_1457:
	s_mov_b32 s9, 0
.LBB6_1458:
	s_delay_alu instid0(SALU_CYCLE_1)
	s_and_b32 vcc_lo, exec_lo, s9
	s_cbranch_vccz .LBB6_1491
; %bb.1459:
	s_cmp_gt_i32 s0, 22
	s_cbranch_scc0 .LBB6_1469
; %bb.1460:
	s_cmp_lt_i32 s0, 24
	s_cbranch_scc1 .LBB6_1472
; %bb.1461:
	s_cmp_gt_i32 s0, 24
	s_cbranch_scc0 .LBB6_1473
; %bb.1462:
	global_load_u8 v11, v[2:3], off
	s_mov_b32 s7, exec_lo
	s_wait_loadcnt 0x0
	v_cmpx_lt_i16_e32 0x7f, v11
	s_xor_b32 s7, exec_lo, s7
	s_cbranch_execz .LBB6_1485
; %bb.1463:
	s_mov_b32 s6, -1
	s_mov_b32 s9, exec_lo
	v_cmpx_eq_u16_e32 0x80, v11
; %bb.1464:
	s_xor_b32 s6, exec_lo, -1
; %bb.1465:
	s_or_b32 exec_lo, exec_lo, s9
	s_delay_alu instid0(SALU_CYCLE_1)
	s_and_b32 s6, s6, exec_lo
	s_or_saveexec_b32 s7, s7
	v_mov_b64_e32 v[4:5], 0x7ff8000020000000
	s_xor_b32 exec_lo, exec_lo, s7
	s_cbranch_execnz .LBB6_1486
.LBB6_1466:
	s_or_b32 exec_lo, exec_lo, s7
	s_and_saveexec_b32 s7, s6
	s_cbranch_execz .LBB6_1468
.LBB6_1467:
	v_and_b32_e32 v4, 0xffff, v11
	s_delay_alu instid0(VALU_DEP_1) | instskip(SKIP_1) | instid1(VALU_DEP_2)
	v_dual_lshlrev_b32 v11, 24, v11 :: v_dual_bitop2_b32 v5, 3, v4 bitop3:0x40
	v_bfe_u32 v14, v4, 2, 5
	v_clz_i32_u32_e32 v12, v5
	s_delay_alu instid0(VALU_DEP_2) | instskip(NEXT) | instid1(VALU_DEP_2)
	v_cmp_eq_u32_e32 vcc_lo, 0, v14
	v_min_u32_e32 v12, 32, v12
	s_delay_alu instid0(VALU_DEP_1) | instskip(SKIP_1) | instid1(VALU_DEP_2)
	v_subrev_nc_u32_e32 v13, 29, v12
	v_sub_nc_u32_e32 v12, 30, v12
	v_lshlrev_b32_e32 v4, v13, v4
	s_delay_alu instid0(VALU_DEP_2) | instskip(NEXT) | instid1(VALU_DEP_2)
	v_cndmask_b32_e32 v12, v14, v12, vcc_lo
	v_and_b32_e32 v4, 3, v4
	s_delay_alu instid0(VALU_DEP_1) | instskip(SKIP_1) | instid1(VALU_DEP_4)
	v_cndmask_b32_e32 v4, v5, v4, vcc_lo
	v_and_b32_e32 v5, 0x80000000, v11
	v_lshl_add_u32 v11, v12, 23, 0x37800000
	s_delay_alu instid0(VALU_DEP_3) | instskip(NEXT) | instid1(VALU_DEP_1)
	v_lshlrev_b32_e32 v4, 21, v4
	v_or3_b32 v4, v5, v11, v4
	s_delay_alu instid0(VALU_DEP_1)
	v_cvt_f64_f32_e32 v[4:5], v4
.LBB6_1468:
	s_or_b32 exec_lo, exec_lo, s7
	s_mov_b32 s6, 0
	s_branch .LBB6_1474
.LBB6_1469:
	s_mov_b32 s6, -1
                                        ; implicit-def: $vgpr4_vgpr5
	s_branch .LBB6_1480
.LBB6_1470:
	s_or_saveexec_b32 s9, s9
	v_mov_b64_e32 v[4:5], 0x7ff8000020000000
	s_xor_b32 exec_lo, exec_lo, s9
	s_cbranch_execz .LBB6_1453
.LBB6_1471:
	v_cmp_ne_u16_e32 vcc_lo, 0, v11
	v_mov_b64_e32 v[4:5], 0
	s_and_not1_b32 s7, s7, exec_lo
	s_and_b32 s14, vcc_lo, exec_lo
	s_delay_alu instid0(SALU_CYCLE_1)
	s_or_b32 s7, s7, s14
	s_or_b32 exec_lo, exec_lo, s9
	s_and_saveexec_b32 s9, s7
	s_cbranch_execnz .LBB6_1454
	s_branch .LBB6_1455
.LBB6_1472:
	s_mov_b32 s6, -1
                                        ; implicit-def: $vgpr4_vgpr5
	s_branch .LBB6_1477
.LBB6_1473:
	s_mov_b32 s6, -1
                                        ; implicit-def: $vgpr4_vgpr5
.LBB6_1474:
	s_delay_alu instid0(SALU_CYCLE_1)
	s_and_b32 vcc_lo, exec_lo, s6
	s_cbranch_vccz .LBB6_1476
; %bb.1475:
	global_load_u8 v4, v[2:3], off
	s_wait_loadcnt 0x0
	v_lshlrev_b32_e32 v4, 24, v4
	s_delay_alu instid0(VALU_DEP_1) | instskip(NEXT) | instid1(VALU_DEP_1)
	v_and_b32_e32 v5, 0x7f000000, v4
	v_clz_i32_u32_e32 v11, v5
	v_add_nc_u32_e32 v13, 0x1000000, v5
	v_cmp_ne_u32_e32 vcc_lo, 0, v5
	s_delay_alu instid0(VALU_DEP_3) | instskip(NEXT) | instid1(VALU_DEP_1)
	v_min_u32_e32 v11, 32, v11
	v_sub_nc_u32_e64 v11, v11, 4 clamp
	s_delay_alu instid0(VALU_DEP_1) | instskip(NEXT) | instid1(VALU_DEP_1)
	v_dual_lshlrev_b32 v12, v11, v5 :: v_dual_lshlrev_b32 v11, 23, v11
	v_lshrrev_b32_e32 v12, 4, v12
	s_delay_alu instid0(VALU_DEP_1) | instskip(NEXT) | instid1(VALU_DEP_1)
	v_dual_sub_nc_u32 v11, v12, v11 :: v_dual_ashrrev_i32 v12, 8, v13
	v_add_nc_u32_e32 v11, 0x3c000000, v11
	s_delay_alu instid0(VALU_DEP_1) | instskip(NEXT) | instid1(VALU_DEP_1)
	v_and_or_b32 v11, 0x7f800000, v12, v11
	v_cndmask_b32_e32 v5, 0, v11, vcc_lo
	s_delay_alu instid0(VALU_DEP_1) | instskip(NEXT) | instid1(VALU_DEP_1)
	v_and_or_b32 v4, 0x80000000, v4, v5
	v_cvt_f64_f32_e32 v[4:5], v4
.LBB6_1476:
	s_mov_b32 s6, 0
.LBB6_1477:
	s_delay_alu instid0(SALU_CYCLE_1)
	s_and_not1_b32 vcc_lo, exec_lo, s6
	s_cbranch_vccnz .LBB6_1479
; %bb.1478:
	global_load_u8 v4, v[2:3], off
	s_wait_loadcnt 0x0
	v_lshlrev_b32_e32 v5, 25, v4
	v_lshlrev_b16 v4, 8, v4
	s_delay_alu instid0(VALU_DEP_2) | instskip(NEXT) | instid1(VALU_DEP_2)
	v_cmp_gt_u32_e32 vcc_lo, 0x8000000, v5
	v_and_or_b32 v12, 0x7f00, v4, 0.5
	v_lshrrev_b32_e32 v11, 4, v5
	v_bfe_i32 v4, v4, 0, 16
	s_delay_alu instid0(VALU_DEP_3) | instskip(NEXT) | instid1(VALU_DEP_3)
	v_add_f32_e32 v12, -0.5, v12
	v_or_b32_e32 v11, 0x70000000, v11
	s_delay_alu instid0(VALU_DEP_1) | instskip(NEXT) | instid1(VALU_DEP_1)
	v_mul_f32_e32 v11, 0x7800000, v11
	v_cndmask_b32_e32 v5, v11, v12, vcc_lo
	s_delay_alu instid0(VALU_DEP_1) | instskip(NEXT) | instid1(VALU_DEP_1)
	v_and_or_b32 v4, 0x80000000, v4, v5
	v_cvt_f64_f32_e32 v[4:5], v4
.LBB6_1479:
	s_mov_b32 s6, 0
	s_mov_b32 s7, -1
.LBB6_1480:
	s_and_not1_b32 vcc_lo, exec_lo, s6
	s_mov_b32 s6, 0
	s_cbranch_vccnz .LBB6_1491
; %bb.1481:
	s_cmp_gt_i32 s0, 14
	s_cbranch_scc0 .LBB6_1484
; %bb.1482:
	s_cmp_eq_u32 s0, 15
	s_cbranch_scc0 .LBB6_1487
; %bb.1483:
	global_load_u16 v4, v[2:3], off
	s_mov_b32 s3, 0
	s_mov_b32 s7, -1
	s_wait_loadcnt 0x0
	v_lshlrev_b32_e32 v4, 16, v4
	s_delay_alu instid0(VALU_DEP_1)
	v_cvt_f64_f32_e32 v[4:5], v4
	s_branch .LBB6_1489
.LBB6_1484:
	s_mov_b32 s6, -1
	s_branch .LBB6_1488
.LBB6_1485:
	s_or_saveexec_b32 s7, s7
	v_mov_b64_e32 v[4:5], 0x7ff8000020000000
	s_xor_b32 exec_lo, exec_lo, s7
	s_cbranch_execz .LBB6_1466
.LBB6_1486:
	v_cmp_ne_u16_e32 vcc_lo, 0, v11
	v_mov_b64_e32 v[4:5], 0
	s_and_not1_b32 s6, s6, exec_lo
	s_and_b32 s9, vcc_lo, exec_lo
	s_delay_alu instid0(SALU_CYCLE_1)
	s_or_b32 s6, s6, s9
	s_or_b32 exec_lo, exec_lo, s7
	s_and_saveexec_b32 s7, s6
	s_cbranch_execnz .LBB6_1467
	s_branch .LBB6_1468
.LBB6_1487:
	s_mov_b32 s3, -1
.LBB6_1488:
                                        ; implicit-def: $vgpr4_vgpr5
.LBB6_1489:
	s_and_b32 vcc_lo, exec_lo, s6
	s_mov_b32 s6, 0
	s_cbranch_vccz .LBB6_1491
; %bb.1490:
	s_cmp_lg_u32 s0, 11
	s_mov_b32 s6, -1
	s_cselect_b32 s3, -1, 0
.LBB6_1491:
	s_delay_alu instid0(SALU_CYCLE_1)
	s_and_b32 vcc_lo, exec_lo, s3
	s_cbranch_vccnz .LBB6_2020
; %bb.1492:
	s_and_not1_b32 vcc_lo, exec_lo, s6
	s_cbranch_vccnz .LBB6_1494
.LBB6_1493:
	global_load_u8 v4, v[2:3], off
	s_mov_b32 s7, -1
	s_wait_loadcnt 0x0
	v_cmp_ne_u16_e32 vcc_lo, 0, v4
	v_mov_b32_e32 v4, 0
	v_cndmask_b32_e64 v5, 0, 0x3ff00000, vcc_lo
.LBB6_1494:
	s_mov_b32 s3, 0
.LBB6_1495:
	s_delay_alu instid0(SALU_CYCLE_1)
	s_and_b32 vcc_lo, exec_lo, s3
	s_cbranch_vccz .LBB6_1544
; %bb.1496:
	s_cmp_lt_i32 s0, 5
	s_cbranch_scc1 .LBB6_1501
; %bb.1497:
	s_cmp_lt_i32 s0, 8
	s_cbranch_scc1 .LBB6_1502
	;; [unrolled: 3-line block ×3, first 2 shown]
; %bb.1499:
	s_cmp_gt_i32 s0, 9
	s_cbranch_scc0 .LBB6_1504
; %bb.1500:
	global_load_b64 v[4:5], v[2:3], off
	s_mov_b32 s3, 0
	s_branch .LBB6_1505
.LBB6_1501:
	s_mov_b32 s3, -1
                                        ; implicit-def: $vgpr4_vgpr5
	s_branch .LBB6_1523
.LBB6_1502:
	s_mov_b32 s3, -1
                                        ; implicit-def: $vgpr4_vgpr5
	s_branch .LBB6_1511
.LBB6_1503:
	s_mov_b32 s3, -1
                                        ; implicit-def: $vgpr4_vgpr5
	s_branch .LBB6_1508
.LBB6_1504:
	s_mov_b32 s3, -1
                                        ; implicit-def: $vgpr4_vgpr5
.LBB6_1505:
	s_delay_alu instid0(SALU_CYCLE_1)
	s_and_not1_b32 vcc_lo, exec_lo, s3
	s_cbranch_vccnz .LBB6_1507
; %bb.1506:
	s_wait_loadcnt 0x0
	global_load_b32 v4, v[2:3], off
	s_wait_loadcnt 0x0
	v_cvt_f64_f32_e32 v[4:5], v4
.LBB6_1507:
	s_mov_b32 s3, 0
.LBB6_1508:
	s_delay_alu instid0(SALU_CYCLE_1)
	s_and_not1_b32 vcc_lo, exec_lo, s3
	s_cbranch_vccnz .LBB6_1510
; %bb.1509:
	s_wait_loadcnt 0x0
	global_load_b32 v4, v[2:3], off
	s_wait_loadcnt 0x0
	v_cvt_f32_f16_e32 v4, v4
	s_delay_alu instid0(VALU_DEP_1)
	v_cvt_f64_f32_e32 v[4:5], v4
.LBB6_1510:
	s_mov_b32 s3, 0
.LBB6_1511:
	s_delay_alu instid0(SALU_CYCLE_1)
	s_and_not1_b32 vcc_lo, exec_lo, s3
	s_cbranch_vccnz .LBB6_1522
; %bb.1512:
	s_cmp_lt_i32 s0, 6
	s_cbranch_scc1 .LBB6_1515
; %bb.1513:
	s_cmp_gt_i32 s0, 6
	s_cbranch_scc0 .LBB6_1516
; %bb.1514:
	s_wait_loadcnt 0x0
	global_load_b64 v[4:5], v[2:3], off
	s_mov_b32 s3, 0
	s_branch .LBB6_1517
.LBB6_1515:
	s_mov_b32 s3, -1
                                        ; implicit-def: $vgpr4_vgpr5
	s_branch .LBB6_1520
.LBB6_1516:
	s_mov_b32 s3, -1
                                        ; implicit-def: $vgpr4_vgpr5
.LBB6_1517:
	s_delay_alu instid0(SALU_CYCLE_1)
	s_and_not1_b32 vcc_lo, exec_lo, s3
	s_cbranch_vccnz .LBB6_1519
; %bb.1518:
	s_wait_loadcnt 0x0
	global_load_b32 v4, v[2:3], off
	s_wait_loadcnt 0x0
	v_cvt_f64_f32_e32 v[4:5], v4
.LBB6_1519:
	s_mov_b32 s3, 0
.LBB6_1520:
	s_delay_alu instid0(SALU_CYCLE_1)
	s_and_not1_b32 vcc_lo, exec_lo, s3
	s_cbranch_vccnz .LBB6_1522
; %bb.1521:
	s_wait_loadcnt 0x0
	global_load_u16 v4, v[2:3], off
	s_wait_loadcnt 0x0
	v_cvt_f32_f16_e32 v4, v4
	s_delay_alu instid0(VALU_DEP_1)
	v_cvt_f64_f32_e32 v[4:5], v4
.LBB6_1522:
	s_mov_b32 s3, 0
.LBB6_1523:
	s_delay_alu instid0(SALU_CYCLE_1)
	s_and_not1_b32 vcc_lo, exec_lo, s3
	s_cbranch_vccnz .LBB6_1543
; %bb.1524:
	s_cmp_lt_i32 s0, 2
	s_cbranch_scc1 .LBB6_1528
; %bb.1525:
	s_cmp_lt_i32 s0, 3
	s_cbranch_scc1 .LBB6_1529
; %bb.1526:
	s_cmp_gt_i32 s0, 3
	s_cbranch_scc0 .LBB6_1530
; %bb.1527:
	s_wait_loadcnt 0x0
	global_load_b64 v[4:5], v[2:3], off
	s_mov_b32 s3, 0
	s_wait_loadcnt 0x0
	v_cvt_f64_i32_e32 v[12:13], v5
	v_cvt_f64_u32_e32 v[4:5], v4
	s_delay_alu instid0(VALU_DEP_2) | instskip(NEXT) | instid1(VALU_DEP_1)
	v_ldexp_f64 v[12:13], v[12:13], 32
	v_add_f64_e32 v[4:5], v[12:13], v[4:5]
	s_branch .LBB6_1531
.LBB6_1528:
	s_mov_b32 s3, -1
                                        ; implicit-def: $vgpr4_vgpr5
	s_branch .LBB6_1537
.LBB6_1529:
	s_mov_b32 s3, -1
                                        ; implicit-def: $vgpr4_vgpr5
	s_branch .LBB6_1534
.LBB6_1530:
	s_mov_b32 s3, -1
                                        ; implicit-def: $vgpr4_vgpr5
.LBB6_1531:
	s_delay_alu instid0(SALU_CYCLE_1)
	s_and_not1_b32 vcc_lo, exec_lo, s3
	s_cbranch_vccnz .LBB6_1533
; %bb.1532:
	s_wait_loadcnt 0x0
	global_load_b32 v4, v[2:3], off
	s_wait_loadcnt 0x0
	v_cvt_f64_i32_e32 v[4:5], v4
.LBB6_1533:
	s_mov_b32 s3, 0
.LBB6_1534:
	s_delay_alu instid0(SALU_CYCLE_1)
	s_and_not1_b32 vcc_lo, exec_lo, s3
	s_cbranch_vccnz .LBB6_1536
; %bb.1535:
	s_wait_loadcnt 0x0
	global_load_i16 v4, v[2:3], off
	s_wait_loadcnt 0x0
	v_cvt_f64_i32_e32 v[4:5], v4
.LBB6_1536:
	s_mov_b32 s3, 0
.LBB6_1537:
	s_delay_alu instid0(SALU_CYCLE_1)
	s_and_not1_b32 vcc_lo, exec_lo, s3
	s_cbranch_vccnz .LBB6_1543
; %bb.1538:
	s_cmp_gt_i32 s0, 0
	s_mov_b32 s0, 0
	s_cbranch_scc0 .LBB6_1540
; %bb.1539:
	s_wait_loadcnt 0x0
	global_load_i8 v4, v[2:3], off
	s_wait_loadcnt 0x0
	v_cvt_f64_i32_e32 v[4:5], v4
	s_branch .LBB6_1541
.LBB6_1540:
	s_mov_b32 s0, -1
                                        ; implicit-def: $vgpr4_vgpr5
.LBB6_1541:
	s_delay_alu instid0(SALU_CYCLE_1)
	s_and_not1_b32 vcc_lo, exec_lo, s0
	s_cbranch_vccnz .LBB6_1543
; %bb.1542:
	global_load_u8 v2, v[2:3], off
	s_wait_loadcnt 0x0
	v_cvt_f64_u32_e32 v[4:5], v2
.LBB6_1543:
	s_mov_b32 s7, -1
.LBB6_1544:
	s_delay_alu instid0(SALU_CYCLE_1)
	s_and_not1_b32 vcc_lo, exec_lo, s7
	s_cbranch_vccnz .LBB6_1975
; %bb.1545:
	s_wait_loadcnt 0x0
	v_cmp_nge_f64_e64 s0, v[0:1], -s[10:11]
	v_cmp_nge_f64_e32 vcc_lo, s[10:11], v[0:1]
	v_mul_lo_u32 v10, s8, v10
	s_and_b32 s14, s2, 0xff
	s_mov_b32 s6, 0
	s_or_b32 vcc_lo, s0, vcc_lo
	s_delay_alu instid0(VALU_DEP_1) | instid1(SALU_CYCLE_1)
	v_dual_ashrrev_i32 v11, 31, v10 :: v_dual_cndmask_b32 v1, 0, v1, vcc_lo
	v_cndmask_b32_e32 v0, 0, v0, vcc_lo
	s_cmp_lt_i32 s14, 11
	s_mov_b32 s0, -1
	s_delay_alu instid0(VALU_DEP_2)
	v_add_nc_u64_e32 v[12:13], s[4:5], v[10:11]
	s_cbranch_scc1 .LBB6_1624
; %bb.1546:
	s_and_b32 s2, 0xffff, s14
	s_mov_b32 s7, -1
	s_mov_b32 s3, 0
	s_cmp_gt_i32 s2, 25
	s_mov_b32 s0, 0
	s_cbranch_scc0 .LBB6_1579
; %bb.1547:
	s_cmp_gt_i32 s2, 28
	s_cbranch_scc0 .LBB6_1562
; %bb.1548:
	s_cmp_gt_i32 s2, 43
	;; [unrolled: 3-line block ×3, first 2 shown]
	s_cbranch_scc0 .LBB6_1552
; %bb.1550:
	s_mov_b32 s0, -1
	s_mov_b32 s7, 0
	s_cmp_eq_u32 s2, 46
	s_cbranch_scc0 .LBB6_1552
; %bb.1551:
	s_wait_xcnt 0x0
	v_cvt_f32_f64_e32 v2, v[0:1]
	s_mov_b32 s0, 0
	s_mov_b32 s6, -1
	s_delay_alu instid0(VALU_DEP_1) | instskip(SKIP_1) | instid1(VALU_DEP_2)
	v_bfe_u32 v3, v2, 16, 1
	v_cmp_o_f32_e32 vcc_lo, v2, v2
	v_add3_u32 v3, v2, v3, 0x7fff
	s_delay_alu instid0(VALU_DEP_1) | instskip(NEXT) | instid1(VALU_DEP_1)
	v_lshrrev_b32_e32 v3, 16, v3
	v_cndmask_b32_e32 v2, 0x7fc0, v3, vcc_lo
	global_store_b32 v[12:13], v2, off
.LBB6_1552:
	s_and_b32 vcc_lo, exec_lo, s7
	s_cbranch_vccz .LBB6_1557
; %bb.1553:
	s_cmp_eq_u32 s2, 44
	s_mov_b32 s0, -1
	s_cbranch_scc0 .LBB6_1557
; %bb.1554:
	s_wait_xcnt 0x0
	v_cvt_f32_f64_e32 v2, v[0:1]
	v_mov_b32_e32 v3, 0xff
	s_mov_b32 s6, exec_lo
	s_delay_alu instid0(VALU_DEP_2) | instskip(NEXT) | instid1(VALU_DEP_1)
	v_bfe_u32 v11, v2, 23, 8
	v_cmpx_ne_u32_e32 0xff, v11
	s_cbranch_execz .LBB6_1556
; %bb.1555:
	v_and_b32_e32 v3, 0x400000, v2
	v_and_or_b32 v11, 0x3fffff, v2, v11
	v_lshrrev_b32_e32 v2, 23, v2
	s_delay_alu instid0(VALU_DEP_3) | instskip(NEXT) | instid1(VALU_DEP_3)
	v_cmp_ne_u32_e32 vcc_lo, 0, v3
	v_cmp_ne_u32_e64 s0, 0, v11
	s_and_b32 s0, vcc_lo, s0
	s_delay_alu instid0(SALU_CYCLE_1) | instskip(NEXT) | instid1(VALU_DEP_1)
	v_cndmask_b32_e64 v3, 0, 1, s0
	v_add_nc_u32_e32 v3, v2, v3
.LBB6_1556:
	s_or_b32 exec_lo, exec_lo, s6
	s_mov_b32 s0, 0
	s_mov_b32 s6, -1
	global_store_b8 v[12:13], v3, off
.LBB6_1557:
	s_mov_b32 s7, 0
.LBB6_1558:
	s_delay_alu instid0(SALU_CYCLE_1)
	s_and_b32 vcc_lo, exec_lo, s7
	s_cbranch_vccz .LBB6_1561
; %bb.1559:
	s_cmp_eq_u32 s2, 29
	s_mov_b32 s0, -1
	s_cbranch_scc0 .LBB6_1561
; %bb.1560:
	s_wait_xcnt 0x0
	v_trunc_f64_e32 v[2:3], v[0:1]
	s_mov_b32 s0, 0
	s_mov_b32 s6, -1
	s_delay_alu instid0(VALU_DEP_1) | instskip(NEXT) | instid1(VALU_DEP_1)
	v_ldexp_f64 v[14:15], v[2:3], 0xffffffe0
	v_floor_f64_e32 v[14:15], v[14:15]
	s_delay_alu instid0(VALU_DEP_1) | instskip(SKIP_1) | instid1(VALU_DEP_2)
	v_fmamk_f64 v[2:3], v[14:15], 0xc1f00000, v[2:3]
	v_cvt_u32_f64_e32 v15, v[14:15]
	v_cvt_u32_f64_e32 v14, v[2:3]
	global_store_b64 v[12:13], v[14:15], off
.LBB6_1561:
	s_mov_b32 s7, 0
.LBB6_1562:
	s_delay_alu instid0(SALU_CYCLE_1)
	s_and_b32 vcc_lo, exec_lo, s7
	s_cbranch_vccz .LBB6_1578
; %bb.1563:
	s_cmp_lt_i32 s2, 27
	s_mov_b32 s6, -1
	s_cbranch_scc1 .LBB6_1569
; %bb.1564:
	s_wait_xcnt 0x0
	v_cvt_u32_f64_e32 v2, v[0:1]
	s_cmp_gt_i32 s2, 27
	s_cbranch_scc0 .LBB6_1566
; %bb.1565:
	s_mov_b32 s6, 0
	global_store_b32 v[12:13], v2, off
.LBB6_1566:
	s_and_not1_b32 vcc_lo, exec_lo, s6
	s_cbranch_vccnz .LBB6_1568
; %bb.1567:
	global_store_b16 v[12:13], v2, off
.LBB6_1568:
	s_mov_b32 s6, 0
.LBB6_1569:
	s_delay_alu instid0(SALU_CYCLE_1)
	s_and_not1_b32 vcc_lo, exec_lo, s6
	s_cbranch_vccnz .LBB6_1577
; %bb.1570:
	s_wait_xcnt 0x0
	v_cvt_f32_f64_e32 v2, v[0:1]
	v_mov_b32_e32 v11, 0x80
	s_mov_b32 s6, exec_lo
	s_delay_alu instid0(VALU_DEP_2) | instskip(NEXT) | instid1(VALU_DEP_1)
	v_and_b32_e32 v3, 0x7fffffff, v2
	v_cmpx_gt_u32_e32 0x43800000, v3
	s_cbranch_execz .LBB6_1576
; %bb.1571:
	v_cmp_lt_u32_e32 vcc_lo, 0x3bffffff, v3
	s_mov_b32 s7, 0
                                        ; implicit-def: $vgpr3
	s_and_saveexec_b32 s9, vcc_lo
	s_delay_alu instid0(SALU_CYCLE_1)
	s_xor_b32 s9, exec_lo, s9
	s_cbranch_execz .LBB6_2021
; %bb.1572:
	v_bfe_u32 v3, v2, 20, 1
	s_mov_b32 s7, exec_lo
	s_delay_alu instid0(VALU_DEP_1) | instskip(NEXT) | instid1(VALU_DEP_1)
	v_add3_u32 v3, v2, v3, 0x487ffff
	v_lshrrev_b32_e32 v3, 20, v3
	s_and_not1_saveexec_b32 s9, s9
	s_cbranch_execnz .LBB6_2022
.LBB6_1573:
	s_or_b32 exec_lo, exec_lo, s9
	v_mov_b32_e32 v11, 0
	s_and_saveexec_b32 s9, s7
.LBB6_1574:
	v_lshrrev_b32_e32 v2, 24, v2
	s_delay_alu instid0(VALU_DEP_1)
	v_and_or_b32 v11, 0x80, v2, v3
.LBB6_1575:
	s_or_b32 exec_lo, exec_lo, s9
.LBB6_1576:
	s_delay_alu instid0(SALU_CYCLE_1)
	s_or_b32 exec_lo, exec_lo, s6
	global_store_b8 v[12:13], v11, off
.LBB6_1577:
	s_mov_b32 s6, -1
.LBB6_1578:
	s_mov_b32 s7, 0
.LBB6_1579:
	s_delay_alu instid0(SALU_CYCLE_1)
	s_and_b32 vcc_lo, exec_lo, s7
	s_cbranch_vccz .LBB6_1619
; %bb.1580:
	s_cmp_gt_i32 s2, 22
	s_mov_b32 s3, -1
	s_cbranch_scc0 .LBB6_1612
; %bb.1581:
	s_cmp_lt_i32 s2, 24
	s_cbranch_scc1 .LBB6_1601
; %bb.1582:
	s_cmp_gt_i32 s2, 24
	s_cbranch_scc0 .LBB6_1590
; %bb.1583:
	s_wait_xcnt 0x0
	v_cvt_f32_f64_e32 v2, v[0:1]
	v_mov_b32_e32 v11, 0x80
	s_mov_b32 s3, exec_lo
	s_delay_alu instid0(VALU_DEP_2) | instskip(NEXT) | instid1(VALU_DEP_1)
	v_and_b32_e32 v3, 0x7fffffff, v2
	v_cmpx_gt_u32_e32 0x47800000, v3
	s_cbranch_execz .LBB6_1589
; %bb.1584:
	v_cmp_lt_u32_e32 vcc_lo, 0x37ffffff, v3
	s_mov_b32 s6, 0
                                        ; implicit-def: $vgpr3
	s_and_saveexec_b32 s7, vcc_lo
	s_delay_alu instid0(SALU_CYCLE_1)
	s_xor_b32 s7, exec_lo, s7
	s_cbranch_execz .LBB6_2024
; %bb.1585:
	v_bfe_u32 v3, v2, 21, 1
	s_mov_b32 s6, exec_lo
	s_delay_alu instid0(VALU_DEP_1) | instskip(NEXT) | instid1(VALU_DEP_1)
	v_add3_u32 v3, v2, v3, 0x88fffff
	v_lshrrev_b32_e32 v3, 21, v3
	s_and_not1_saveexec_b32 s7, s7
	s_cbranch_execnz .LBB6_2025
.LBB6_1586:
	s_or_b32 exec_lo, exec_lo, s7
	v_mov_b32_e32 v11, 0
	s_and_saveexec_b32 s7, s6
.LBB6_1587:
	v_lshrrev_b32_e32 v2, 24, v2
	s_delay_alu instid0(VALU_DEP_1)
	v_and_or_b32 v11, 0x80, v2, v3
.LBB6_1588:
	s_or_b32 exec_lo, exec_lo, s7
.LBB6_1589:
	s_delay_alu instid0(SALU_CYCLE_1)
	s_or_b32 exec_lo, exec_lo, s3
	s_mov_b32 s3, 0
	global_store_b8 v[12:13], v11, off
.LBB6_1590:
	s_and_b32 vcc_lo, exec_lo, s3
	s_cbranch_vccz .LBB6_1600
; %bb.1591:
	s_wait_xcnt 0x0
	v_cvt_f32_f64_e32 v2, v[0:1]
	s_mov_b32 s3, exec_lo
                                        ; implicit-def: $vgpr3
	s_delay_alu instid0(VALU_DEP_1) | instskip(NEXT) | instid1(VALU_DEP_1)
	v_and_b32_e32 v11, 0x7fffffff, v2
	v_cmpx_gt_u32_e32 0x43f00000, v11
	s_xor_b32 s3, exec_lo, s3
	s_cbranch_execz .LBB6_1597
; %bb.1592:
	s_mov_b32 s6, exec_lo
                                        ; implicit-def: $vgpr3
	v_cmpx_lt_u32_e32 0x3c7fffff, v11
	s_xor_b32 s6, exec_lo, s6
; %bb.1593:
	v_bfe_u32 v3, v2, 20, 1
	s_delay_alu instid0(VALU_DEP_1) | instskip(NEXT) | instid1(VALU_DEP_1)
	v_add3_u32 v3, v2, v3, 0x407ffff
	v_and_b32_e32 v11, 0xff00000, v3
	v_lshrrev_b32_e32 v3, 20, v3
	s_delay_alu instid0(VALU_DEP_2) | instskip(NEXT) | instid1(VALU_DEP_2)
	v_cmp_ne_u32_e32 vcc_lo, 0x7f00000, v11
	v_cndmask_b32_e32 v3, 0x7e, v3, vcc_lo
; %bb.1594:
	s_and_not1_saveexec_b32 s6, s6
; %bb.1595:
	v_add_f32_e64 v3, 0x46800000, |v2|
; %bb.1596:
	s_or_b32 exec_lo, exec_lo, s6
                                        ; implicit-def: $vgpr11
.LBB6_1597:
	s_and_not1_saveexec_b32 s3, s3
; %bb.1598:
	v_mov_b32_e32 v3, 0x7f
	v_cmp_lt_u32_e32 vcc_lo, 0x7f800000, v11
	s_delay_alu instid0(VALU_DEP_2)
	v_cndmask_b32_e32 v3, 0x7e, v3, vcc_lo
; %bb.1599:
	s_or_b32 exec_lo, exec_lo, s3
	v_lshrrev_b32_e32 v2, 24, v2
	s_delay_alu instid0(VALU_DEP_1)
	v_and_or_b32 v2, 0x80, v2, v3
	global_store_b8 v[12:13], v2, off
.LBB6_1600:
	s_mov_b32 s3, 0
.LBB6_1601:
	s_delay_alu instid0(SALU_CYCLE_1)
	s_and_not1_b32 vcc_lo, exec_lo, s3
	s_cbranch_vccnz .LBB6_1611
; %bb.1602:
	s_wait_xcnt 0x0
	v_cvt_f32_f64_e32 v2, v[0:1]
	s_mov_b32 s3, exec_lo
                                        ; implicit-def: $vgpr3
	s_delay_alu instid0(VALU_DEP_1) | instskip(NEXT) | instid1(VALU_DEP_1)
	v_and_b32_e32 v11, 0x7fffffff, v2
	v_cmpx_gt_u32_e32 0x47800000, v11
	s_xor_b32 s3, exec_lo, s3
	s_cbranch_execz .LBB6_1608
; %bb.1603:
	s_mov_b32 s6, exec_lo
                                        ; implicit-def: $vgpr3
	v_cmpx_lt_u32_e32 0x387fffff, v11
	s_xor_b32 s6, exec_lo, s6
; %bb.1604:
	v_bfe_u32 v3, v2, 21, 1
	s_delay_alu instid0(VALU_DEP_1) | instskip(NEXT) | instid1(VALU_DEP_1)
	v_add3_u32 v3, v2, v3, 0x80fffff
	v_lshrrev_b32_e32 v3, 21, v3
; %bb.1605:
	s_and_not1_saveexec_b32 s6, s6
; %bb.1606:
	v_add_f32_e64 v3, 0x43000000, |v2|
; %bb.1607:
	s_or_b32 exec_lo, exec_lo, s6
                                        ; implicit-def: $vgpr11
.LBB6_1608:
	s_and_not1_saveexec_b32 s3, s3
; %bb.1609:
	v_mov_b32_e32 v3, 0x7f
	v_cmp_lt_u32_e32 vcc_lo, 0x7f800000, v11
	s_delay_alu instid0(VALU_DEP_2)
	v_cndmask_b32_e32 v3, 0x7c, v3, vcc_lo
; %bb.1610:
	s_or_b32 exec_lo, exec_lo, s3
	v_lshrrev_b32_e32 v2, 24, v2
	s_delay_alu instid0(VALU_DEP_1)
	v_and_or_b32 v2, 0x80, v2, v3
	global_store_b8 v[12:13], v2, off
.LBB6_1611:
	s_mov_b32 s3, 0
	s_mov_b32 s6, -1
.LBB6_1612:
	s_and_not1_b32 vcc_lo, exec_lo, s3
	s_mov_b32 s3, 0
	s_cbranch_vccnz .LBB6_1619
; %bb.1613:
	s_cmp_gt_i32 s2, 14
	s_mov_b32 s3, -1
	s_cbranch_scc0 .LBB6_1617
; %bb.1614:
	s_cmp_eq_u32 s2, 15
	s_mov_b32 s0, -1
	s_cbranch_scc0 .LBB6_1616
; %bb.1615:
	s_wait_xcnt 0x0
	v_cvt_f32_f64_e32 v2, v[0:1]
	s_mov_b32 s0, 0
	s_mov_b32 s6, -1
	s_delay_alu instid0(VALU_DEP_1) | instskip(SKIP_1) | instid1(VALU_DEP_2)
	v_bfe_u32 v3, v2, 16, 1
	v_cmp_o_f32_e32 vcc_lo, v2, v2
	v_add3_u32 v3, v2, v3, 0x7fff
	s_delay_alu instid0(VALU_DEP_1) | instskip(NEXT) | instid1(VALU_DEP_1)
	v_lshrrev_b32_e32 v3, 16, v3
	v_cndmask_b32_e32 v2, 0x7fc0, v3, vcc_lo
	global_store_b16 v[12:13], v2, off
.LBB6_1616:
	s_mov_b32 s3, 0
.LBB6_1617:
	s_delay_alu instid0(SALU_CYCLE_1)
	s_and_b32 vcc_lo, exec_lo, s3
	s_mov_b32 s3, 0
	s_cbranch_vccz .LBB6_1619
; %bb.1618:
	s_cmp_lg_u32 s2, 11
	s_mov_b32 s3, -1
	s_cselect_b32 s0, -1, 0
.LBB6_1619:
	s_delay_alu instid0(SALU_CYCLE_1)
	s_and_b32 vcc_lo, exec_lo, s0
	s_cbranch_vccnz .LBB6_2023
; %bb.1620:
	s_and_not1_b32 vcc_lo, exec_lo, s3
	s_cbranch_vccnz .LBB6_1622
.LBB6_1621:
	v_cmp_neq_f64_e32 vcc_lo, 0, v[0:1]
	s_mov_b32 s6, -1
	s_wait_xcnt 0x0
	v_cndmask_b32_e64 v2, 0, 1, vcc_lo
	global_store_b8 v[12:13], v2, off
.LBB6_1622:
.LBB6_1623:
	s_and_not1_b32 vcc_lo, exec_lo, s6
	s_cbranch_vccz .LBB6_1663
	s_branch .LBB6_1975
.LBB6_1624:
	s_and_b32 vcc_lo, exec_lo, s0
	s_cbranch_vccz .LBB6_1623
; %bb.1625:
	s_and_b32 s0, 0xffff, s14
	s_mov_b32 s2, -1
	s_cmp_lt_i32 s0, 5
	s_cbranch_scc1 .LBB6_1646
; %bb.1626:
	s_cmp_lt_i32 s0, 8
	s_cbranch_scc1 .LBB6_1636
; %bb.1627:
	;; [unrolled: 3-line block ×3, first 2 shown]
	s_cmp_gt_i32 s0, 9
	s_cbranch_scc0 .LBB6_1630
; %bb.1629:
	s_wait_xcnt 0x0
	v_mov_b32_e32 v2, 0
	s_mov_b32 s2, 0
	s_delay_alu instid0(VALU_DEP_1)
	v_mov_b32_e32 v3, v2
	global_store_b128 v[12:13], v[0:3], off
.LBB6_1630:
	s_and_not1_b32 vcc_lo, exec_lo, s2
	s_cbranch_vccnz .LBB6_1632
; %bb.1631:
	s_wait_xcnt 0x0
	v_cvt_f32_f64_e32 v2, v[0:1]
	v_mov_b32_e32 v3, 0
	global_store_b64 v[12:13], v[2:3], off
.LBB6_1632:
	s_mov_b32 s2, 0
.LBB6_1633:
	s_delay_alu instid0(SALU_CYCLE_1)
	s_and_not1_b32 vcc_lo, exec_lo, s2
	s_cbranch_vccnz .LBB6_1635
; %bb.1634:
	s_wait_xcnt 0x0
	v_and_or_b32 v2, 0x1ff, v1, v0
	v_lshrrev_b32_e32 v3, 8, v1
	v_bfe_u32 v11, v1, 20, 11
	s_delay_alu instid0(VALU_DEP_3) | instskip(NEXT) | instid1(VALU_DEP_2)
	v_cmp_ne_u32_e32 vcc_lo, 0, v2
	v_sub_nc_u32_e32 v14, 0x3f1, v11
	v_add_nc_u32_e32 v11, 0xfffffc10, v11
	v_cndmask_b32_e64 v2, 0, 1, vcc_lo
	s_delay_alu instid0(VALU_DEP_1) | instskip(NEXT) | instid1(VALU_DEP_4)
	v_and_or_b32 v2, 0xffe, v3, v2
	v_med3_i32 v3, v14, 0, 13
	s_delay_alu instid0(VALU_DEP_2) | instskip(NEXT) | instid1(VALU_DEP_1)
	v_or_b32_e32 v14, 0x1000, v2
	v_lshrrev_b32_e32 v15, v3, v14
	s_delay_alu instid0(VALU_DEP_1) | instskip(NEXT) | instid1(VALU_DEP_1)
	v_lshlrev_b32_e32 v3, v3, v15
	v_cmp_ne_u32_e32 vcc_lo, v3, v14
	v_lshl_or_b32 v14, v11, 12, v2
	v_cndmask_b32_e64 v3, 0, 1, vcc_lo
	v_cmp_gt_i32_e32 vcc_lo, 1, v11
	s_delay_alu instid0(VALU_DEP_2) | instskip(NEXT) | instid1(VALU_DEP_1)
	v_or_b32_e32 v3, v15, v3
	v_cndmask_b32_e32 v3, v14, v3, vcc_lo
	s_delay_alu instid0(VALU_DEP_1) | instskip(NEXT) | instid1(VALU_DEP_1)
	v_dual_lshrrev_b32 v3, 2, v3 :: v_dual_bitop2_b32 v14, 7, v3 bitop3:0x40
	v_cmp_lt_i32_e32 vcc_lo, 5, v14
	v_cndmask_b32_e64 v15, 0, 1, vcc_lo
	v_cmp_eq_u32_e32 vcc_lo, 3, v14
	v_cndmask_b32_e64 v14, 0, 1, vcc_lo
	v_cmp_ne_u32_e32 vcc_lo, 0, v2
	s_delay_alu instid0(VALU_DEP_2) | instskip(SKIP_1) | instid1(VALU_DEP_1)
	v_or_b32_e32 v14, v14, v15
	v_mov_b32_e32 v15, 0x7e00
	v_dual_cndmask_b32 v2, 0x7c00, v15 :: v_dual_add_nc_u32 v3, v3, v14
	v_cmp_gt_i32_e32 vcc_lo, 31, v11
	s_delay_alu instid0(VALU_DEP_2) | instskip(SKIP_1) | instid1(VALU_DEP_2)
	v_dual_cndmask_b32 v3, 0x7c00, v3 :: v_dual_lshrrev_b32 v14, 16, v1
	v_cmp_eq_u32_e32 vcc_lo, 0x40f, v11
	v_cndmask_b32_e32 v2, v3, v2, vcc_lo
	s_delay_alu instid0(VALU_DEP_3) | instskip(NEXT) | instid1(VALU_DEP_1)
	v_and_b32_e32 v3, 0x8000, v14
	v_bitop3_b32 v2, v3, 0xffff, v2 bitop3:0xc8
	global_store_b32 v[12:13], v2, off
.LBB6_1635:
	s_mov_b32 s2, 0
.LBB6_1636:
	s_delay_alu instid0(SALU_CYCLE_1)
	s_and_not1_b32 vcc_lo, exec_lo, s2
	s_cbranch_vccnz .LBB6_1645
; %bb.1637:
	s_cmp_lt_i32 s0, 6
	s_mov_b32 s2, -1
	s_cbranch_scc1 .LBB6_1643
; %bb.1638:
	s_cmp_gt_i32 s0, 6
	s_cbranch_scc0 .LBB6_1640
; %bb.1639:
	s_mov_b32 s2, 0
	global_store_b64 v[12:13], v[0:1], off
.LBB6_1640:
	s_and_not1_b32 vcc_lo, exec_lo, s2
	s_cbranch_vccnz .LBB6_1642
; %bb.1641:
	s_wait_xcnt 0x0
	v_cvt_f32_f64_e32 v2, v[0:1]
	global_store_b32 v[12:13], v2, off
.LBB6_1642:
	s_mov_b32 s2, 0
.LBB6_1643:
	s_delay_alu instid0(SALU_CYCLE_1)
	s_and_not1_b32 vcc_lo, exec_lo, s2
	s_cbranch_vccnz .LBB6_1645
; %bb.1644:
	s_wait_xcnt 0x0
	v_and_or_b32 v2, 0x1ff, v1, v0
	v_lshrrev_b32_e32 v3, 8, v1
	v_bfe_u32 v11, v1, 20, 11
	s_delay_alu instid0(VALU_DEP_3) | instskip(NEXT) | instid1(VALU_DEP_2)
	v_cmp_ne_u32_e32 vcc_lo, 0, v2
	v_sub_nc_u32_e32 v14, 0x3f1, v11
	v_add_nc_u32_e32 v11, 0xfffffc10, v11
	v_cndmask_b32_e64 v2, 0, 1, vcc_lo
	s_delay_alu instid0(VALU_DEP_1) | instskip(NEXT) | instid1(VALU_DEP_4)
	v_and_or_b32 v2, 0xffe, v3, v2
	v_med3_i32 v3, v14, 0, 13
	s_delay_alu instid0(VALU_DEP_2) | instskip(NEXT) | instid1(VALU_DEP_1)
	v_or_b32_e32 v14, 0x1000, v2
	v_lshrrev_b32_e32 v15, v3, v14
	s_delay_alu instid0(VALU_DEP_1) | instskip(NEXT) | instid1(VALU_DEP_1)
	v_lshlrev_b32_e32 v3, v3, v15
	v_cmp_ne_u32_e32 vcc_lo, v3, v14
	v_lshl_or_b32 v14, v11, 12, v2
	v_cndmask_b32_e64 v3, 0, 1, vcc_lo
	v_cmp_gt_i32_e32 vcc_lo, 1, v11
	s_delay_alu instid0(VALU_DEP_2) | instskip(NEXT) | instid1(VALU_DEP_1)
	v_or_b32_e32 v3, v15, v3
	v_cndmask_b32_e32 v3, v14, v3, vcc_lo
	s_delay_alu instid0(VALU_DEP_1) | instskip(NEXT) | instid1(VALU_DEP_1)
	v_dual_lshrrev_b32 v3, 2, v3 :: v_dual_bitop2_b32 v14, 7, v3 bitop3:0x40
	v_cmp_lt_i32_e32 vcc_lo, 5, v14
	v_cndmask_b32_e64 v15, 0, 1, vcc_lo
	v_cmp_eq_u32_e32 vcc_lo, 3, v14
	v_cndmask_b32_e64 v14, 0, 1, vcc_lo
	v_cmp_ne_u32_e32 vcc_lo, 0, v2
	s_delay_alu instid0(VALU_DEP_2) | instskip(SKIP_1) | instid1(VALU_DEP_1)
	v_or_b32_e32 v14, v14, v15
	v_mov_b32_e32 v15, 0x7e00
	v_dual_cndmask_b32 v2, 0x7c00, v15 :: v_dual_add_nc_u32 v3, v3, v14
	v_cmp_gt_i32_e32 vcc_lo, 31, v11
	s_delay_alu instid0(VALU_DEP_2) | instskip(SKIP_1) | instid1(VALU_DEP_2)
	v_cndmask_b32_e32 v3, 0x7c00, v3, vcc_lo
	v_cmp_eq_u32_e32 vcc_lo, 0x40f, v11
	v_dual_cndmask_b32 v2, v3, v2 :: v_dual_lshrrev_b32 v3, 16, v1
	s_delay_alu instid0(VALU_DEP_1)
	v_and_or_b32 v2, 0x8000, v3, v2
	global_store_b16 v[12:13], v2, off
.LBB6_1645:
	s_mov_b32 s2, 0
.LBB6_1646:
	s_delay_alu instid0(SALU_CYCLE_1)
	s_and_not1_b32 vcc_lo, exec_lo, s2
	s_cbranch_vccnz .LBB6_1662
; %bb.1647:
	s_cmp_lt_i32 s0, 2
	s_mov_b32 s2, -1
	s_cbranch_scc1 .LBB6_1657
; %bb.1648:
	s_cmp_lt_i32 s0, 3
	s_cbranch_scc1 .LBB6_1654
; %bb.1649:
	s_cmp_gt_i32 s0, 3
	s_cbranch_scc0 .LBB6_1651
; %bb.1650:
	s_wait_xcnt 0x0
	v_trunc_f64_e32 v[2:3], v[0:1]
	s_mov_b32 s2, 0
	s_delay_alu instid0(VALU_DEP_1) | instskip(NEXT) | instid1(VALU_DEP_1)
	v_ldexp_f64 v[14:15], v[2:3], 0xffffffe0
	v_floor_f64_e32 v[14:15], v[14:15]
	s_delay_alu instid0(VALU_DEP_1) | instskip(SKIP_1) | instid1(VALU_DEP_2)
	v_fmamk_f64 v[2:3], v[14:15], 0xc1f00000, v[2:3]
	v_cvt_i32_f64_e32 v15, v[14:15]
	v_cvt_u32_f64_e32 v14, v[2:3]
	global_store_b64 v[12:13], v[14:15], off
.LBB6_1651:
	s_and_not1_b32 vcc_lo, exec_lo, s2
	s_cbranch_vccnz .LBB6_1653
; %bb.1652:
	s_wait_xcnt 0x0
	v_cvt_i32_f64_e32 v2, v[0:1]
	global_store_b32 v[12:13], v2, off
.LBB6_1653:
	s_mov_b32 s2, 0
.LBB6_1654:
	s_delay_alu instid0(SALU_CYCLE_1)
	s_and_not1_b32 vcc_lo, exec_lo, s2
	s_cbranch_vccnz .LBB6_1656
; %bb.1655:
	s_wait_xcnt 0x0
	v_cvt_i32_f64_e32 v2, v[0:1]
	global_store_b16 v[12:13], v2, off
.LBB6_1656:
	s_mov_b32 s2, 0
.LBB6_1657:
	s_delay_alu instid0(SALU_CYCLE_1)
	s_and_not1_b32 vcc_lo, exec_lo, s2
	s_cbranch_vccnz .LBB6_1662
; %bb.1658:
	s_cmp_gt_i32 s0, 0
	s_mov_b32 s0, -1
	s_cbranch_scc0 .LBB6_1660
; %bb.1659:
	s_wait_xcnt 0x0
	v_cvt_i32_f64_e32 v2, v[0:1]
	s_mov_b32 s0, 0
	global_store_b8 v[12:13], v2, off
.LBB6_1660:
	s_and_not1_b32 vcc_lo, exec_lo, s0
	s_cbranch_vccnz .LBB6_1662
; %bb.1661:
	s_wait_xcnt 0x0
	v_trunc_f64_e32 v[0:1], v[0:1]
	s_delay_alu instid0(VALU_DEP_1) | instskip(NEXT) | instid1(VALU_DEP_1)
	v_ldexp_f64 v[2:3], v[0:1], 0xffffffe0
	v_floor_f64_e32 v[2:3], v[2:3]
	s_delay_alu instid0(VALU_DEP_1) | instskip(NEXT) | instid1(VALU_DEP_1)
	v_fmamk_f64 v[0:1], v[2:3], 0xc1f00000, v[0:1]
	v_cvt_u32_f64_e32 v0, v[0:1]
	global_store_b8 v[12:13], v0, off
.LBB6_1662:
.LBB6_1663:
	v_cmp_nge_f64_e64 s0, v[8:9], -s[10:11]
	v_cmp_nge_f64_e32 vcc_lo, s[10:11], v[8:9]
	s_lshl_b32 s2, s8, 7
	s_mov_b32 s7, 0
	s_or_b32 vcc_lo, s0, vcc_lo
	s_wait_xcnt 0x0
	v_dual_cndmask_b32 v1, 0, v9 :: v_dual_add_nc_u32 v10, s2, v10
	s_cmp_lt_i32 s14, 11
	v_cndmask_b32_e32 v0, 0, v8, vcc_lo
	s_mov_b32 s0, -1
	s_delay_alu instid0(VALU_DEP_2) | instskip(NEXT) | instid1(VALU_DEP_1)
	v_ashrrev_i32_e32 v11, 31, v10
	v_add_nc_u64_e32 v[12:13], s[4:5], v[10:11]
	s_cbranch_scc1 .LBB6_1742
; %bb.1664:
	s_and_b32 s3, 0xffff, s14
	s_mov_b32 s8, -1
	s_mov_b32 s6, 0
	s_cmp_gt_i32 s3, 25
	s_mov_b32 s0, 0
	s_cbranch_scc0 .LBB6_1697
; %bb.1665:
	s_cmp_gt_i32 s3, 28
	s_cbranch_scc0 .LBB6_1680
; %bb.1666:
	s_cmp_gt_i32 s3, 43
	;; [unrolled: 3-line block ×3, first 2 shown]
	s_cbranch_scc0 .LBB6_1670
; %bb.1668:
	s_mov_b32 s0, -1
	s_mov_b32 s8, 0
	s_cmp_eq_u32 s3, 46
	s_cbranch_scc0 .LBB6_1670
; %bb.1669:
	v_cvt_f32_f64_e32 v2, v[0:1]
	s_mov_b32 s0, 0
	s_mov_b32 s7, -1
	s_delay_alu instid0(VALU_DEP_1) | instskip(SKIP_1) | instid1(VALU_DEP_2)
	v_bfe_u32 v3, v2, 16, 1
	v_cmp_o_f32_e32 vcc_lo, v2, v2
	v_add3_u32 v3, v2, v3, 0x7fff
	s_delay_alu instid0(VALU_DEP_1) | instskip(NEXT) | instid1(VALU_DEP_1)
	v_lshrrev_b32_e32 v3, 16, v3
	v_cndmask_b32_e32 v2, 0x7fc0, v3, vcc_lo
	global_store_b32 v[12:13], v2, off
.LBB6_1670:
	s_and_b32 vcc_lo, exec_lo, s8
	s_cbranch_vccz .LBB6_1675
; %bb.1671:
	s_cmp_eq_u32 s3, 44
	s_mov_b32 s0, -1
	s_cbranch_scc0 .LBB6_1675
; %bb.1672:
	s_wait_xcnt 0x0
	v_cvt_f32_f64_e32 v2, v[0:1]
	v_mov_b32_e32 v3, 0xff
	s_mov_b32 s7, exec_lo
	s_delay_alu instid0(VALU_DEP_2) | instskip(NEXT) | instid1(VALU_DEP_1)
	v_bfe_u32 v8, v2, 23, 8
	v_cmpx_ne_u32_e32 0xff, v8
	s_cbranch_execz .LBB6_1674
; %bb.1673:
	v_and_b32_e32 v3, 0x400000, v2
	v_and_or_b32 v8, 0x3fffff, v2, v8
	v_lshrrev_b32_e32 v2, 23, v2
	s_delay_alu instid0(VALU_DEP_3) | instskip(NEXT) | instid1(VALU_DEP_3)
	v_cmp_ne_u32_e32 vcc_lo, 0, v3
	v_cmp_ne_u32_e64 s0, 0, v8
	s_and_b32 s0, vcc_lo, s0
	s_delay_alu instid0(SALU_CYCLE_1) | instskip(NEXT) | instid1(VALU_DEP_1)
	v_cndmask_b32_e64 v3, 0, 1, s0
	v_add_nc_u32_e32 v3, v2, v3
.LBB6_1674:
	s_or_b32 exec_lo, exec_lo, s7
	s_mov_b32 s0, 0
	s_mov_b32 s7, -1
	global_store_b8 v[12:13], v3, off
.LBB6_1675:
	s_mov_b32 s8, 0
.LBB6_1676:
	s_delay_alu instid0(SALU_CYCLE_1)
	s_and_b32 vcc_lo, exec_lo, s8
	s_cbranch_vccz .LBB6_1679
; %bb.1677:
	s_cmp_eq_u32 s3, 29
	s_mov_b32 s0, -1
	s_cbranch_scc0 .LBB6_1679
; %bb.1678:
	s_wait_xcnt 0x0
	v_trunc_f64_e32 v[2:3], v[0:1]
	s_mov_b32 s0, 0
	s_mov_b32 s7, -1
	s_delay_alu instid0(VALU_DEP_1) | instskip(NEXT) | instid1(VALU_DEP_1)
	v_ldexp_f64 v[8:9], v[2:3], 0xffffffe0
	v_floor_f64_e32 v[8:9], v[8:9]
	s_delay_alu instid0(VALU_DEP_1) | instskip(SKIP_1) | instid1(VALU_DEP_2)
	v_fmamk_f64 v[2:3], v[8:9], 0xc1f00000, v[2:3]
	v_cvt_u32_f64_e32 v9, v[8:9]
	v_cvt_u32_f64_e32 v8, v[2:3]
	global_store_b64 v[12:13], v[8:9], off
.LBB6_1679:
	s_mov_b32 s8, 0
.LBB6_1680:
	s_delay_alu instid0(SALU_CYCLE_1)
	s_and_b32 vcc_lo, exec_lo, s8
	s_cbranch_vccz .LBB6_1696
; %bb.1681:
	s_cmp_lt_i32 s3, 27
	s_mov_b32 s7, -1
	s_cbranch_scc1 .LBB6_1687
; %bb.1682:
	s_wait_xcnt 0x0
	v_cvt_u32_f64_e32 v2, v[0:1]
	s_cmp_gt_i32 s3, 27
	s_cbranch_scc0 .LBB6_1684
; %bb.1683:
	s_mov_b32 s7, 0
	global_store_b32 v[12:13], v2, off
.LBB6_1684:
	s_and_not1_b32 vcc_lo, exec_lo, s7
	s_cbranch_vccnz .LBB6_1686
; %bb.1685:
	global_store_b16 v[12:13], v2, off
.LBB6_1686:
	s_mov_b32 s7, 0
.LBB6_1687:
	s_delay_alu instid0(SALU_CYCLE_1)
	s_and_not1_b32 vcc_lo, exec_lo, s7
	s_cbranch_vccnz .LBB6_1695
; %bb.1688:
	s_wait_xcnt 0x0
	v_cvt_f32_f64_e32 v2, v[0:1]
	v_mov_b32_e32 v8, 0x80
	s_mov_b32 s7, exec_lo
	s_delay_alu instid0(VALU_DEP_2) | instskip(NEXT) | instid1(VALU_DEP_1)
	v_and_b32_e32 v3, 0x7fffffff, v2
	v_cmpx_gt_u32_e32 0x43800000, v3
	s_cbranch_execz .LBB6_1694
; %bb.1689:
	v_cmp_lt_u32_e32 vcc_lo, 0x3bffffff, v3
	s_mov_b32 s8, 0
                                        ; implicit-def: $vgpr3
	s_and_saveexec_b32 s9, vcc_lo
	s_delay_alu instid0(SALU_CYCLE_1)
	s_xor_b32 s9, exec_lo, s9
	s_cbranch_execz .LBB6_2026
; %bb.1690:
	v_bfe_u32 v3, v2, 20, 1
	s_mov_b32 s8, exec_lo
	s_delay_alu instid0(VALU_DEP_1) | instskip(NEXT) | instid1(VALU_DEP_1)
	v_add3_u32 v3, v2, v3, 0x487ffff
	v_lshrrev_b32_e32 v3, 20, v3
	s_and_not1_saveexec_b32 s9, s9
	s_cbranch_execnz .LBB6_2027
.LBB6_1691:
	s_or_b32 exec_lo, exec_lo, s9
	v_mov_b32_e32 v8, 0
	s_and_saveexec_b32 s9, s8
.LBB6_1692:
	v_lshrrev_b32_e32 v2, 24, v2
	s_delay_alu instid0(VALU_DEP_1)
	v_and_or_b32 v8, 0x80, v2, v3
.LBB6_1693:
	s_or_b32 exec_lo, exec_lo, s9
.LBB6_1694:
	s_delay_alu instid0(SALU_CYCLE_1)
	s_or_b32 exec_lo, exec_lo, s7
	global_store_b8 v[12:13], v8, off
.LBB6_1695:
	s_mov_b32 s7, -1
.LBB6_1696:
	s_mov_b32 s8, 0
.LBB6_1697:
	s_delay_alu instid0(SALU_CYCLE_1)
	s_and_b32 vcc_lo, exec_lo, s8
	s_cbranch_vccz .LBB6_1737
; %bb.1698:
	s_cmp_gt_i32 s3, 22
	s_mov_b32 s6, -1
	s_cbranch_scc0 .LBB6_1730
; %bb.1699:
	s_cmp_lt_i32 s3, 24
	s_cbranch_scc1 .LBB6_1719
; %bb.1700:
	s_cmp_gt_i32 s3, 24
	s_cbranch_scc0 .LBB6_1708
; %bb.1701:
	s_wait_xcnt 0x0
	v_cvt_f32_f64_e32 v2, v[0:1]
	v_mov_b32_e32 v8, 0x80
	s_mov_b32 s6, exec_lo
	s_delay_alu instid0(VALU_DEP_2) | instskip(NEXT) | instid1(VALU_DEP_1)
	v_and_b32_e32 v3, 0x7fffffff, v2
	v_cmpx_gt_u32_e32 0x47800000, v3
	s_cbranch_execz .LBB6_1707
; %bb.1702:
	v_cmp_lt_u32_e32 vcc_lo, 0x37ffffff, v3
	s_mov_b32 s7, 0
                                        ; implicit-def: $vgpr3
	s_and_saveexec_b32 s8, vcc_lo
	s_delay_alu instid0(SALU_CYCLE_1)
	s_xor_b32 s8, exec_lo, s8
	s_cbranch_execz .LBB6_2029
; %bb.1703:
	v_bfe_u32 v3, v2, 21, 1
	s_mov_b32 s7, exec_lo
	s_delay_alu instid0(VALU_DEP_1) | instskip(NEXT) | instid1(VALU_DEP_1)
	v_add3_u32 v3, v2, v3, 0x88fffff
	v_lshrrev_b32_e32 v3, 21, v3
	s_and_not1_saveexec_b32 s8, s8
	s_cbranch_execnz .LBB6_2030
.LBB6_1704:
	s_or_b32 exec_lo, exec_lo, s8
	v_mov_b32_e32 v8, 0
	s_and_saveexec_b32 s8, s7
.LBB6_1705:
	v_lshrrev_b32_e32 v2, 24, v2
	s_delay_alu instid0(VALU_DEP_1)
	v_and_or_b32 v8, 0x80, v2, v3
.LBB6_1706:
	s_or_b32 exec_lo, exec_lo, s8
.LBB6_1707:
	s_delay_alu instid0(SALU_CYCLE_1)
	s_or_b32 exec_lo, exec_lo, s6
	s_mov_b32 s6, 0
	global_store_b8 v[12:13], v8, off
.LBB6_1708:
	s_and_b32 vcc_lo, exec_lo, s6
	s_cbranch_vccz .LBB6_1718
; %bb.1709:
	s_wait_xcnt 0x0
	v_cvt_f32_f64_e32 v2, v[0:1]
	s_mov_b32 s6, exec_lo
                                        ; implicit-def: $vgpr3
	s_delay_alu instid0(VALU_DEP_1) | instskip(NEXT) | instid1(VALU_DEP_1)
	v_and_b32_e32 v8, 0x7fffffff, v2
	v_cmpx_gt_u32_e32 0x43f00000, v8
	s_xor_b32 s6, exec_lo, s6
	s_cbranch_execz .LBB6_1715
; %bb.1710:
	s_mov_b32 s7, exec_lo
                                        ; implicit-def: $vgpr3
	v_cmpx_lt_u32_e32 0x3c7fffff, v8
	s_xor_b32 s7, exec_lo, s7
; %bb.1711:
	v_bfe_u32 v3, v2, 20, 1
	s_delay_alu instid0(VALU_DEP_1) | instskip(NEXT) | instid1(VALU_DEP_1)
	v_add3_u32 v3, v2, v3, 0x407ffff
	v_and_b32_e32 v8, 0xff00000, v3
	v_lshrrev_b32_e32 v3, 20, v3
	s_delay_alu instid0(VALU_DEP_2) | instskip(NEXT) | instid1(VALU_DEP_2)
	v_cmp_ne_u32_e32 vcc_lo, 0x7f00000, v8
	v_cndmask_b32_e32 v3, 0x7e, v3, vcc_lo
; %bb.1712:
	s_and_not1_saveexec_b32 s7, s7
; %bb.1713:
	v_add_f32_e64 v3, 0x46800000, |v2|
; %bb.1714:
	s_or_b32 exec_lo, exec_lo, s7
                                        ; implicit-def: $vgpr8
.LBB6_1715:
	s_and_not1_saveexec_b32 s6, s6
; %bb.1716:
	v_mov_b32_e32 v3, 0x7f
	v_cmp_lt_u32_e32 vcc_lo, 0x7f800000, v8
	s_delay_alu instid0(VALU_DEP_2)
	v_cndmask_b32_e32 v3, 0x7e, v3, vcc_lo
; %bb.1717:
	s_or_b32 exec_lo, exec_lo, s6
	v_lshrrev_b32_e32 v2, 24, v2
	s_delay_alu instid0(VALU_DEP_1)
	v_and_or_b32 v2, 0x80, v2, v3
	global_store_b8 v[12:13], v2, off
.LBB6_1718:
	s_mov_b32 s6, 0
.LBB6_1719:
	s_delay_alu instid0(SALU_CYCLE_1)
	s_and_not1_b32 vcc_lo, exec_lo, s6
	s_cbranch_vccnz .LBB6_1729
; %bb.1720:
	s_wait_xcnt 0x0
	v_cvt_f32_f64_e32 v2, v[0:1]
	s_mov_b32 s6, exec_lo
                                        ; implicit-def: $vgpr3
	s_delay_alu instid0(VALU_DEP_1) | instskip(NEXT) | instid1(VALU_DEP_1)
	v_and_b32_e32 v8, 0x7fffffff, v2
	v_cmpx_gt_u32_e32 0x47800000, v8
	s_xor_b32 s6, exec_lo, s6
	s_cbranch_execz .LBB6_1726
; %bb.1721:
	s_mov_b32 s7, exec_lo
                                        ; implicit-def: $vgpr3
	v_cmpx_lt_u32_e32 0x387fffff, v8
	s_xor_b32 s7, exec_lo, s7
; %bb.1722:
	v_bfe_u32 v3, v2, 21, 1
	s_delay_alu instid0(VALU_DEP_1) | instskip(NEXT) | instid1(VALU_DEP_1)
	v_add3_u32 v3, v2, v3, 0x80fffff
	v_lshrrev_b32_e32 v3, 21, v3
; %bb.1723:
	s_and_not1_saveexec_b32 s7, s7
; %bb.1724:
	v_add_f32_e64 v3, 0x43000000, |v2|
; %bb.1725:
	s_or_b32 exec_lo, exec_lo, s7
                                        ; implicit-def: $vgpr8
.LBB6_1726:
	s_and_not1_saveexec_b32 s6, s6
; %bb.1727:
	v_mov_b32_e32 v3, 0x7f
	v_cmp_lt_u32_e32 vcc_lo, 0x7f800000, v8
	s_delay_alu instid0(VALU_DEP_2)
	v_cndmask_b32_e32 v3, 0x7c, v3, vcc_lo
; %bb.1728:
	s_or_b32 exec_lo, exec_lo, s6
	v_lshrrev_b32_e32 v2, 24, v2
	s_delay_alu instid0(VALU_DEP_1)
	v_and_or_b32 v2, 0x80, v2, v3
	global_store_b8 v[12:13], v2, off
.LBB6_1729:
	s_mov_b32 s6, 0
	s_mov_b32 s7, -1
.LBB6_1730:
	s_and_not1_b32 vcc_lo, exec_lo, s6
	s_mov_b32 s6, 0
	s_cbranch_vccnz .LBB6_1737
; %bb.1731:
	s_cmp_gt_i32 s3, 14
	s_mov_b32 s6, -1
	s_cbranch_scc0 .LBB6_1735
; %bb.1732:
	s_cmp_eq_u32 s3, 15
	s_mov_b32 s0, -1
	s_cbranch_scc0 .LBB6_1734
; %bb.1733:
	s_wait_xcnt 0x0
	v_cvt_f32_f64_e32 v2, v[0:1]
	s_mov_b32 s0, 0
	s_mov_b32 s7, -1
	s_delay_alu instid0(VALU_DEP_1) | instskip(SKIP_1) | instid1(VALU_DEP_2)
	v_bfe_u32 v3, v2, 16, 1
	v_cmp_o_f32_e32 vcc_lo, v2, v2
	v_add3_u32 v3, v2, v3, 0x7fff
	s_delay_alu instid0(VALU_DEP_1) | instskip(NEXT) | instid1(VALU_DEP_1)
	v_lshrrev_b32_e32 v3, 16, v3
	v_cndmask_b32_e32 v2, 0x7fc0, v3, vcc_lo
	global_store_b16 v[12:13], v2, off
.LBB6_1734:
	s_mov_b32 s6, 0
.LBB6_1735:
	s_delay_alu instid0(SALU_CYCLE_1)
	s_and_b32 vcc_lo, exec_lo, s6
	s_mov_b32 s6, 0
	s_cbranch_vccz .LBB6_1737
; %bb.1736:
	s_cmp_lg_u32 s3, 11
	s_mov_b32 s6, -1
	s_cselect_b32 s0, -1, 0
.LBB6_1737:
	s_delay_alu instid0(SALU_CYCLE_1)
	s_and_b32 vcc_lo, exec_lo, s0
	s_cbranch_vccnz .LBB6_2028
; %bb.1738:
	s_and_not1_b32 vcc_lo, exec_lo, s6
	s_cbranch_vccnz .LBB6_1740
.LBB6_1739:
	v_cmp_neq_f64_e32 vcc_lo, 0, v[0:1]
	s_mov_b32 s7, -1
	s_wait_xcnt 0x0
	v_cndmask_b32_e64 v2, 0, 1, vcc_lo
	global_store_b8 v[12:13], v2, off
.LBB6_1740:
.LBB6_1741:
	s_and_not1_b32 vcc_lo, exec_lo, s7
	s_cbranch_vccz .LBB6_1781
	s_branch .LBB6_1975
.LBB6_1742:
	s_and_b32 vcc_lo, exec_lo, s0
	s_cbranch_vccz .LBB6_1741
; %bb.1743:
	s_and_b32 s0, 0xffff, s14
	s_mov_b32 s3, -1
	s_cmp_lt_i32 s0, 5
	s_cbranch_scc1 .LBB6_1764
; %bb.1744:
	s_cmp_lt_i32 s0, 8
	s_cbranch_scc1 .LBB6_1754
; %bb.1745:
	;; [unrolled: 3-line block ×3, first 2 shown]
	s_cmp_gt_i32 s0, 9
	s_cbranch_scc0 .LBB6_1748
; %bb.1747:
	s_wait_xcnt 0x0
	v_mov_b32_e32 v2, 0
	s_mov_b32 s3, 0
	s_delay_alu instid0(VALU_DEP_1)
	v_mov_b32_e32 v3, v2
	global_store_b128 v[12:13], v[0:3], off
.LBB6_1748:
	s_and_not1_b32 vcc_lo, exec_lo, s3
	s_cbranch_vccnz .LBB6_1750
; %bb.1749:
	s_wait_xcnt 0x0
	v_cvt_f32_f64_e32 v2, v[0:1]
	v_mov_b32_e32 v3, 0
	global_store_b64 v[12:13], v[2:3], off
.LBB6_1750:
	s_mov_b32 s3, 0
.LBB6_1751:
	s_delay_alu instid0(SALU_CYCLE_1)
	s_and_not1_b32 vcc_lo, exec_lo, s3
	s_cbranch_vccnz .LBB6_1753
; %bb.1752:
	s_wait_xcnt 0x0
	v_and_or_b32 v2, 0x1ff, v1, v0
	v_lshrrev_b32_e32 v3, 8, v1
	v_bfe_u32 v8, v1, 20, 11
	s_delay_alu instid0(VALU_DEP_3) | instskip(NEXT) | instid1(VALU_DEP_2)
	v_cmp_ne_u32_e32 vcc_lo, 0, v2
	v_sub_nc_u32_e32 v9, 0x3f1, v8
	v_add_nc_u32_e32 v8, 0xfffffc10, v8
	v_cndmask_b32_e64 v2, 0, 1, vcc_lo
	s_delay_alu instid0(VALU_DEP_1) | instskip(NEXT) | instid1(VALU_DEP_4)
	v_and_or_b32 v2, 0xffe, v3, v2
	v_med3_i32 v3, v9, 0, 13
	s_delay_alu instid0(VALU_DEP_2) | instskip(NEXT) | instid1(VALU_DEP_1)
	v_or_b32_e32 v9, 0x1000, v2
	v_lshrrev_b32_e32 v11, v3, v9
	s_delay_alu instid0(VALU_DEP_1) | instskip(NEXT) | instid1(VALU_DEP_1)
	v_lshlrev_b32_e32 v3, v3, v11
	v_cmp_ne_u32_e32 vcc_lo, v3, v9
	v_lshl_or_b32 v9, v8, 12, v2
	v_cndmask_b32_e64 v3, 0, 1, vcc_lo
	v_cmp_gt_i32_e32 vcc_lo, 1, v8
	s_delay_alu instid0(VALU_DEP_2) | instskip(NEXT) | instid1(VALU_DEP_1)
	v_or_b32_e32 v3, v11, v3
	v_cndmask_b32_e32 v3, v9, v3, vcc_lo
	s_delay_alu instid0(VALU_DEP_1) | instskip(NEXT) | instid1(VALU_DEP_1)
	v_dual_lshrrev_b32 v3, 2, v3 :: v_dual_bitop2_b32 v9, 7, v3 bitop3:0x40
	v_cmp_lt_i32_e32 vcc_lo, 5, v9
	v_cndmask_b32_e64 v11, 0, 1, vcc_lo
	v_cmp_eq_u32_e32 vcc_lo, 3, v9
	v_cndmask_b32_e64 v9, 0, 1, vcc_lo
	v_cmp_ne_u32_e32 vcc_lo, 0, v2
	s_delay_alu instid0(VALU_DEP_2) | instskip(SKIP_1) | instid1(VALU_DEP_1)
	v_or_b32_e32 v9, v9, v11
	v_mov_b32_e32 v11, 0x7e00
	v_dual_cndmask_b32 v2, 0x7c00, v11 :: v_dual_add_nc_u32 v3, v3, v9
	v_cmp_gt_i32_e32 vcc_lo, 31, v8
	v_lshrrev_b32_e32 v9, 16, v1
	s_delay_alu instid0(VALU_DEP_3) | instskip(SKIP_1) | instid1(VALU_DEP_2)
	v_cndmask_b32_e32 v3, 0x7c00, v3, vcc_lo
	v_cmp_eq_u32_e32 vcc_lo, 0x40f, v8
	v_cndmask_b32_e32 v2, v3, v2, vcc_lo
	s_delay_alu instid0(VALU_DEP_4) | instskip(NEXT) | instid1(VALU_DEP_1)
	v_and_b32_e32 v3, 0x8000, v9
	v_bitop3_b32 v2, v3, 0xffff, v2 bitop3:0xc8
	global_store_b32 v[12:13], v2, off
.LBB6_1753:
	s_mov_b32 s3, 0
.LBB6_1754:
	s_delay_alu instid0(SALU_CYCLE_1)
	s_and_not1_b32 vcc_lo, exec_lo, s3
	s_cbranch_vccnz .LBB6_1763
; %bb.1755:
	s_cmp_lt_i32 s0, 6
	s_mov_b32 s3, -1
	s_cbranch_scc1 .LBB6_1761
; %bb.1756:
	s_cmp_gt_i32 s0, 6
	s_cbranch_scc0 .LBB6_1758
; %bb.1757:
	s_mov_b32 s3, 0
	global_store_b64 v[12:13], v[0:1], off
.LBB6_1758:
	s_and_not1_b32 vcc_lo, exec_lo, s3
	s_cbranch_vccnz .LBB6_1760
; %bb.1759:
	s_wait_xcnt 0x0
	v_cvt_f32_f64_e32 v2, v[0:1]
	global_store_b32 v[12:13], v2, off
.LBB6_1760:
	s_mov_b32 s3, 0
.LBB6_1761:
	s_delay_alu instid0(SALU_CYCLE_1)
	s_and_not1_b32 vcc_lo, exec_lo, s3
	s_cbranch_vccnz .LBB6_1763
; %bb.1762:
	s_wait_xcnt 0x0
	v_and_or_b32 v2, 0x1ff, v1, v0
	v_lshrrev_b32_e32 v3, 8, v1
	v_bfe_u32 v8, v1, 20, 11
	s_delay_alu instid0(VALU_DEP_3) | instskip(NEXT) | instid1(VALU_DEP_2)
	v_cmp_ne_u32_e32 vcc_lo, 0, v2
	v_sub_nc_u32_e32 v9, 0x3f1, v8
	v_add_nc_u32_e32 v8, 0xfffffc10, v8
	v_cndmask_b32_e64 v2, 0, 1, vcc_lo
	s_delay_alu instid0(VALU_DEP_1) | instskip(NEXT) | instid1(VALU_DEP_4)
	v_and_or_b32 v2, 0xffe, v3, v2
	v_med3_i32 v3, v9, 0, 13
	s_delay_alu instid0(VALU_DEP_2) | instskip(NEXT) | instid1(VALU_DEP_1)
	v_or_b32_e32 v9, 0x1000, v2
	v_lshrrev_b32_e32 v11, v3, v9
	s_delay_alu instid0(VALU_DEP_1) | instskip(NEXT) | instid1(VALU_DEP_1)
	v_lshlrev_b32_e32 v3, v3, v11
	v_cmp_ne_u32_e32 vcc_lo, v3, v9
	v_lshl_or_b32 v9, v8, 12, v2
	v_cndmask_b32_e64 v3, 0, 1, vcc_lo
	v_cmp_gt_i32_e32 vcc_lo, 1, v8
	s_delay_alu instid0(VALU_DEP_2) | instskip(NEXT) | instid1(VALU_DEP_1)
	v_or_b32_e32 v3, v11, v3
	v_cndmask_b32_e32 v3, v9, v3, vcc_lo
	s_delay_alu instid0(VALU_DEP_1) | instskip(NEXT) | instid1(VALU_DEP_1)
	v_dual_lshrrev_b32 v3, 2, v3 :: v_dual_bitop2_b32 v9, 7, v3 bitop3:0x40
	v_cmp_lt_i32_e32 vcc_lo, 5, v9
	v_cndmask_b32_e64 v11, 0, 1, vcc_lo
	v_cmp_eq_u32_e32 vcc_lo, 3, v9
	v_cndmask_b32_e64 v9, 0, 1, vcc_lo
	v_cmp_ne_u32_e32 vcc_lo, 0, v2
	s_delay_alu instid0(VALU_DEP_2) | instskip(SKIP_1) | instid1(VALU_DEP_1)
	v_or_b32_e32 v9, v9, v11
	v_mov_b32_e32 v11, 0x7e00
	v_dual_cndmask_b32 v2, 0x7c00, v11 :: v_dual_add_nc_u32 v3, v3, v9
	v_cmp_gt_i32_e32 vcc_lo, 31, v8
	s_delay_alu instid0(VALU_DEP_2) | instskip(SKIP_1) | instid1(VALU_DEP_2)
	v_cndmask_b32_e32 v3, 0x7c00, v3, vcc_lo
	v_cmp_eq_u32_e32 vcc_lo, 0x40f, v8
	v_dual_cndmask_b32 v2, v3, v2 :: v_dual_lshrrev_b32 v3, 16, v1
	s_delay_alu instid0(VALU_DEP_1)
	v_and_or_b32 v2, 0x8000, v3, v2
	global_store_b16 v[12:13], v2, off
.LBB6_1763:
	s_mov_b32 s3, 0
.LBB6_1764:
	s_delay_alu instid0(SALU_CYCLE_1)
	s_and_not1_b32 vcc_lo, exec_lo, s3
	s_cbranch_vccnz .LBB6_1780
; %bb.1765:
	s_cmp_lt_i32 s0, 2
	s_mov_b32 s3, -1
	s_cbranch_scc1 .LBB6_1775
; %bb.1766:
	s_cmp_lt_i32 s0, 3
	s_cbranch_scc1 .LBB6_1772
; %bb.1767:
	s_cmp_gt_i32 s0, 3
	s_cbranch_scc0 .LBB6_1769
; %bb.1768:
	s_wait_xcnt 0x0
	v_trunc_f64_e32 v[2:3], v[0:1]
	s_mov_b32 s3, 0
	s_delay_alu instid0(VALU_DEP_1) | instskip(NEXT) | instid1(VALU_DEP_1)
	v_ldexp_f64 v[8:9], v[2:3], 0xffffffe0
	v_floor_f64_e32 v[8:9], v[8:9]
	s_delay_alu instid0(VALU_DEP_1) | instskip(SKIP_1) | instid1(VALU_DEP_2)
	v_fmamk_f64 v[2:3], v[8:9], 0xc1f00000, v[2:3]
	v_cvt_i32_f64_e32 v9, v[8:9]
	v_cvt_u32_f64_e32 v8, v[2:3]
	global_store_b64 v[12:13], v[8:9], off
.LBB6_1769:
	s_and_not1_b32 vcc_lo, exec_lo, s3
	s_cbranch_vccnz .LBB6_1771
; %bb.1770:
	s_wait_xcnt 0x0
	v_cvt_i32_f64_e32 v2, v[0:1]
	global_store_b32 v[12:13], v2, off
.LBB6_1771:
	s_mov_b32 s3, 0
.LBB6_1772:
	s_delay_alu instid0(SALU_CYCLE_1)
	s_and_not1_b32 vcc_lo, exec_lo, s3
	s_cbranch_vccnz .LBB6_1774
; %bb.1773:
	s_wait_xcnt 0x0
	v_cvt_i32_f64_e32 v2, v[0:1]
	global_store_b16 v[12:13], v2, off
.LBB6_1774:
	s_mov_b32 s3, 0
.LBB6_1775:
	s_delay_alu instid0(SALU_CYCLE_1)
	s_and_not1_b32 vcc_lo, exec_lo, s3
	s_cbranch_vccnz .LBB6_1780
; %bb.1776:
	s_cmp_gt_i32 s0, 0
	s_mov_b32 s0, -1
	s_cbranch_scc0 .LBB6_1778
; %bb.1777:
	s_wait_xcnt 0x0
	v_cvt_i32_f64_e32 v2, v[0:1]
	s_mov_b32 s0, 0
	global_store_b8 v[12:13], v2, off
.LBB6_1778:
	s_and_not1_b32 vcc_lo, exec_lo, s0
	s_cbranch_vccnz .LBB6_1780
; %bb.1779:
	s_wait_xcnt 0x0
	v_trunc_f64_e32 v[0:1], v[0:1]
	s_delay_alu instid0(VALU_DEP_1) | instskip(NEXT) | instid1(VALU_DEP_1)
	v_ldexp_f64 v[2:3], v[0:1], 0xffffffe0
	v_floor_f64_e32 v[2:3], v[2:3]
	s_delay_alu instid0(VALU_DEP_1) | instskip(NEXT) | instid1(VALU_DEP_1)
	v_fmamk_f64 v[0:1], v[2:3], 0xc1f00000, v[0:1]
	v_cvt_u32_f64_e32 v0, v[0:1]
	global_store_b8 v[12:13], v0, off
.LBB6_1780:
.LBB6_1781:
	v_cmp_nge_f64_e64 s0, v[6:7], -s[10:11]
	v_cmp_nge_f64_e32 vcc_lo, s[10:11], v[6:7]
	s_mov_b32 s7, 0
	s_or_b32 vcc_lo, s0, vcc_lo
	s_wait_xcnt 0x0
	v_dual_cndmask_b32 v1, 0, v7 :: v_dual_add_nc_u32 v8, s2, v10
	s_cmp_lt_i32 s14, 11
	v_cndmask_b32_e32 v0, 0, v6, vcc_lo
	s_mov_b32 s0, -1
	s_delay_alu instid0(VALU_DEP_2) | instskip(NEXT) | instid1(VALU_DEP_1)
	v_ashrrev_i32_e32 v9, 31, v8
	v_add_nc_u64_e32 v[10:11], s[4:5], v[8:9]
	s_cbranch_scc1 .LBB6_1936
; %bb.1782:
	s_and_b32 s3, 0xffff, s14
	s_mov_b32 s8, -1
	s_mov_b32 s6, 0
	s_cmp_gt_i32 s3, 25
	s_mov_b32 s0, 0
	s_cbranch_scc0 .LBB6_1815
; %bb.1783:
	s_cmp_gt_i32 s3, 28
	s_cbranch_scc0 .LBB6_1798
; %bb.1784:
	s_cmp_gt_i32 s3, 43
	;; [unrolled: 3-line block ×3, first 2 shown]
	s_cbranch_scc0 .LBB6_1788
; %bb.1786:
	s_mov_b32 s0, -1
	s_mov_b32 s8, 0
	s_cmp_eq_u32 s3, 46
	s_cbranch_scc0 .LBB6_1788
; %bb.1787:
	v_cvt_f32_f64_e32 v2, v[0:1]
	s_mov_b32 s0, 0
	s_mov_b32 s7, -1
	s_delay_alu instid0(VALU_DEP_1) | instskip(SKIP_1) | instid1(VALU_DEP_2)
	v_bfe_u32 v3, v2, 16, 1
	v_cmp_o_f32_e32 vcc_lo, v2, v2
	v_add3_u32 v3, v2, v3, 0x7fff
	s_delay_alu instid0(VALU_DEP_1) | instskip(NEXT) | instid1(VALU_DEP_1)
	v_lshrrev_b32_e32 v3, 16, v3
	v_cndmask_b32_e32 v2, 0x7fc0, v3, vcc_lo
	global_store_b32 v[10:11], v2, off
.LBB6_1788:
	s_and_b32 vcc_lo, exec_lo, s8
	s_cbranch_vccz .LBB6_1793
; %bb.1789:
	s_cmp_eq_u32 s3, 44
	s_mov_b32 s0, -1
	s_cbranch_scc0 .LBB6_1793
; %bb.1790:
	s_wait_xcnt 0x0
	v_cvt_f32_f64_e32 v2, v[0:1]
	v_mov_b32_e32 v3, 0xff
	s_mov_b32 s7, exec_lo
	s_delay_alu instid0(VALU_DEP_2) | instskip(NEXT) | instid1(VALU_DEP_1)
	v_bfe_u32 v6, v2, 23, 8
	v_cmpx_ne_u32_e32 0xff, v6
	s_cbranch_execz .LBB6_1792
; %bb.1791:
	v_and_b32_e32 v3, 0x400000, v2
	v_and_or_b32 v6, 0x3fffff, v2, v6
	v_lshrrev_b32_e32 v2, 23, v2
	s_delay_alu instid0(VALU_DEP_3) | instskip(NEXT) | instid1(VALU_DEP_3)
	v_cmp_ne_u32_e32 vcc_lo, 0, v3
	v_cmp_ne_u32_e64 s0, 0, v6
	s_and_b32 s0, vcc_lo, s0
	s_delay_alu instid0(SALU_CYCLE_1) | instskip(NEXT) | instid1(VALU_DEP_1)
	v_cndmask_b32_e64 v3, 0, 1, s0
	v_add_nc_u32_e32 v3, v2, v3
.LBB6_1792:
	s_or_b32 exec_lo, exec_lo, s7
	s_mov_b32 s0, 0
	s_mov_b32 s7, -1
	global_store_b8 v[10:11], v3, off
.LBB6_1793:
	s_mov_b32 s8, 0
.LBB6_1794:
	s_delay_alu instid0(SALU_CYCLE_1)
	s_and_b32 vcc_lo, exec_lo, s8
	s_cbranch_vccz .LBB6_1797
; %bb.1795:
	s_cmp_eq_u32 s3, 29
	s_mov_b32 s0, -1
	s_cbranch_scc0 .LBB6_1797
; %bb.1796:
	s_wait_xcnt 0x0
	v_trunc_f64_e32 v[2:3], v[0:1]
	s_mov_b32 s0, 0
	s_mov_b32 s7, -1
	s_delay_alu instid0(VALU_DEP_1) | instskip(NEXT) | instid1(VALU_DEP_1)
	v_ldexp_f64 v[6:7], v[2:3], 0xffffffe0
	v_floor_f64_e32 v[6:7], v[6:7]
	s_delay_alu instid0(VALU_DEP_1) | instskip(SKIP_1) | instid1(VALU_DEP_2)
	v_fmamk_f64 v[2:3], v[6:7], 0xc1f00000, v[2:3]
	v_cvt_u32_f64_e32 v7, v[6:7]
	v_cvt_u32_f64_e32 v6, v[2:3]
	global_store_b64 v[10:11], v[6:7], off
.LBB6_1797:
	s_mov_b32 s8, 0
.LBB6_1798:
	s_delay_alu instid0(SALU_CYCLE_1)
	s_and_b32 vcc_lo, exec_lo, s8
	s_cbranch_vccz .LBB6_1814
; %bb.1799:
	s_cmp_lt_i32 s3, 27
	s_mov_b32 s7, -1
	s_cbranch_scc1 .LBB6_1805
; %bb.1800:
	s_wait_xcnt 0x0
	v_cvt_u32_f64_e32 v2, v[0:1]
	s_cmp_gt_i32 s3, 27
	s_cbranch_scc0 .LBB6_1802
; %bb.1801:
	s_mov_b32 s7, 0
	global_store_b32 v[10:11], v2, off
.LBB6_1802:
	s_and_not1_b32 vcc_lo, exec_lo, s7
	s_cbranch_vccnz .LBB6_1804
; %bb.1803:
	global_store_b16 v[10:11], v2, off
.LBB6_1804:
	s_mov_b32 s7, 0
.LBB6_1805:
	s_delay_alu instid0(SALU_CYCLE_1)
	s_and_not1_b32 vcc_lo, exec_lo, s7
	s_cbranch_vccnz .LBB6_1813
; %bb.1806:
	s_wait_xcnt 0x0
	v_cvt_f32_f64_e32 v2, v[0:1]
	v_mov_b32_e32 v6, 0x80
	s_mov_b32 s7, exec_lo
	s_delay_alu instid0(VALU_DEP_2) | instskip(NEXT) | instid1(VALU_DEP_1)
	v_and_b32_e32 v3, 0x7fffffff, v2
	v_cmpx_gt_u32_e32 0x43800000, v3
	s_cbranch_execz .LBB6_1812
; %bb.1807:
	v_cmp_lt_u32_e32 vcc_lo, 0x3bffffff, v3
	s_mov_b32 s8, 0
                                        ; implicit-def: $vgpr3
	s_and_saveexec_b32 s9, vcc_lo
	s_delay_alu instid0(SALU_CYCLE_1)
	s_xor_b32 s9, exec_lo, s9
	s_cbranch_execz .LBB6_2031
; %bb.1808:
	v_bfe_u32 v3, v2, 20, 1
	s_mov_b32 s8, exec_lo
	s_delay_alu instid0(VALU_DEP_1) | instskip(NEXT) | instid1(VALU_DEP_1)
	v_add3_u32 v3, v2, v3, 0x487ffff
	v_lshrrev_b32_e32 v3, 20, v3
	s_and_not1_saveexec_b32 s9, s9
	s_cbranch_execnz .LBB6_2032
.LBB6_1809:
	s_or_b32 exec_lo, exec_lo, s9
	v_mov_b32_e32 v6, 0
	s_and_saveexec_b32 s9, s8
.LBB6_1810:
	v_lshrrev_b32_e32 v2, 24, v2
	s_delay_alu instid0(VALU_DEP_1)
	v_and_or_b32 v6, 0x80, v2, v3
.LBB6_1811:
	s_or_b32 exec_lo, exec_lo, s9
.LBB6_1812:
	s_delay_alu instid0(SALU_CYCLE_1)
	s_or_b32 exec_lo, exec_lo, s7
	global_store_b8 v[10:11], v6, off
.LBB6_1813:
	s_mov_b32 s7, -1
.LBB6_1814:
	s_mov_b32 s8, 0
.LBB6_1815:
	s_delay_alu instid0(SALU_CYCLE_1)
	s_and_b32 vcc_lo, exec_lo, s8
	s_cbranch_vccz .LBB6_1855
; %bb.1816:
	s_cmp_gt_i32 s3, 22
	s_mov_b32 s6, -1
	s_cbranch_scc0 .LBB6_1848
; %bb.1817:
	s_cmp_lt_i32 s3, 24
	s_cbranch_scc1 .LBB6_1837
; %bb.1818:
	s_cmp_gt_i32 s3, 24
	s_cbranch_scc0 .LBB6_1826
; %bb.1819:
	s_wait_xcnt 0x0
	v_cvt_f32_f64_e32 v2, v[0:1]
	v_mov_b32_e32 v6, 0x80
	s_mov_b32 s6, exec_lo
	s_delay_alu instid0(VALU_DEP_2) | instskip(NEXT) | instid1(VALU_DEP_1)
	v_and_b32_e32 v3, 0x7fffffff, v2
	v_cmpx_gt_u32_e32 0x47800000, v3
	s_cbranch_execz .LBB6_1825
; %bb.1820:
	v_cmp_lt_u32_e32 vcc_lo, 0x37ffffff, v3
	s_mov_b32 s7, 0
                                        ; implicit-def: $vgpr3
	s_and_saveexec_b32 s8, vcc_lo
	s_delay_alu instid0(SALU_CYCLE_1)
	s_xor_b32 s8, exec_lo, s8
	s_cbranch_execz .LBB6_2034
; %bb.1821:
	v_bfe_u32 v3, v2, 21, 1
	s_mov_b32 s7, exec_lo
	s_delay_alu instid0(VALU_DEP_1) | instskip(NEXT) | instid1(VALU_DEP_1)
	v_add3_u32 v3, v2, v3, 0x88fffff
	v_lshrrev_b32_e32 v3, 21, v3
	s_and_not1_saveexec_b32 s8, s8
	s_cbranch_execnz .LBB6_2035
.LBB6_1822:
	s_or_b32 exec_lo, exec_lo, s8
	v_mov_b32_e32 v6, 0
	s_and_saveexec_b32 s8, s7
.LBB6_1823:
	v_lshrrev_b32_e32 v2, 24, v2
	s_delay_alu instid0(VALU_DEP_1)
	v_and_or_b32 v6, 0x80, v2, v3
.LBB6_1824:
	s_or_b32 exec_lo, exec_lo, s8
.LBB6_1825:
	s_delay_alu instid0(SALU_CYCLE_1)
	s_or_b32 exec_lo, exec_lo, s6
	s_mov_b32 s6, 0
	global_store_b8 v[10:11], v6, off
.LBB6_1826:
	s_and_b32 vcc_lo, exec_lo, s6
	s_cbranch_vccz .LBB6_1836
; %bb.1827:
	s_wait_xcnt 0x0
	v_cvt_f32_f64_e32 v2, v[0:1]
	s_mov_b32 s6, exec_lo
                                        ; implicit-def: $vgpr3
	s_delay_alu instid0(VALU_DEP_1) | instskip(NEXT) | instid1(VALU_DEP_1)
	v_and_b32_e32 v6, 0x7fffffff, v2
	v_cmpx_gt_u32_e32 0x43f00000, v6
	s_xor_b32 s6, exec_lo, s6
	s_cbranch_execz .LBB6_1833
; %bb.1828:
	s_mov_b32 s7, exec_lo
                                        ; implicit-def: $vgpr3
	v_cmpx_lt_u32_e32 0x3c7fffff, v6
	s_xor_b32 s7, exec_lo, s7
; %bb.1829:
	v_bfe_u32 v3, v2, 20, 1
	s_delay_alu instid0(VALU_DEP_1) | instskip(NEXT) | instid1(VALU_DEP_1)
	v_add3_u32 v3, v2, v3, 0x407ffff
	v_and_b32_e32 v6, 0xff00000, v3
	v_lshrrev_b32_e32 v3, 20, v3
	s_delay_alu instid0(VALU_DEP_2) | instskip(NEXT) | instid1(VALU_DEP_2)
	v_cmp_ne_u32_e32 vcc_lo, 0x7f00000, v6
	v_cndmask_b32_e32 v3, 0x7e, v3, vcc_lo
; %bb.1830:
	s_and_not1_saveexec_b32 s7, s7
; %bb.1831:
	v_add_f32_e64 v3, 0x46800000, |v2|
; %bb.1832:
	s_or_b32 exec_lo, exec_lo, s7
                                        ; implicit-def: $vgpr6
.LBB6_1833:
	s_and_not1_saveexec_b32 s6, s6
; %bb.1834:
	v_mov_b32_e32 v3, 0x7f
	v_cmp_lt_u32_e32 vcc_lo, 0x7f800000, v6
	s_delay_alu instid0(VALU_DEP_2)
	v_cndmask_b32_e32 v3, 0x7e, v3, vcc_lo
; %bb.1835:
	s_or_b32 exec_lo, exec_lo, s6
	v_lshrrev_b32_e32 v2, 24, v2
	s_delay_alu instid0(VALU_DEP_1)
	v_and_or_b32 v2, 0x80, v2, v3
	global_store_b8 v[10:11], v2, off
.LBB6_1836:
	s_mov_b32 s6, 0
.LBB6_1837:
	s_delay_alu instid0(SALU_CYCLE_1)
	s_and_not1_b32 vcc_lo, exec_lo, s6
	s_cbranch_vccnz .LBB6_1847
; %bb.1838:
	s_wait_xcnt 0x0
	v_cvt_f32_f64_e32 v2, v[0:1]
	s_mov_b32 s6, exec_lo
                                        ; implicit-def: $vgpr3
	s_delay_alu instid0(VALU_DEP_1) | instskip(NEXT) | instid1(VALU_DEP_1)
	v_and_b32_e32 v6, 0x7fffffff, v2
	v_cmpx_gt_u32_e32 0x47800000, v6
	s_xor_b32 s6, exec_lo, s6
	s_cbranch_execz .LBB6_1844
; %bb.1839:
	s_mov_b32 s7, exec_lo
                                        ; implicit-def: $vgpr3
	v_cmpx_lt_u32_e32 0x387fffff, v6
	s_xor_b32 s7, exec_lo, s7
; %bb.1840:
	v_bfe_u32 v3, v2, 21, 1
	s_delay_alu instid0(VALU_DEP_1) | instskip(NEXT) | instid1(VALU_DEP_1)
	v_add3_u32 v3, v2, v3, 0x80fffff
	v_lshrrev_b32_e32 v3, 21, v3
; %bb.1841:
	s_and_not1_saveexec_b32 s7, s7
; %bb.1842:
	v_add_f32_e64 v3, 0x43000000, |v2|
; %bb.1843:
	s_or_b32 exec_lo, exec_lo, s7
                                        ; implicit-def: $vgpr6
.LBB6_1844:
	s_and_not1_saveexec_b32 s6, s6
; %bb.1845:
	v_mov_b32_e32 v3, 0x7f
	v_cmp_lt_u32_e32 vcc_lo, 0x7f800000, v6
	s_delay_alu instid0(VALU_DEP_2)
	v_cndmask_b32_e32 v3, 0x7c, v3, vcc_lo
; %bb.1846:
	s_or_b32 exec_lo, exec_lo, s6
	v_lshrrev_b32_e32 v2, 24, v2
	s_delay_alu instid0(VALU_DEP_1)
	v_and_or_b32 v2, 0x80, v2, v3
	global_store_b8 v[10:11], v2, off
.LBB6_1847:
	s_mov_b32 s6, 0
	s_mov_b32 s7, -1
.LBB6_1848:
	s_and_not1_b32 vcc_lo, exec_lo, s6
	s_mov_b32 s6, 0
	s_cbranch_vccnz .LBB6_1855
; %bb.1849:
	s_cmp_gt_i32 s3, 14
	s_mov_b32 s6, -1
	s_cbranch_scc0 .LBB6_1853
; %bb.1850:
	s_cmp_eq_u32 s3, 15
	s_mov_b32 s0, -1
	s_cbranch_scc0 .LBB6_1852
; %bb.1851:
	s_wait_xcnt 0x0
	v_cvt_f32_f64_e32 v2, v[0:1]
	s_mov_b32 s0, 0
	s_mov_b32 s7, -1
	s_delay_alu instid0(VALU_DEP_1) | instskip(SKIP_1) | instid1(VALU_DEP_2)
	v_bfe_u32 v3, v2, 16, 1
	v_cmp_o_f32_e32 vcc_lo, v2, v2
	v_add3_u32 v3, v2, v3, 0x7fff
	s_delay_alu instid0(VALU_DEP_1) | instskip(NEXT) | instid1(VALU_DEP_1)
	v_lshrrev_b32_e32 v3, 16, v3
	v_cndmask_b32_e32 v2, 0x7fc0, v3, vcc_lo
	global_store_b16 v[10:11], v2, off
.LBB6_1852:
	s_mov_b32 s6, 0
.LBB6_1853:
	s_delay_alu instid0(SALU_CYCLE_1)
	s_and_b32 vcc_lo, exec_lo, s6
	s_mov_b32 s6, 0
	s_cbranch_vccz .LBB6_1855
; %bb.1854:
	s_cmp_lg_u32 s3, 11
	s_mov_b32 s6, -1
	s_cselect_b32 s0, -1, 0
.LBB6_1855:
	s_delay_alu instid0(SALU_CYCLE_1)
	s_and_b32 vcc_lo, exec_lo, s0
	s_cbranch_vccnz .LBB6_2033
; %bb.1856:
	s_and_not1_b32 vcc_lo, exec_lo, s6
	s_cbranch_vccnz .LBB6_1858
.LBB6_1857:
	v_cmp_neq_f64_e32 vcc_lo, 0, v[0:1]
	s_mov_b32 s7, -1
	s_wait_xcnt 0x0
	v_cndmask_b32_e64 v2, 0, 1, vcc_lo
	global_store_b8 v[10:11], v2, off
.LBB6_1858:
.LBB6_1859:
	s_and_not1_b32 vcc_lo, exec_lo, s7
	s_cbranch_vccnz .LBB6_1975
.LBB6_1860:
	v_cmp_nge_f64_e64 s0, v[4:5], -s[10:11]
	v_cmp_nge_f64_e32 vcc_lo, s[10:11], v[4:5]
	s_mov_b32 s3, 0
	s_or_b32 vcc_lo, s0, vcc_lo
	s_wait_xcnt 0x0
	v_add_nc_u32_e32 v0, s2, v8
	s_cmp_lt_i32 s14, 11
	s_mov_b32 s0, -1
	s_delay_alu instid0(VALU_DEP_1) | instskip(NEXT) | instid1(VALU_DEP_1)
	v_ashrrev_i32_e32 v1, 31, v0
	v_add_nc_u64_e32 v[6:7], s[4:5], v[0:1]
	v_dual_cndmask_b32 v1, 0, v5 :: v_dual_cndmask_b32 v0, 0, v4
	s_cbranch_scc1 .LBB6_1976
; %bb.1861:
	s_and_b32 s2, 0xffff, s14
	s_mov_b32 s4, -1
	s_cmp_gt_i32 s2, 25
	s_mov_b32 s0, 0
	s_cbranch_scc0 .LBB6_1894
; %bb.1862:
	s_cmp_gt_i32 s2, 28
	s_cbranch_scc0 .LBB6_1878
; %bb.1863:
	s_cmp_gt_i32 s2, 43
	;; [unrolled: 3-line block ×3, first 2 shown]
	s_cbranch_scc0 .LBB6_1868
; %bb.1865:
	s_cmp_eq_u32 s2, 46
	s_mov_b32 s0, -1
	s_cbranch_scc0 .LBB6_1867
; %bb.1866:
	v_cvt_f32_f64_e32 v2, v[0:1]
	s_mov_b32 s0, 0
	s_delay_alu instid0(VALU_DEP_1) | instskip(SKIP_1) | instid1(VALU_DEP_2)
	v_bfe_u32 v3, v2, 16, 1
	v_cmp_o_f32_e32 vcc_lo, v2, v2
	v_add3_u32 v3, v2, v3, 0x7fff
	s_delay_alu instid0(VALU_DEP_1) | instskip(NEXT) | instid1(VALU_DEP_1)
	v_lshrrev_b32_e32 v3, 16, v3
	v_cndmask_b32_e32 v2, 0x7fc0, v3, vcc_lo
	global_store_b32 v[6:7], v2, off
.LBB6_1867:
	s_mov_b32 s4, 0
.LBB6_1868:
	s_delay_alu instid0(SALU_CYCLE_1)
	s_and_b32 vcc_lo, exec_lo, s4
	s_cbranch_vccz .LBB6_1873
; %bb.1869:
	s_cmp_eq_u32 s2, 44
	s_mov_b32 s0, -1
	s_cbranch_scc0 .LBB6_1873
; %bb.1870:
	s_wait_xcnt 0x0
	v_cvt_f32_f64_e32 v2, v[0:1]
	v_mov_b32_e32 v3, 0xff
	s_mov_b32 s4, exec_lo
	s_delay_alu instid0(VALU_DEP_2) | instskip(NEXT) | instid1(VALU_DEP_1)
	v_bfe_u32 v4, v2, 23, 8
	v_cmpx_ne_u32_e32 0xff, v4
	s_cbranch_execz .LBB6_1872
; %bb.1871:
	v_and_b32_e32 v3, 0x400000, v2
	v_and_or_b32 v4, 0x3fffff, v2, v4
	v_lshrrev_b32_e32 v2, 23, v2
	s_delay_alu instid0(VALU_DEP_3) | instskip(NEXT) | instid1(VALU_DEP_3)
	v_cmp_ne_u32_e32 vcc_lo, 0, v3
	v_cmp_ne_u32_e64 s0, 0, v4
	s_and_b32 s0, vcc_lo, s0
	s_delay_alu instid0(SALU_CYCLE_1) | instskip(NEXT) | instid1(VALU_DEP_1)
	v_cndmask_b32_e64 v3, 0, 1, s0
	v_add_nc_u32_e32 v3, v2, v3
.LBB6_1872:
	s_or_b32 exec_lo, exec_lo, s4
	s_mov_b32 s0, 0
	global_store_b8 v[6:7], v3, off
.LBB6_1873:
	s_mov_b32 s4, 0
.LBB6_1874:
	s_delay_alu instid0(SALU_CYCLE_1)
	s_and_b32 vcc_lo, exec_lo, s4
	s_cbranch_vccz .LBB6_1877
; %bb.1875:
	s_cmp_eq_u32 s2, 29
	s_mov_b32 s0, -1
	s_cbranch_scc0 .LBB6_1877
; %bb.1876:
	s_wait_xcnt 0x0
	v_trunc_f64_e32 v[2:3], v[0:1]
	s_mov_b32 s0, 0
	s_delay_alu instid0(VALU_DEP_1) | instskip(NEXT) | instid1(VALU_DEP_1)
	v_ldexp_f64 v[4:5], v[2:3], 0xffffffe0
	v_floor_f64_e32 v[4:5], v[4:5]
	s_delay_alu instid0(VALU_DEP_1) | instskip(SKIP_1) | instid1(VALU_DEP_2)
	v_fmamk_f64 v[2:3], v[4:5], 0xc1f00000, v[2:3]
	v_cvt_u32_f64_e32 v5, v[4:5]
	v_cvt_u32_f64_e32 v4, v[2:3]
	global_store_b64 v[6:7], v[4:5], off
.LBB6_1877:
	s_mov_b32 s4, 0
.LBB6_1878:
	s_delay_alu instid0(SALU_CYCLE_1)
	s_and_b32 vcc_lo, exec_lo, s4
	s_cbranch_vccz .LBB6_1893
; %bb.1879:
	s_cmp_lt_i32 s2, 27
	s_mov_b32 s4, -1
	s_cbranch_scc1 .LBB6_1885
; %bb.1880:
	s_wait_xcnt 0x0
	v_cvt_u32_f64_e32 v2, v[0:1]
	s_cmp_gt_i32 s2, 27
	s_cbranch_scc0 .LBB6_1882
; %bb.1881:
	s_mov_b32 s4, 0
	global_store_b32 v[6:7], v2, off
.LBB6_1882:
	s_and_not1_b32 vcc_lo, exec_lo, s4
	s_cbranch_vccnz .LBB6_1884
; %bb.1883:
	global_store_b16 v[6:7], v2, off
.LBB6_1884:
	s_mov_b32 s4, 0
.LBB6_1885:
	s_delay_alu instid0(SALU_CYCLE_1)
	s_and_not1_b32 vcc_lo, exec_lo, s4
	s_cbranch_vccnz .LBB6_1893
; %bb.1886:
	s_wait_xcnt 0x0
	v_cvt_f32_f64_e32 v2, v[0:1]
	v_mov_b32_e32 v4, 0x80
	s_mov_b32 s4, exec_lo
	s_delay_alu instid0(VALU_DEP_2) | instskip(NEXT) | instid1(VALU_DEP_1)
	v_and_b32_e32 v3, 0x7fffffff, v2
	v_cmpx_gt_u32_e32 0x43800000, v3
	s_cbranch_execz .LBB6_1892
; %bb.1887:
	v_cmp_lt_u32_e32 vcc_lo, 0x3bffffff, v3
	s_mov_b32 s5, 0
                                        ; implicit-def: $vgpr3
	s_and_saveexec_b32 s6, vcc_lo
	s_delay_alu instid0(SALU_CYCLE_1)
	s_xor_b32 s6, exec_lo, s6
	s_cbranch_execz .LBB6_2036
; %bb.1888:
	v_bfe_u32 v3, v2, 20, 1
	s_mov_b32 s5, exec_lo
	s_delay_alu instid0(VALU_DEP_1) | instskip(NEXT) | instid1(VALU_DEP_1)
	v_add3_u32 v3, v2, v3, 0x487ffff
	v_lshrrev_b32_e32 v3, 20, v3
	s_and_not1_saveexec_b32 s6, s6
	s_cbranch_execnz .LBB6_2037
.LBB6_1889:
	s_or_b32 exec_lo, exec_lo, s6
	v_mov_b32_e32 v4, 0
	s_and_saveexec_b32 s6, s5
.LBB6_1890:
	v_lshrrev_b32_e32 v2, 24, v2
	s_delay_alu instid0(VALU_DEP_1)
	v_and_or_b32 v4, 0x80, v2, v3
.LBB6_1891:
	s_or_b32 exec_lo, exec_lo, s6
.LBB6_1892:
	s_delay_alu instid0(SALU_CYCLE_1)
	s_or_b32 exec_lo, exec_lo, s4
	global_store_b8 v[6:7], v4, off
.LBB6_1893:
	s_mov_b32 s4, 0
.LBB6_1894:
	s_delay_alu instid0(SALU_CYCLE_1)
	s_and_b32 vcc_lo, exec_lo, s4
	s_cbranch_vccz .LBB6_1934
; %bb.1895:
	s_cmp_gt_i32 s2, 22
	s_mov_b32 s3, -1
	s_cbranch_scc0 .LBB6_1927
; %bb.1896:
	s_cmp_lt_i32 s2, 24
	s_cbranch_scc1 .LBB6_1916
; %bb.1897:
	s_cmp_gt_i32 s2, 24
	s_cbranch_scc0 .LBB6_1905
; %bb.1898:
	s_wait_xcnt 0x0
	v_cvt_f32_f64_e32 v2, v[0:1]
	v_mov_b32_e32 v4, 0x80
	s_mov_b32 s3, exec_lo
	s_delay_alu instid0(VALU_DEP_2) | instskip(NEXT) | instid1(VALU_DEP_1)
	v_and_b32_e32 v3, 0x7fffffff, v2
	v_cmpx_gt_u32_e32 0x47800000, v3
	s_cbranch_execz .LBB6_1904
; %bb.1899:
	v_cmp_lt_u32_e32 vcc_lo, 0x37ffffff, v3
	s_mov_b32 s4, 0
                                        ; implicit-def: $vgpr3
	s_and_saveexec_b32 s5, vcc_lo
	s_delay_alu instid0(SALU_CYCLE_1)
	s_xor_b32 s5, exec_lo, s5
	s_cbranch_execz .LBB6_2039
; %bb.1900:
	v_bfe_u32 v3, v2, 21, 1
	s_mov_b32 s4, exec_lo
	s_delay_alu instid0(VALU_DEP_1) | instskip(NEXT) | instid1(VALU_DEP_1)
	v_add3_u32 v3, v2, v3, 0x88fffff
	v_lshrrev_b32_e32 v3, 21, v3
	s_and_not1_saveexec_b32 s5, s5
	s_cbranch_execnz .LBB6_2040
.LBB6_1901:
	s_or_b32 exec_lo, exec_lo, s5
	v_mov_b32_e32 v4, 0
	s_and_saveexec_b32 s5, s4
.LBB6_1902:
	v_lshrrev_b32_e32 v2, 24, v2
	s_delay_alu instid0(VALU_DEP_1)
	v_and_or_b32 v4, 0x80, v2, v3
.LBB6_1903:
	s_or_b32 exec_lo, exec_lo, s5
.LBB6_1904:
	s_delay_alu instid0(SALU_CYCLE_1)
	s_or_b32 exec_lo, exec_lo, s3
	s_mov_b32 s3, 0
	global_store_b8 v[6:7], v4, off
.LBB6_1905:
	s_and_b32 vcc_lo, exec_lo, s3
	s_cbranch_vccz .LBB6_1915
; %bb.1906:
	s_wait_xcnt 0x0
	v_cvt_f32_f64_e32 v2, v[0:1]
	s_mov_b32 s3, exec_lo
                                        ; implicit-def: $vgpr3
	s_delay_alu instid0(VALU_DEP_1) | instskip(NEXT) | instid1(VALU_DEP_1)
	v_and_b32_e32 v4, 0x7fffffff, v2
	v_cmpx_gt_u32_e32 0x43f00000, v4
	s_xor_b32 s3, exec_lo, s3
	s_cbranch_execz .LBB6_1912
; %bb.1907:
	s_mov_b32 s4, exec_lo
                                        ; implicit-def: $vgpr3
	v_cmpx_lt_u32_e32 0x3c7fffff, v4
	s_xor_b32 s4, exec_lo, s4
; %bb.1908:
	v_bfe_u32 v3, v2, 20, 1
	s_delay_alu instid0(VALU_DEP_1) | instskip(NEXT) | instid1(VALU_DEP_1)
	v_add3_u32 v3, v2, v3, 0x407ffff
	v_and_b32_e32 v4, 0xff00000, v3
	v_lshrrev_b32_e32 v3, 20, v3
	s_delay_alu instid0(VALU_DEP_2) | instskip(NEXT) | instid1(VALU_DEP_2)
	v_cmp_ne_u32_e32 vcc_lo, 0x7f00000, v4
	v_cndmask_b32_e32 v3, 0x7e, v3, vcc_lo
; %bb.1909:
	s_and_not1_saveexec_b32 s4, s4
; %bb.1910:
	v_add_f32_e64 v3, 0x46800000, |v2|
; %bb.1911:
	s_or_b32 exec_lo, exec_lo, s4
                                        ; implicit-def: $vgpr4
.LBB6_1912:
	s_and_not1_saveexec_b32 s3, s3
; %bb.1913:
	v_mov_b32_e32 v3, 0x7f
	v_cmp_lt_u32_e32 vcc_lo, 0x7f800000, v4
	s_delay_alu instid0(VALU_DEP_2)
	v_cndmask_b32_e32 v3, 0x7e, v3, vcc_lo
; %bb.1914:
	s_or_b32 exec_lo, exec_lo, s3
	v_lshrrev_b32_e32 v2, 24, v2
	s_delay_alu instid0(VALU_DEP_1)
	v_and_or_b32 v2, 0x80, v2, v3
	global_store_b8 v[6:7], v2, off
.LBB6_1915:
	s_mov_b32 s3, 0
.LBB6_1916:
	s_delay_alu instid0(SALU_CYCLE_1)
	s_and_not1_b32 vcc_lo, exec_lo, s3
	s_cbranch_vccnz .LBB6_1926
; %bb.1917:
	s_wait_xcnt 0x0
	v_cvt_f32_f64_e32 v2, v[0:1]
	s_mov_b32 s3, exec_lo
                                        ; implicit-def: $vgpr3
	s_delay_alu instid0(VALU_DEP_1) | instskip(NEXT) | instid1(VALU_DEP_1)
	v_and_b32_e32 v4, 0x7fffffff, v2
	v_cmpx_gt_u32_e32 0x47800000, v4
	s_xor_b32 s3, exec_lo, s3
	s_cbranch_execz .LBB6_1923
; %bb.1918:
	s_mov_b32 s4, exec_lo
                                        ; implicit-def: $vgpr3
	v_cmpx_lt_u32_e32 0x387fffff, v4
	s_xor_b32 s4, exec_lo, s4
; %bb.1919:
	v_bfe_u32 v3, v2, 21, 1
	s_delay_alu instid0(VALU_DEP_1) | instskip(NEXT) | instid1(VALU_DEP_1)
	v_add3_u32 v3, v2, v3, 0x80fffff
	v_lshrrev_b32_e32 v3, 21, v3
; %bb.1920:
	s_and_not1_saveexec_b32 s4, s4
; %bb.1921:
	v_add_f32_e64 v3, 0x43000000, |v2|
; %bb.1922:
	s_or_b32 exec_lo, exec_lo, s4
                                        ; implicit-def: $vgpr4
.LBB6_1923:
	s_and_not1_saveexec_b32 s3, s3
; %bb.1924:
	v_mov_b32_e32 v3, 0x7f
	v_cmp_lt_u32_e32 vcc_lo, 0x7f800000, v4
	s_delay_alu instid0(VALU_DEP_2)
	v_cndmask_b32_e32 v3, 0x7c, v3, vcc_lo
; %bb.1925:
	s_or_b32 exec_lo, exec_lo, s3
	v_lshrrev_b32_e32 v2, 24, v2
	s_delay_alu instid0(VALU_DEP_1)
	v_and_or_b32 v2, 0x80, v2, v3
	global_store_b8 v[6:7], v2, off
.LBB6_1926:
	s_mov_b32 s3, 0
.LBB6_1927:
	s_delay_alu instid0(SALU_CYCLE_1)
	s_and_not1_b32 vcc_lo, exec_lo, s3
	s_mov_b32 s3, 0
	s_cbranch_vccnz .LBB6_1934
; %bb.1928:
	s_cmp_gt_i32 s2, 14
	s_mov_b32 s3, -1
	s_cbranch_scc0 .LBB6_1932
; %bb.1929:
	s_cmp_eq_u32 s2, 15
	s_mov_b32 s0, -1
	s_cbranch_scc0 .LBB6_1931
; %bb.1930:
	s_wait_xcnt 0x0
	v_cvt_f32_f64_e32 v2, v[0:1]
	s_mov_b32 s0, 0
	s_delay_alu instid0(VALU_DEP_1) | instskip(SKIP_1) | instid1(VALU_DEP_2)
	v_bfe_u32 v3, v2, 16, 1
	v_cmp_o_f32_e32 vcc_lo, v2, v2
	v_add3_u32 v3, v2, v3, 0x7fff
	s_delay_alu instid0(VALU_DEP_1) | instskip(NEXT) | instid1(VALU_DEP_1)
	v_lshrrev_b32_e32 v3, 16, v3
	v_cndmask_b32_e32 v2, 0x7fc0, v3, vcc_lo
	global_store_b16 v[6:7], v2, off
.LBB6_1931:
	s_mov_b32 s3, 0
.LBB6_1932:
	s_delay_alu instid0(SALU_CYCLE_1)
	s_and_b32 vcc_lo, exec_lo, s3
	s_mov_b32 s3, 0
	s_cbranch_vccz .LBB6_1934
; %bb.1933:
	s_cmp_lg_u32 s2, 11
	s_mov_b32 s3, -1
	s_cselect_b32 s0, -1, 0
.LBB6_1934:
	s_delay_alu instid0(SALU_CYCLE_1)
	s_and_b32 vcc_lo, exec_lo, s0
	s_cbranch_vccnz .LBB6_2038
.LBB6_1935:
	s_mov_b32 s0, 0
	s_branch .LBB6_1976
.LBB6_1936:
	s_and_b32 vcc_lo, exec_lo, s0
	s_cbranch_vccz .LBB6_1859
; %bb.1937:
	s_and_b32 s0, 0xffff, s14
	s_mov_b32 s3, -1
	s_cmp_lt_i32 s0, 5
	s_cbranch_scc1 .LBB6_1958
; %bb.1938:
	s_cmp_lt_i32 s0, 8
	s_cbranch_scc1 .LBB6_1948
; %bb.1939:
	;; [unrolled: 3-line block ×3, first 2 shown]
	s_cmp_gt_i32 s0, 9
	s_cbranch_scc0 .LBB6_1942
; %bb.1941:
	s_wait_xcnt 0x0
	v_mov_b32_e32 v2, 0
	s_mov_b32 s3, 0
	s_delay_alu instid0(VALU_DEP_1)
	v_mov_b32_e32 v3, v2
	global_store_b128 v[10:11], v[0:3], off
.LBB6_1942:
	s_and_not1_b32 vcc_lo, exec_lo, s3
	s_cbranch_vccnz .LBB6_1944
; %bb.1943:
	s_wait_xcnt 0x0
	v_cvt_f32_f64_e32 v2, v[0:1]
	v_mov_b32_e32 v3, 0
	global_store_b64 v[10:11], v[2:3], off
.LBB6_1944:
	s_mov_b32 s3, 0
.LBB6_1945:
	s_delay_alu instid0(SALU_CYCLE_1)
	s_and_not1_b32 vcc_lo, exec_lo, s3
	s_cbranch_vccnz .LBB6_1947
; %bb.1946:
	s_wait_xcnt 0x0
	v_and_or_b32 v2, 0x1ff, v1, v0
	v_lshrrev_b32_e32 v3, 8, v1
	v_bfe_u32 v6, v1, 20, 11
	s_delay_alu instid0(VALU_DEP_3) | instskip(NEXT) | instid1(VALU_DEP_2)
	v_cmp_ne_u32_e32 vcc_lo, 0, v2
	v_sub_nc_u32_e32 v7, 0x3f1, v6
	v_cndmask_b32_e64 v2, 0, 1, vcc_lo
	s_delay_alu instid0(VALU_DEP_1) | instskip(NEXT) | instid1(VALU_DEP_3)
	v_and_or_b32 v2, 0xffe, v3, v2
	v_med3_i32 v3, v7, 0, 13
	s_delay_alu instid0(VALU_DEP_2) | instskip(NEXT) | instid1(VALU_DEP_1)
	v_or_b32_e32 v7, 0x1000, v2
	v_lshrrev_b32_e32 v9, v3, v7
	s_delay_alu instid0(VALU_DEP_1) | instskip(NEXT) | instid1(VALU_DEP_1)
	v_lshlrev_b32_e32 v3, v3, v9
	v_cmp_ne_u32_e32 vcc_lo, v3, v7
	v_cndmask_b32_e64 v3, 0, 1, vcc_lo
	s_delay_alu instid0(VALU_DEP_1) | instskip(SKIP_1) | instid1(VALU_DEP_1)
	v_or_b32_e32 v3, v9, v3
	v_add_nc_u32_e32 v6, 0xfffffc10, v6
	v_lshl_or_b32 v7, v6, 12, v2
	v_cmp_gt_i32_e32 vcc_lo, 1, v6
	s_delay_alu instid0(VALU_DEP_2) | instskip(NEXT) | instid1(VALU_DEP_1)
	v_cndmask_b32_e32 v3, v7, v3, vcc_lo
	v_dual_lshrrev_b32 v3, 2, v3 :: v_dual_bitop2_b32 v7, 7, v3 bitop3:0x40
	s_delay_alu instid0(VALU_DEP_1) | instskip(SKIP_4) | instid1(VALU_DEP_2)
	v_cmp_lt_i32_e32 vcc_lo, 5, v7
	v_cndmask_b32_e64 v9, 0, 1, vcc_lo
	v_cmp_eq_u32_e32 vcc_lo, 3, v7
	v_cndmask_b32_e64 v7, 0, 1, vcc_lo
	v_cmp_ne_u32_e32 vcc_lo, 0, v2
	v_or_b32_e32 v7, v7, v9
	v_mov_b32_e32 v9, 0x7e00
	s_delay_alu instid0(VALU_DEP_1) | instskip(SKIP_2) | instid1(VALU_DEP_3)
	v_dual_cndmask_b32 v2, 0x7c00, v9 :: v_dual_add_nc_u32 v3, v3, v7
	v_cmp_gt_i32_e32 vcc_lo, 31, v6
	v_lshrrev_b32_e32 v7, 16, v1
	v_cndmask_b32_e32 v3, 0x7c00, v3, vcc_lo
	v_cmp_eq_u32_e32 vcc_lo, 0x40f, v6
	s_delay_alu instid0(VALU_DEP_2) | instskip(NEXT) | instid1(VALU_DEP_4)
	v_cndmask_b32_e32 v2, v3, v2, vcc_lo
	v_and_b32_e32 v3, 0x8000, v7
	s_delay_alu instid0(VALU_DEP_1)
	v_bitop3_b32 v2, v3, 0xffff, v2 bitop3:0xc8
	global_store_b32 v[10:11], v2, off
.LBB6_1947:
	s_mov_b32 s3, 0
.LBB6_1948:
	s_delay_alu instid0(SALU_CYCLE_1)
	s_and_not1_b32 vcc_lo, exec_lo, s3
	s_cbranch_vccnz .LBB6_1957
; %bb.1949:
	s_cmp_lt_i32 s0, 6
	s_mov_b32 s3, -1
	s_cbranch_scc1 .LBB6_1955
; %bb.1950:
	s_cmp_gt_i32 s0, 6
	s_cbranch_scc0 .LBB6_1952
; %bb.1951:
	s_mov_b32 s3, 0
	global_store_b64 v[10:11], v[0:1], off
.LBB6_1952:
	s_and_not1_b32 vcc_lo, exec_lo, s3
	s_cbranch_vccnz .LBB6_1954
; %bb.1953:
	s_wait_xcnt 0x0
	v_cvt_f32_f64_e32 v2, v[0:1]
	global_store_b32 v[10:11], v2, off
.LBB6_1954:
	s_mov_b32 s3, 0
.LBB6_1955:
	s_delay_alu instid0(SALU_CYCLE_1)
	s_and_not1_b32 vcc_lo, exec_lo, s3
	s_cbranch_vccnz .LBB6_1957
; %bb.1956:
	s_wait_xcnt 0x0
	v_and_or_b32 v2, 0x1ff, v1, v0
	v_lshrrev_b32_e32 v3, 8, v1
	v_bfe_u32 v6, v1, 20, 11
	s_delay_alu instid0(VALU_DEP_3) | instskip(NEXT) | instid1(VALU_DEP_2)
	v_cmp_ne_u32_e32 vcc_lo, 0, v2
	v_sub_nc_u32_e32 v7, 0x3f1, v6
	v_cndmask_b32_e64 v2, 0, 1, vcc_lo
	s_delay_alu instid0(VALU_DEP_1) | instskip(NEXT) | instid1(VALU_DEP_3)
	v_and_or_b32 v2, 0xffe, v3, v2
	v_med3_i32 v3, v7, 0, 13
	s_delay_alu instid0(VALU_DEP_2) | instskip(NEXT) | instid1(VALU_DEP_1)
	v_or_b32_e32 v7, 0x1000, v2
	v_lshrrev_b32_e32 v9, v3, v7
	s_delay_alu instid0(VALU_DEP_1) | instskip(NEXT) | instid1(VALU_DEP_1)
	v_lshlrev_b32_e32 v3, v3, v9
	v_cmp_ne_u32_e32 vcc_lo, v3, v7
	v_cndmask_b32_e64 v3, 0, 1, vcc_lo
	s_delay_alu instid0(VALU_DEP_1) | instskip(SKIP_1) | instid1(VALU_DEP_1)
	v_or_b32_e32 v3, v9, v3
	v_add_nc_u32_e32 v6, 0xfffffc10, v6
	v_lshl_or_b32 v7, v6, 12, v2
	v_cmp_gt_i32_e32 vcc_lo, 1, v6
	s_delay_alu instid0(VALU_DEP_2) | instskip(NEXT) | instid1(VALU_DEP_1)
	v_cndmask_b32_e32 v3, v7, v3, vcc_lo
	v_dual_lshrrev_b32 v3, 2, v3 :: v_dual_bitop2_b32 v7, 7, v3 bitop3:0x40
	s_delay_alu instid0(VALU_DEP_1) | instskip(SKIP_4) | instid1(VALU_DEP_2)
	v_cmp_lt_i32_e32 vcc_lo, 5, v7
	v_cndmask_b32_e64 v9, 0, 1, vcc_lo
	v_cmp_eq_u32_e32 vcc_lo, 3, v7
	v_cndmask_b32_e64 v7, 0, 1, vcc_lo
	v_cmp_ne_u32_e32 vcc_lo, 0, v2
	v_or_b32_e32 v7, v7, v9
	v_mov_b32_e32 v9, 0x7e00
	s_delay_alu instid0(VALU_DEP_1) | instskip(SKIP_1) | instid1(VALU_DEP_2)
	v_dual_cndmask_b32 v2, 0x7c00, v9 :: v_dual_add_nc_u32 v3, v3, v7
	v_cmp_gt_i32_e32 vcc_lo, 31, v6
	v_cndmask_b32_e32 v3, 0x7c00, v3, vcc_lo
	v_cmp_eq_u32_e32 vcc_lo, 0x40f, v6
	s_delay_alu instid0(VALU_DEP_2) | instskip(NEXT) | instid1(VALU_DEP_1)
	v_dual_cndmask_b32 v2, v3, v2 :: v_dual_lshrrev_b32 v3, 16, v1
	v_and_or_b32 v2, 0x8000, v3, v2
	global_store_b16 v[10:11], v2, off
.LBB6_1957:
	s_mov_b32 s3, 0
.LBB6_1958:
	s_delay_alu instid0(SALU_CYCLE_1)
	s_and_not1_b32 vcc_lo, exec_lo, s3
	s_cbranch_vccnz .LBB6_1974
; %bb.1959:
	s_cmp_lt_i32 s0, 2
	s_mov_b32 s3, -1
	s_cbranch_scc1 .LBB6_1969
; %bb.1960:
	s_cmp_lt_i32 s0, 3
	s_cbranch_scc1 .LBB6_1966
; %bb.1961:
	s_cmp_gt_i32 s0, 3
	s_cbranch_scc0 .LBB6_1963
; %bb.1962:
	s_wait_xcnt 0x0
	v_trunc_f64_e32 v[2:3], v[0:1]
	s_mov_b32 s3, 0
	s_delay_alu instid0(VALU_DEP_1) | instskip(NEXT) | instid1(VALU_DEP_1)
	v_ldexp_f64 v[6:7], v[2:3], 0xffffffe0
	v_floor_f64_e32 v[6:7], v[6:7]
	s_delay_alu instid0(VALU_DEP_1) | instskip(SKIP_1) | instid1(VALU_DEP_2)
	v_fmamk_f64 v[2:3], v[6:7], 0xc1f00000, v[2:3]
	v_cvt_i32_f64_e32 v7, v[6:7]
	v_cvt_u32_f64_e32 v6, v[2:3]
	global_store_b64 v[10:11], v[6:7], off
.LBB6_1963:
	s_and_not1_b32 vcc_lo, exec_lo, s3
	s_cbranch_vccnz .LBB6_1965
; %bb.1964:
	s_wait_xcnt 0x0
	v_cvt_i32_f64_e32 v2, v[0:1]
	global_store_b32 v[10:11], v2, off
.LBB6_1965:
	s_mov_b32 s3, 0
.LBB6_1966:
	s_delay_alu instid0(SALU_CYCLE_1)
	s_and_not1_b32 vcc_lo, exec_lo, s3
	s_cbranch_vccnz .LBB6_1968
; %bb.1967:
	s_wait_xcnt 0x0
	v_cvt_i32_f64_e32 v2, v[0:1]
	global_store_b16 v[10:11], v2, off
.LBB6_1968:
	s_mov_b32 s3, 0
.LBB6_1969:
	s_delay_alu instid0(SALU_CYCLE_1)
	s_and_not1_b32 vcc_lo, exec_lo, s3
	s_cbranch_vccnz .LBB6_1974
; %bb.1970:
	s_cmp_gt_i32 s0, 0
	s_mov_b32 s0, -1
	s_cbranch_scc0 .LBB6_1972
; %bb.1971:
	s_wait_xcnt 0x0
	v_cvt_i32_f64_e32 v2, v[0:1]
	s_mov_b32 s0, 0
	global_store_b8 v[10:11], v2, off
.LBB6_1972:
	s_and_not1_b32 vcc_lo, exec_lo, s0
	s_cbranch_vccnz .LBB6_1974
; %bb.1973:
	s_wait_xcnt 0x0
	v_trunc_f64_e32 v[0:1], v[0:1]
	s_delay_alu instid0(VALU_DEP_1) | instskip(NEXT) | instid1(VALU_DEP_1)
	v_ldexp_f64 v[2:3], v[0:1], 0xffffffe0
	v_floor_f64_e32 v[2:3], v[2:3]
	s_delay_alu instid0(VALU_DEP_1) | instskip(NEXT) | instid1(VALU_DEP_1)
	v_fmamk_f64 v[0:1], v[2:3], 0xc1f00000, v[0:1]
	v_cvt_u32_f64_e32 v0, v[0:1]
	global_store_b8 v[10:11], v0, off
.LBB6_1974:
	s_branch .LBB6_1860
.LBB6_1975:
	s_mov_b32 s0, 0
	s_mov_b32 s3, 0
                                        ; implicit-def: $sgpr14
                                        ; implicit-def: $vgpr6_vgpr7
                                        ; implicit-def: $vgpr0_vgpr1
.LBB6_1976:
	s_and_not1_b32 s2, s13, exec_lo
	s_and_b32 s4, s1, exec_lo
	s_and_b32 s0, s0, exec_lo
	;; [unrolled: 1-line block ×3, first 2 shown]
	s_or_b32 s13, s2, s4
.LBB6_1977:
	s_wait_xcnt 0x0
	s_or_b32 exec_lo, exec_lo, s12
	s_and_saveexec_b32 s2, s13
	s_cbranch_execz .LBB6_1980
; %bb.1978:
	; divergent unreachable
	s_or_b32 exec_lo, exec_lo, s2
	s_and_saveexec_b32 s2, s1
	s_delay_alu instid0(SALU_CYCLE_1)
	s_xor_b32 s1, exec_lo, s2
	s_cbranch_execnz .LBB6_1981
.LBB6_1979:
	s_or_b32 exec_lo, exec_lo, s1
	s_and_saveexec_b32 s1, s0
	s_cbranch_execnz .LBB6_1982
	s_branch .LBB6_2019
.LBB6_1980:
	s_or_b32 exec_lo, exec_lo, s2
	s_and_saveexec_b32 s2, s1
	s_delay_alu instid0(SALU_CYCLE_1)
	s_xor_b32 s1, exec_lo, s2
	s_cbranch_execz .LBB6_1979
.LBB6_1981:
	s_wait_loadcnt 0x0
	s_delay_alu instid0(VALU_DEP_1)
	v_cmp_neq_f64_e32 vcc_lo, 0, v[0:1]
	v_cndmask_b32_e64 v2, 0, 1, vcc_lo
	global_store_b8 v[6:7], v2, off
	s_wait_xcnt 0x0
	s_or_b32 exec_lo, exec_lo, s1
	s_and_saveexec_b32 s1, s0
	s_cbranch_execz .LBB6_2019
.LBB6_1982:
	s_sext_i32_i16 s1, s14
	s_mov_b32 s0, -1
	s_cmp_lt_i32 s1, 5
	s_cbranch_scc1 .LBB6_2003
; %bb.1983:
	s_cmp_lt_i32 s1, 8
	s_cbranch_scc1 .LBB6_1993
; %bb.1984:
	;; [unrolled: 3-line block ×3, first 2 shown]
	s_cmp_gt_i32 s1, 9
	s_cbranch_scc0 .LBB6_1987
; %bb.1986:
	s_wait_loadcnt 0x0
	v_mov_b32_e32 v2, 0
	s_mov_b32 s0, 0
	s_delay_alu instid0(VALU_DEP_1)
	v_mov_b32_e32 v3, v2
	global_store_b128 v[6:7], v[0:3], off
.LBB6_1987:
	s_and_not1_b32 vcc_lo, exec_lo, s0
	s_cbranch_vccnz .LBB6_1989
; %bb.1988:
	s_wait_loadcnt 0x0
	v_cvt_f32_f64_e32 v2, v[0:1]
	v_mov_b32_e32 v3, 0
	global_store_b64 v[6:7], v[2:3], off
.LBB6_1989:
	s_mov_b32 s0, 0
.LBB6_1990:
	s_delay_alu instid0(SALU_CYCLE_1)
	s_and_not1_b32 vcc_lo, exec_lo, s0
	s_cbranch_vccnz .LBB6_1992
; %bb.1991:
	s_wait_loadcnt 0x0
	v_and_or_b32 v2, 0x1ff, v1, v0
	v_lshrrev_b32_e32 v3, 8, v1
	v_bfe_u32 v4, v1, 20, 11
	s_delay_alu instid0(VALU_DEP_3) | instskip(NEXT) | instid1(VALU_DEP_2)
	v_cmp_ne_u32_e32 vcc_lo, 0, v2
	v_sub_nc_u32_e32 v5, 0x3f1, v4
	v_add_nc_u32_e32 v4, 0xfffffc10, v4
	v_cndmask_b32_e64 v2, 0, 1, vcc_lo
	s_delay_alu instid0(VALU_DEP_1) | instskip(NEXT) | instid1(VALU_DEP_4)
	v_and_or_b32 v2, 0xffe, v3, v2
	v_med3_i32 v3, v5, 0, 13
	s_delay_alu instid0(VALU_DEP_2) | instskip(NEXT) | instid1(VALU_DEP_1)
	v_or_b32_e32 v5, 0x1000, v2
	v_lshrrev_b32_e32 v8, v3, v5
	s_delay_alu instid0(VALU_DEP_1) | instskip(NEXT) | instid1(VALU_DEP_1)
	v_lshlrev_b32_e32 v3, v3, v8
	v_cmp_ne_u32_e32 vcc_lo, v3, v5
	v_lshl_or_b32 v5, v4, 12, v2
	v_cndmask_b32_e64 v3, 0, 1, vcc_lo
	v_cmp_gt_i32_e32 vcc_lo, 1, v4
	s_delay_alu instid0(VALU_DEP_2) | instskip(NEXT) | instid1(VALU_DEP_1)
	v_or_b32_e32 v3, v8, v3
	v_cndmask_b32_e32 v3, v5, v3, vcc_lo
	s_delay_alu instid0(VALU_DEP_1) | instskip(NEXT) | instid1(VALU_DEP_1)
	v_dual_lshrrev_b32 v3, 2, v3 :: v_dual_bitop2_b32 v5, 7, v3 bitop3:0x40
	v_cmp_lt_i32_e32 vcc_lo, 5, v5
	v_cndmask_b32_e64 v8, 0, 1, vcc_lo
	v_cmp_eq_u32_e32 vcc_lo, 3, v5
	v_cndmask_b32_e64 v5, 0, 1, vcc_lo
	v_cmp_ne_u32_e32 vcc_lo, 0, v2
	s_delay_alu instid0(VALU_DEP_2) | instskip(NEXT) | instid1(VALU_DEP_1)
	v_or_b32_e32 v5, v5, v8
	v_dual_mov_b32 v8, 0x7e00 :: v_dual_add_nc_u32 v3, v3, v5
	s_delay_alu instid0(VALU_DEP_1) | instskip(SKIP_2) | instid1(VALU_DEP_4)
	v_cndmask_b32_e32 v2, 0x7c00, v8, vcc_lo
	v_cmp_gt_i32_e32 vcc_lo, 31, v4
	v_lshrrev_b32_e32 v5, 16, v1
	v_cndmask_b32_e32 v3, 0x7c00, v3, vcc_lo
	v_cmp_eq_u32_e32 vcc_lo, 0x40f, v4
	s_delay_alu instid0(VALU_DEP_2) | instskip(NEXT) | instid1(VALU_DEP_4)
	v_cndmask_b32_e32 v2, v3, v2, vcc_lo
	v_and_b32_e32 v3, 0x8000, v5
	s_delay_alu instid0(VALU_DEP_1)
	v_bitop3_b32 v2, v3, 0xffff, v2 bitop3:0xc8
	global_store_b32 v[6:7], v2, off
.LBB6_1992:
	s_mov_b32 s0, 0
.LBB6_1993:
	s_delay_alu instid0(SALU_CYCLE_1)
	s_and_not1_b32 vcc_lo, exec_lo, s0
	s_cbranch_vccnz .LBB6_2002
; %bb.1994:
	s_sext_i32_i16 s1, s14
	s_mov_b32 s0, -1
	s_cmp_lt_i32 s1, 6
	s_cbranch_scc1 .LBB6_2000
; %bb.1995:
	s_cmp_gt_i32 s1, 6
	s_cbranch_scc0 .LBB6_1997
; %bb.1996:
	s_mov_b32 s0, 0
	s_wait_loadcnt 0x0
	global_store_b64 v[6:7], v[0:1], off
.LBB6_1997:
	s_and_not1_b32 vcc_lo, exec_lo, s0
	s_cbranch_vccnz .LBB6_1999
; %bb.1998:
	s_wait_loadcnt 0x0
	v_cvt_f32_f64_e32 v2, v[0:1]
	global_store_b32 v[6:7], v2, off
.LBB6_1999:
	s_mov_b32 s0, 0
.LBB6_2000:
	s_delay_alu instid0(SALU_CYCLE_1)
	s_and_not1_b32 vcc_lo, exec_lo, s0
	s_cbranch_vccnz .LBB6_2002
; %bb.2001:
	s_wait_loadcnt 0x0
	v_and_or_b32 v2, 0x1ff, v1, v0
	v_lshrrev_b32_e32 v3, 8, v1
	v_bfe_u32 v4, v1, 20, 11
	s_delay_alu instid0(VALU_DEP_3) | instskip(NEXT) | instid1(VALU_DEP_2)
	v_cmp_ne_u32_e32 vcc_lo, 0, v2
	v_sub_nc_u32_e32 v5, 0x3f1, v4
	v_add_nc_u32_e32 v4, 0xfffffc10, v4
	v_cndmask_b32_e64 v2, 0, 1, vcc_lo
	s_delay_alu instid0(VALU_DEP_1) | instskip(NEXT) | instid1(VALU_DEP_4)
	v_and_or_b32 v2, 0xffe, v3, v2
	v_med3_i32 v3, v5, 0, 13
	s_delay_alu instid0(VALU_DEP_2) | instskip(NEXT) | instid1(VALU_DEP_1)
	v_or_b32_e32 v5, 0x1000, v2
	v_lshrrev_b32_e32 v8, v3, v5
	s_delay_alu instid0(VALU_DEP_1) | instskip(NEXT) | instid1(VALU_DEP_1)
	v_lshlrev_b32_e32 v3, v3, v8
	v_cmp_ne_u32_e32 vcc_lo, v3, v5
	v_lshl_or_b32 v5, v4, 12, v2
	v_cndmask_b32_e64 v3, 0, 1, vcc_lo
	v_cmp_gt_i32_e32 vcc_lo, 1, v4
	s_delay_alu instid0(VALU_DEP_2) | instskip(NEXT) | instid1(VALU_DEP_1)
	v_or_b32_e32 v3, v8, v3
	v_cndmask_b32_e32 v3, v5, v3, vcc_lo
	s_delay_alu instid0(VALU_DEP_1) | instskip(NEXT) | instid1(VALU_DEP_1)
	v_dual_lshrrev_b32 v3, 2, v3 :: v_dual_bitop2_b32 v5, 7, v3 bitop3:0x40
	v_cmp_lt_i32_e32 vcc_lo, 5, v5
	v_cndmask_b32_e64 v8, 0, 1, vcc_lo
	v_cmp_eq_u32_e32 vcc_lo, 3, v5
	v_cndmask_b32_e64 v5, 0, 1, vcc_lo
	v_cmp_ne_u32_e32 vcc_lo, 0, v2
	s_delay_alu instid0(VALU_DEP_2) | instskip(NEXT) | instid1(VALU_DEP_1)
	v_or_b32_e32 v5, v5, v8
	v_dual_mov_b32 v8, 0x7e00 :: v_dual_add_nc_u32 v3, v3, v5
	s_delay_alu instid0(VALU_DEP_1) | instskip(SKIP_1) | instid1(VALU_DEP_3)
	v_cndmask_b32_e32 v2, 0x7c00, v8, vcc_lo
	v_cmp_gt_i32_e32 vcc_lo, 31, v4
	v_cndmask_b32_e32 v3, 0x7c00, v3, vcc_lo
	v_cmp_eq_u32_e32 vcc_lo, 0x40f, v4
	s_delay_alu instid0(VALU_DEP_2) | instskip(NEXT) | instid1(VALU_DEP_1)
	v_dual_cndmask_b32 v2, v3, v2 :: v_dual_lshrrev_b32 v3, 16, v1
	v_and_or_b32 v2, 0x8000, v3, v2
	global_store_b16 v[6:7], v2, off
.LBB6_2002:
	s_mov_b32 s0, 0
.LBB6_2003:
	s_delay_alu instid0(SALU_CYCLE_1)
	s_and_not1_b32 vcc_lo, exec_lo, s0
	s_cbranch_vccnz .LBB6_2019
; %bb.2004:
	s_sext_i32_i16 s1, s14
	s_mov_b32 s0, -1
	s_cmp_lt_i32 s1, 2
	s_cbranch_scc1 .LBB6_2014
; %bb.2005:
	s_cmp_lt_i32 s1, 3
	s_cbranch_scc1 .LBB6_2011
; %bb.2006:
	s_cmp_gt_i32 s1, 3
	s_cbranch_scc0 .LBB6_2008
; %bb.2007:
	s_wait_loadcnt 0x0
	v_trunc_f64_e32 v[2:3], v[0:1]
	s_mov_b32 s0, 0
	s_delay_alu instid0(VALU_DEP_1) | instskip(NEXT) | instid1(VALU_DEP_1)
	v_ldexp_f64 v[4:5], v[2:3], 0xffffffe0
	v_floor_f64_e32 v[4:5], v[4:5]
	s_delay_alu instid0(VALU_DEP_1) | instskip(SKIP_1) | instid1(VALU_DEP_2)
	v_fmamk_f64 v[2:3], v[4:5], 0xc1f00000, v[2:3]
	v_cvt_i32_f64_e32 v5, v[4:5]
	v_cvt_u32_f64_e32 v4, v[2:3]
	global_store_b64 v[6:7], v[4:5], off
.LBB6_2008:
	s_and_not1_b32 vcc_lo, exec_lo, s0
	s_cbranch_vccnz .LBB6_2010
; %bb.2009:
	s_wait_loadcnt 0x0
	v_cvt_i32_f64_e32 v2, v[0:1]
	global_store_b32 v[6:7], v2, off
.LBB6_2010:
	s_mov_b32 s0, 0
.LBB6_2011:
	s_delay_alu instid0(SALU_CYCLE_1)
	s_and_not1_b32 vcc_lo, exec_lo, s0
	s_cbranch_vccnz .LBB6_2013
; %bb.2012:
	s_wait_loadcnt 0x0
	v_cvt_i32_f64_e32 v2, v[0:1]
	global_store_b16 v[6:7], v2, off
.LBB6_2013:
	s_mov_b32 s0, 0
.LBB6_2014:
	s_delay_alu instid0(SALU_CYCLE_1)
	s_and_not1_b32 vcc_lo, exec_lo, s0
	s_cbranch_vccnz .LBB6_2019
; %bb.2015:
	s_sext_i32_i16 s0, s14
	s_delay_alu instid0(SALU_CYCLE_1)
	s_cmp_gt_i32 s0, 0
	s_mov_b32 s0, -1
	s_cbranch_scc0 .LBB6_2017
; %bb.2016:
	s_wait_loadcnt 0x0
	v_cvt_i32_f64_e32 v2, v[0:1]
	s_mov_b32 s0, 0
	global_store_b8 v[6:7], v2, off
.LBB6_2017:
	s_and_not1_b32 vcc_lo, exec_lo, s0
	s_cbranch_vccnz .LBB6_2019
; %bb.2018:
	s_wait_loadcnt 0x0
	v_trunc_f64_e32 v[0:1], v[0:1]
	s_delay_alu instid0(VALU_DEP_1) | instskip(NEXT) | instid1(VALU_DEP_1)
	v_ldexp_f64 v[2:3], v[0:1], 0xffffffe0
	v_floor_f64_e32 v[2:3], v[2:3]
	s_delay_alu instid0(VALU_DEP_1) | instskip(NEXT) | instid1(VALU_DEP_1)
	v_fmamk_f64 v[0:1], v[2:3], 0xc1f00000, v[0:1]
	v_cvt_u32_f64_e32 v0, v[0:1]
	global_store_b8 v[6:7], v0, off
	s_endpgm
.LBB6_2019:
	s_endpgm
.LBB6_2020:
	s_or_b32 s1, s1, exec_lo
	s_trap 2
	s_cbranch_execz .LBB6_1493
	s_branch .LBB6_1494
.LBB6_2021:
	s_and_not1_saveexec_b32 s9, s9
	s_cbranch_execz .LBB6_1573
.LBB6_2022:
	v_add_f32_e64 v3, 0x46000000, |v2|
	s_and_not1_b32 s7, s7, exec_lo
	s_delay_alu instid0(VALU_DEP_1) | instskip(NEXT) | instid1(VALU_DEP_1)
	v_and_b32_e32 v3, 0xff, v3
	v_cmp_ne_u32_e32 vcc_lo, 0, v3
	s_and_b32 s15, vcc_lo, exec_lo
	s_delay_alu instid0(SALU_CYCLE_1)
	s_or_b32 s7, s7, s15
	s_or_b32 exec_lo, exec_lo, s9
	v_mov_b32_e32 v11, 0
	s_and_saveexec_b32 s9, s7
	s_cbranch_execnz .LBB6_1574
	s_branch .LBB6_1575
.LBB6_2023:
	s_or_b32 s1, s1, exec_lo
	s_trap 2
	s_cbranch_execz .LBB6_1621
	s_branch .LBB6_1622
.LBB6_2024:
	s_and_not1_saveexec_b32 s7, s7
	s_cbranch_execz .LBB6_1586
.LBB6_2025:
	v_add_f32_e64 v3, 0x42800000, |v2|
	s_and_not1_b32 s6, s6, exec_lo
	s_delay_alu instid0(VALU_DEP_1) | instskip(NEXT) | instid1(VALU_DEP_1)
	v_and_b32_e32 v3, 0xff, v3
	v_cmp_ne_u32_e32 vcc_lo, 0, v3
	s_and_b32 s9, vcc_lo, exec_lo
	s_delay_alu instid0(SALU_CYCLE_1)
	s_or_b32 s6, s6, s9
	s_or_b32 exec_lo, exec_lo, s7
	v_mov_b32_e32 v11, 0
	s_and_saveexec_b32 s7, s6
	s_cbranch_execnz .LBB6_1587
	s_branch .LBB6_1588
.LBB6_2026:
	s_and_not1_saveexec_b32 s9, s9
	s_cbranch_execz .LBB6_1691
.LBB6_2027:
	v_add_f32_e64 v3, 0x46000000, |v2|
	s_and_not1_b32 s8, s8, exec_lo
	s_delay_alu instid0(VALU_DEP_1) | instskip(NEXT) | instid1(VALU_DEP_1)
	v_and_b32_e32 v3, 0xff, v3
	v_cmp_ne_u32_e32 vcc_lo, 0, v3
	s_and_b32 s15, vcc_lo, exec_lo
	s_delay_alu instid0(SALU_CYCLE_1)
	s_or_b32 s8, s8, s15
	s_or_b32 exec_lo, exec_lo, s9
	v_mov_b32_e32 v8, 0
	s_and_saveexec_b32 s9, s8
	s_cbranch_execnz .LBB6_1692
	s_branch .LBB6_1693
.LBB6_2028:
	s_or_b32 s1, s1, exec_lo
	s_trap 2
	s_cbranch_execz .LBB6_1739
	s_branch .LBB6_1740
.LBB6_2029:
	s_and_not1_saveexec_b32 s8, s8
	s_cbranch_execz .LBB6_1704
.LBB6_2030:
	v_add_f32_e64 v3, 0x42800000, |v2|
	s_and_not1_b32 s7, s7, exec_lo
	s_delay_alu instid0(VALU_DEP_1) | instskip(NEXT) | instid1(VALU_DEP_1)
	v_and_b32_e32 v3, 0xff, v3
	v_cmp_ne_u32_e32 vcc_lo, 0, v3
	s_and_b32 s9, vcc_lo, exec_lo
	s_delay_alu instid0(SALU_CYCLE_1)
	s_or_b32 s7, s7, s9
	s_or_b32 exec_lo, exec_lo, s8
	v_mov_b32_e32 v8, 0
	s_and_saveexec_b32 s8, s7
	s_cbranch_execnz .LBB6_1705
	s_branch .LBB6_1706
.LBB6_2031:
	s_and_not1_saveexec_b32 s9, s9
	s_cbranch_execz .LBB6_1809
.LBB6_2032:
	v_add_f32_e64 v3, 0x46000000, |v2|
	s_and_not1_b32 s8, s8, exec_lo
	s_delay_alu instid0(VALU_DEP_1) | instskip(NEXT) | instid1(VALU_DEP_1)
	v_and_b32_e32 v3, 0xff, v3
	v_cmp_ne_u32_e32 vcc_lo, 0, v3
	s_and_b32 s15, vcc_lo, exec_lo
	s_delay_alu instid0(SALU_CYCLE_1)
	s_or_b32 s8, s8, s15
	s_or_b32 exec_lo, exec_lo, s9
	v_mov_b32_e32 v6, 0
	s_and_saveexec_b32 s9, s8
	s_cbranch_execnz .LBB6_1810
	s_branch .LBB6_1811
.LBB6_2033:
	s_or_b32 s1, s1, exec_lo
	s_trap 2
	s_cbranch_execz .LBB6_1857
	s_branch .LBB6_1858
.LBB6_2034:
	s_and_not1_saveexec_b32 s8, s8
	s_cbranch_execz .LBB6_1822
.LBB6_2035:
	v_add_f32_e64 v3, 0x42800000, |v2|
	s_and_not1_b32 s7, s7, exec_lo
	s_delay_alu instid0(VALU_DEP_1) | instskip(NEXT) | instid1(VALU_DEP_1)
	v_and_b32_e32 v3, 0xff, v3
	v_cmp_ne_u32_e32 vcc_lo, 0, v3
	s_and_b32 s9, vcc_lo, exec_lo
	s_delay_alu instid0(SALU_CYCLE_1)
	s_or_b32 s7, s7, s9
	s_or_b32 exec_lo, exec_lo, s8
	v_mov_b32_e32 v6, 0
	s_and_saveexec_b32 s8, s7
	s_cbranch_execnz .LBB6_1823
	s_branch .LBB6_1824
.LBB6_2036:
	s_and_not1_saveexec_b32 s6, s6
	s_cbranch_execz .LBB6_1889
.LBB6_2037:
	v_add_f32_e64 v3, 0x46000000, |v2|
	s_and_not1_b32 s5, s5, exec_lo
	s_delay_alu instid0(VALU_DEP_1) | instskip(NEXT) | instid1(VALU_DEP_1)
	v_and_b32_e32 v3, 0xff, v3
	v_cmp_ne_u32_e32 vcc_lo, 0, v3
	s_and_b32 s7, vcc_lo, exec_lo
	s_delay_alu instid0(SALU_CYCLE_1)
	s_or_b32 s5, s5, s7
	s_or_b32 exec_lo, exec_lo, s6
	v_mov_b32_e32 v4, 0
	s_and_saveexec_b32 s6, s5
	s_cbranch_execnz .LBB6_1890
	s_branch .LBB6_1891
.LBB6_2038:
	s_mov_b32 s3, 0
	s_or_b32 s1, s1, exec_lo
	s_trap 2
	s_branch .LBB6_1935
.LBB6_2039:
	s_and_not1_saveexec_b32 s5, s5
	s_cbranch_execz .LBB6_1901
.LBB6_2040:
	v_add_f32_e64 v3, 0x42800000, |v2|
	s_and_not1_b32 s4, s4, exec_lo
	s_delay_alu instid0(VALU_DEP_1) | instskip(NEXT) | instid1(VALU_DEP_1)
	v_and_b32_e32 v3, 0xff, v3
	v_cmp_ne_u32_e32 vcc_lo, 0, v3
	s_and_b32 s6, vcc_lo, exec_lo
	s_delay_alu instid0(SALU_CYCLE_1)
	s_or_b32 s4, s4, s6
	s_or_b32 exec_lo, exec_lo, s5
	v_mov_b32_e32 v4, 0
	s_and_saveexec_b32 s5, s4
	s_cbranch_execnz .LBB6_1902
	s_branch .LBB6_1903
	.section	.rodata,"a",@progbits
	.p2align	6, 0x0
	.amdhsa_kernel _ZN2at6native32elementwise_kernel_manual_unrollILi128ELi4EZNS0_15gpu_kernel_implIZZZNS0_12_GLOBAL__N_117hardshrink_kernelERNS_18TensorIteratorBaseERKN3c106ScalarEENKUlvE_clEvENKUlvE_clEvEUldE_EEvS5_RKT_EUlibE_EEviT1_
		.amdhsa_group_segment_fixed_size 0
		.amdhsa_private_segment_fixed_size 0
		.amdhsa_kernarg_size 48
		.amdhsa_user_sgpr_count 2
		.amdhsa_user_sgpr_dispatch_ptr 0
		.amdhsa_user_sgpr_queue_ptr 0
		.amdhsa_user_sgpr_kernarg_segment_ptr 1
		.amdhsa_user_sgpr_dispatch_id 0
		.amdhsa_user_sgpr_kernarg_preload_length 0
		.amdhsa_user_sgpr_kernarg_preload_offset 0
		.amdhsa_user_sgpr_private_segment_size 0
		.amdhsa_wavefront_size32 1
		.amdhsa_uses_dynamic_stack 0
		.amdhsa_enable_private_segment 0
		.amdhsa_system_sgpr_workgroup_id_x 1
		.amdhsa_system_sgpr_workgroup_id_y 0
		.amdhsa_system_sgpr_workgroup_id_z 0
		.amdhsa_system_sgpr_workgroup_info 0
		.amdhsa_system_vgpr_workitem_id 0
		.amdhsa_next_free_vgpr 16
		.amdhsa_next_free_sgpr 28
		.amdhsa_named_barrier_count 0
		.amdhsa_reserve_vcc 1
		.amdhsa_float_round_mode_32 0
		.amdhsa_float_round_mode_16_64 0
		.amdhsa_float_denorm_mode_32 3
		.amdhsa_float_denorm_mode_16_64 3
		.amdhsa_fp16_overflow 0
		.amdhsa_memory_ordered 1
		.amdhsa_forward_progress 1
		.amdhsa_inst_pref_size 255
		.amdhsa_round_robin_scheduling 0
		.amdhsa_exception_fp_ieee_invalid_op 0
		.amdhsa_exception_fp_denorm_src 0
		.amdhsa_exception_fp_ieee_div_zero 0
		.amdhsa_exception_fp_ieee_overflow 0
		.amdhsa_exception_fp_ieee_underflow 0
		.amdhsa_exception_fp_ieee_inexact 0
		.amdhsa_exception_int_div_zero 0
	.end_amdhsa_kernel
	.section	.text._ZN2at6native32elementwise_kernel_manual_unrollILi128ELi4EZNS0_15gpu_kernel_implIZZZNS0_12_GLOBAL__N_117hardshrink_kernelERNS_18TensorIteratorBaseERKN3c106ScalarEENKUlvE_clEvENKUlvE_clEvEUldE_EEvS5_RKT_EUlibE_EEviT1_,"axG",@progbits,_ZN2at6native32elementwise_kernel_manual_unrollILi128ELi4EZNS0_15gpu_kernel_implIZZZNS0_12_GLOBAL__N_117hardshrink_kernelERNS_18TensorIteratorBaseERKN3c106ScalarEENKUlvE_clEvENKUlvE_clEvEUldE_EEvS5_RKT_EUlibE_EEviT1_,comdat
.Lfunc_end6:
	.size	_ZN2at6native32elementwise_kernel_manual_unrollILi128ELi4EZNS0_15gpu_kernel_implIZZZNS0_12_GLOBAL__N_117hardshrink_kernelERNS_18TensorIteratorBaseERKN3c106ScalarEENKUlvE_clEvENKUlvE_clEvEUldE_EEvS5_RKT_EUlibE_EEviT1_, .Lfunc_end6-_ZN2at6native32elementwise_kernel_manual_unrollILi128ELi4EZNS0_15gpu_kernel_implIZZZNS0_12_GLOBAL__N_117hardshrink_kernelERNS_18TensorIteratorBaseERKN3c106ScalarEENKUlvE_clEvENKUlvE_clEvEUldE_EEvS5_RKT_EUlibE_EEviT1_
                                        ; -- End function
	.set _ZN2at6native32elementwise_kernel_manual_unrollILi128ELi4EZNS0_15gpu_kernel_implIZZZNS0_12_GLOBAL__N_117hardshrink_kernelERNS_18TensorIteratorBaseERKN3c106ScalarEENKUlvE_clEvENKUlvE_clEvEUldE_EEvS5_RKT_EUlibE_EEviT1_.num_vgpr, 16
	.set _ZN2at6native32elementwise_kernel_manual_unrollILi128ELi4EZNS0_15gpu_kernel_implIZZZNS0_12_GLOBAL__N_117hardshrink_kernelERNS_18TensorIteratorBaseERKN3c106ScalarEENKUlvE_clEvENKUlvE_clEvEUldE_EEvS5_RKT_EUlibE_EEviT1_.num_agpr, 0
	.set _ZN2at6native32elementwise_kernel_manual_unrollILi128ELi4EZNS0_15gpu_kernel_implIZZZNS0_12_GLOBAL__N_117hardshrink_kernelERNS_18TensorIteratorBaseERKN3c106ScalarEENKUlvE_clEvENKUlvE_clEvEUldE_EEvS5_RKT_EUlibE_EEviT1_.numbered_sgpr, 28
	.set _ZN2at6native32elementwise_kernel_manual_unrollILi128ELi4EZNS0_15gpu_kernel_implIZZZNS0_12_GLOBAL__N_117hardshrink_kernelERNS_18TensorIteratorBaseERKN3c106ScalarEENKUlvE_clEvENKUlvE_clEvEUldE_EEvS5_RKT_EUlibE_EEviT1_.num_named_barrier, 0
	.set _ZN2at6native32elementwise_kernel_manual_unrollILi128ELi4EZNS0_15gpu_kernel_implIZZZNS0_12_GLOBAL__N_117hardshrink_kernelERNS_18TensorIteratorBaseERKN3c106ScalarEENKUlvE_clEvENKUlvE_clEvEUldE_EEvS5_RKT_EUlibE_EEviT1_.private_seg_size, 0
	.set _ZN2at6native32elementwise_kernel_manual_unrollILi128ELi4EZNS0_15gpu_kernel_implIZZZNS0_12_GLOBAL__N_117hardshrink_kernelERNS_18TensorIteratorBaseERKN3c106ScalarEENKUlvE_clEvENKUlvE_clEvEUldE_EEvS5_RKT_EUlibE_EEviT1_.uses_vcc, 1
	.set _ZN2at6native32elementwise_kernel_manual_unrollILi128ELi4EZNS0_15gpu_kernel_implIZZZNS0_12_GLOBAL__N_117hardshrink_kernelERNS_18TensorIteratorBaseERKN3c106ScalarEENKUlvE_clEvENKUlvE_clEvEUldE_EEvS5_RKT_EUlibE_EEviT1_.uses_flat_scratch, 0
	.set _ZN2at6native32elementwise_kernel_manual_unrollILi128ELi4EZNS0_15gpu_kernel_implIZZZNS0_12_GLOBAL__N_117hardshrink_kernelERNS_18TensorIteratorBaseERKN3c106ScalarEENKUlvE_clEvENKUlvE_clEvEUldE_EEvS5_RKT_EUlibE_EEviT1_.has_dyn_sized_stack, 0
	.set _ZN2at6native32elementwise_kernel_manual_unrollILi128ELi4EZNS0_15gpu_kernel_implIZZZNS0_12_GLOBAL__N_117hardshrink_kernelERNS_18TensorIteratorBaseERKN3c106ScalarEENKUlvE_clEvENKUlvE_clEvEUldE_EEvS5_RKT_EUlibE_EEviT1_.has_recursion, 0
	.set _ZN2at6native32elementwise_kernel_manual_unrollILi128ELi4EZNS0_15gpu_kernel_implIZZZNS0_12_GLOBAL__N_117hardshrink_kernelERNS_18TensorIteratorBaseERKN3c106ScalarEENKUlvE_clEvENKUlvE_clEvEUldE_EEvS5_RKT_EUlibE_EEviT1_.has_indirect_call, 0
	.section	.AMDGPU.csdata,"",@progbits
; Kernel info:
; codeLenInByte = 41520
; TotalNumSgprs: 30
; NumVgprs: 16
; ScratchSize: 0
; MemoryBound: 1
; FloatMode: 240
; IeeeMode: 1
; LDSByteSize: 0 bytes/workgroup (compile time only)
; SGPRBlocks: 0
; VGPRBlocks: 0
; NumSGPRsForWavesPerEU: 30
; NumVGPRsForWavesPerEU: 16
; NamedBarCnt: 0
; Occupancy: 16
; WaveLimiterHint : 0
; COMPUTE_PGM_RSRC2:SCRATCH_EN: 0
; COMPUTE_PGM_RSRC2:USER_SGPR: 2
; COMPUTE_PGM_RSRC2:TRAP_HANDLER: 0
; COMPUTE_PGM_RSRC2:TGID_X_EN: 1
; COMPUTE_PGM_RSRC2:TGID_Y_EN: 0
; COMPUTE_PGM_RSRC2:TGID_Z_EN: 0
; COMPUTE_PGM_RSRC2:TIDIG_COMP_CNT: 0
	.section	.text._ZN2at6native32elementwise_kernel_manual_unrollILi128ELi4EZNS0_15gpu_kernel_implIZZZNS0_12_GLOBAL__N_117hardshrink_kernelERNS_18TensorIteratorBaseERKN3c106ScalarEENKUlvE_clEvENKUlvE_clEvEUldE_EEvS5_RKT_EUlibE0_EEviT1_,"axG",@progbits,_ZN2at6native32elementwise_kernel_manual_unrollILi128ELi4EZNS0_15gpu_kernel_implIZZZNS0_12_GLOBAL__N_117hardshrink_kernelERNS_18TensorIteratorBaseERKN3c106ScalarEENKUlvE_clEvENKUlvE_clEvEUldE_EEvS5_RKT_EUlibE0_EEviT1_,comdat
	.globl	_ZN2at6native32elementwise_kernel_manual_unrollILi128ELi4EZNS0_15gpu_kernel_implIZZZNS0_12_GLOBAL__N_117hardshrink_kernelERNS_18TensorIteratorBaseERKN3c106ScalarEENKUlvE_clEvENKUlvE_clEvEUldE_EEvS5_RKT_EUlibE0_EEviT1_ ; -- Begin function _ZN2at6native32elementwise_kernel_manual_unrollILi128ELi4EZNS0_15gpu_kernel_implIZZZNS0_12_GLOBAL__N_117hardshrink_kernelERNS_18TensorIteratorBaseERKN3c106ScalarEENKUlvE_clEvENKUlvE_clEvEUldE_EEvS5_RKT_EUlibE0_EEviT1_
	.p2align	8
	.type	_ZN2at6native32elementwise_kernel_manual_unrollILi128ELi4EZNS0_15gpu_kernel_implIZZZNS0_12_GLOBAL__N_117hardshrink_kernelERNS_18TensorIteratorBaseERKN3c106ScalarEENKUlvE_clEvENKUlvE_clEvEUldE_EEvS5_RKT_EUlibE0_EEviT1_,@function
_ZN2at6native32elementwise_kernel_manual_unrollILi128ELi4EZNS0_15gpu_kernel_implIZZZNS0_12_GLOBAL__N_117hardshrink_kernelERNS_18TensorIteratorBaseERKN3c106ScalarEENKUlvE_clEvENKUlvE_clEvEUldE_EEvS5_RKT_EUlibE0_EEviT1_: ; @_ZN2at6native32elementwise_kernel_manual_unrollILi128ELi4EZNS0_15gpu_kernel_implIZZZNS0_12_GLOBAL__N_117hardshrink_kernelERNS_18TensorIteratorBaseERKN3c106ScalarEENKUlvE_clEvENKUlvE_clEvEUldE_EEvS5_RKT_EUlibE0_EEviT1_
; %bb.0:
	s_clause 0x1
	s_load_b32 s19, s[0:1], 0x8
	s_load_b32 s38, s[0:1], 0x0
	s_bfe_u32 s2, ttmp6, 0x4000c
	s_and_b32 s3, ttmp6, 15
	s_add_co_i32 s2, s2, 1
	s_getreg_b32 s4, hwreg(HW_REG_IB_STS2, 6, 4)
	s_mul_i32 s2, ttmp9, s2
	s_mov_b32 s34, 0
	s_add_co_i32 s3, s3, s2
	s_cmp_eq_u32 s4, 0
	s_mov_b32 s27, -1
	s_cselect_b32 s2, ttmp9, s3
	s_mov_b32 s11, 0
	v_lshl_or_b32 v4, s2, 9, v0
	s_add_nc_u64 s[2:3], s[0:1], 8
	s_wait_xcnt 0x0
	s_mov_b32 s0, exec_lo
	s_delay_alu instid0(VALU_DEP_1) | instskip(SKIP_2) | instid1(SALU_CYCLE_1)
	v_or_b32_e32 v3, 0x180, v4
	s_wait_kmcnt 0x0
	s_add_co_i32 s33, s19, -1
	s_cmp_gt_u32 s33, 1
	s_cselect_b32 s35, -1, 0
	v_cmpx_le_i32_e64 s38, v3
	s_xor_b32 s36, exec_lo, s0
	s_cbranch_execz .LBB7_1093
; %bb.1:
	s_clause 0x4
	s_load_b128 s[8:11], s[2:3], 0x4
	s_load_b64 s[0:1], s[2:3], 0x14
	s_load_b96 s[16:18], s[2:3], 0x158
	s_load_b128 s[12:15], s[2:3], 0xc4
	s_load_b128 s[4:7], s[2:3], 0x148
	s_cmp_lg_u32 s19, 0
	s_mov_b32 s21, 0
	s_cselect_b32 s40, -1, 0
	s_min_u32 s39, s33, 15
	s_cmp_gt_u32 s19, 1
	s_add_nc_u64 s[24:25], s[2:3], 0xc4
	s_mov_b32 s23, s21
	s_mov_b32 s42, s21
	s_cselect_b32 s37, -1, 0
	s_mov_b32 s41, s21
	s_mov_b32 s43, exec_lo
	s_wait_kmcnt 0x0
	s_mov_b32 s20, s9
	s_mov_b32 s22, s0
	s_bfe_u32 s9, s18, 0x80008
	v_cmpx_gt_i32_e64 s38, v4
	s_cbranch_execz .LBB7_267
; %bb.2:
	s_and_not1_b32 vcc_lo, exec_lo, s35
	s_cbranch_vccnz .LBB7_8
; %bb.3:
	s_and_not1_b32 vcc_lo, exec_lo, s40
	s_cbranch_vccnz .LBB7_9
; %bb.4:
	s_add_co_i32 s0, s39, 1
	s_cmp_eq_u32 s33, 2
	s_cbranch_scc1 .LBB7_10
; %bb.5:
	v_dual_mov_b32 v0, 0 :: v_dual_mov_b32 v2, 0
	v_mov_b32_e32 v3, v4
	s_and_b32 s26, s0, 28
	s_mov_b32 s27, 0
	s_mov_b64 s[28:29], s[2:3]
	s_mov_b64 s[30:31], s[24:25]
.LBB7_6:                                ; =>This Inner Loop Header: Depth=1
	s_clause 0x1
	s_load_b256 s[44:51], s[28:29], 0x4
	s_load_b128 s[60:63], s[28:29], 0x24
	s_load_b256 s[52:59], s[30:31], 0x0
	s_add_co_i32 s27, s27, 4
	s_wait_xcnt 0x0
	s_add_nc_u64 s[28:29], s[28:29], 48
	s_cmp_lg_u32 s26, s27
	s_add_nc_u64 s[30:31], s[30:31], 32
	s_wait_kmcnt 0x0
	v_mul_hi_u32 v1, s45, v3
	s_delay_alu instid0(VALU_DEP_1) | instskip(NEXT) | instid1(VALU_DEP_1)
	v_add_nc_u32_e32 v1, v3, v1
	v_lshrrev_b32_e32 v1, s46, v1
	s_delay_alu instid0(VALU_DEP_1) | instskip(NEXT) | instid1(VALU_DEP_1)
	v_mul_lo_u32 v7, v1, s44
	v_sub_nc_u32_e32 v3, v3, v7
	v_mul_hi_u32 v5, s48, v1
	s_delay_alu instid0(VALU_DEP_2) | instskip(SKIP_1) | instid1(VALU_DEP_3)
	v_mad_u32 v2, v3, s53, v2
	v_mad_u32 v0, v3, s52, v0
	v_add_nc_u32_e32 v5, v1, v5
	s_delay_alu instid0(VALU_DEP_1) | instskip(NEXT) | instid1(VALU_DEP_1)
	v_lshrrev_b32_e32 v5, s49, v5
	v_mul_lo_u32 v7, v5, s47
	s_delay_alu instid0(VALU_DEP_1) | instskip(SKIP_1) | instid1(VALU_DEP_2)
	v_sub_nc_u32_e32 v1, v1, v7
	v_mul_hi_u32 v6, s51, v5
	v_mad_u32 v2, v1, s55, v2
	v_mad_u32 v0, v1, s54, v0
	s_delay_alu instid0(VALU_DEP_3) | instskip(NEXT) | instid1(VALU_DEP_1)
	v_add_nc_u32_e32 v6, v5, v6
	v_lshrrev_b32_e32 v6, s60, v6
	s_delay_alu instid0(VALU_DEP_1) | instskip(SKIP_1) | instid1(VALU_DEP_1)
	v_mul_hi_u32 v8, s62, v6
	v_mul_lo_u32 v7, v6, s50
	v_dual_add_nc_u32 v3, v6, v8 :: v_dual_sub_nc_u32 v1, v5, v7
	s_delay_alu instid0(VALU_DEP_1) | instskip(NEXT) | instid1(VALU_DEP_2)
	v_lshrrev_b32_e32 v3, s63, v3
	v_mad_u32 v2, v1, s57, v2
	v_mad_u32 v0, v1, s56, v0
	s_delay_alu instid0(VALU_DEP_3) | instskip(NEXT) | instid1(VALU_DEP_1)
	v_mul_lo_u32 v5, v3, s61
	v_sub_nc_u32_e32 v1, v6, v5
	s_delay_alu instid0(VALU_DEP_1) | instskip(NEXT) | instid1(VALU_DEP_4)
	v_mad_u32 v2, v1, s59, v2
	v_mad_u32 v0, v1, s58, v0
	s_cbranch_scc1 .LBB7_6
; %bb.7:
	s_delay_alu instid0(VALU_DEP_2)
	v_mov_b32_e32 v1, v2
	s_and_b32 s0, s0, 3
	s_mov_b32 s27, 0
	s_cmp_eq_u32 s0, 0
	s_cbranch_scc0 .LBB7_11
	s_branch .LBB7_14
.LBB7_8:
                                        ; implicit-def: $vgpr2
                                        ; implicit-def: $vgpr0
	s_branch .LBB7_15
.LBB7_9:
	v_dual_mov_b32 v2, 0 :: v_dual_mov_b32 v0, 0
	s_branch .LBB7_14
.LBB7_10:
	v_mov_b64_e32 v[0:1], 0
	v_mov_b32_e32 v3, v4
	s_mov_b32 s26, 0
                                        ; implicit-def: $vgpr2
	s_and_b32 s0, s0, 3
	s_mov_b32 s27, 0
	s_cmp_eq_u32 s0, 0
	s_cbranch_scc1 .LBB7_14
.LBB7_11:
	s_lshl_b32 s28, s26, 3
	s_mov_b32 s29, s27
	s_mul_u64 s[30:31], s[26:27], 12
	s_add_nc_u64 s[28:29], s[2:3], s[28:29]
	s_delay_alu instid0(SALU_CYCLE_1)
	s_add_nc_u64 s[26:27], s[28:29], 0xc4
	s_add_nc_u64 s[28:29], s[2:3], s[30:31]
.LBB7_12:                               ; =>This Inner Loop Header: Depth=1
	s_load_b96 s[44:46], s[28:29], 0x4
	s_load_b64 s[30:31], s[26:27], 0x0
	s_add_co_i32 s0, s0, -1
	s_wait_xcnt 0x0
	s_add_nc_u64 s[28:29], s[28:29], 12
	s_cmp_lg_u32 s0, 0
	s_add_nc_u64 s[26:27], s[26:27], 8
	s_wait_kmcnt 0x0
	v_mul_hi_u32 v2, s45, v3
	s_delay_alu instid0(VALU_DEP_1) | instskip(NEXT) | instid1(VALU_DEP_1)
	v_add_nc_u32_e32 v2, v3, v2
	v_lshrrev_b32_e32 v2, s46, v2
	s_delay_alu instid0(VALU_DEP_1) | instskip(NEXT) | instid1(VALU_DEP_1)
	v_mul_lo_u32 v5, v2, s44
	v_sub_nc_u32_e32 v3, v3, v5
	s_delay_alu instid0(VALU_DEP_1)
	v_mad_u32 v1, v3, s31, v1
	v_mad_u32 v0, v3, s30, v0
	v_mov_b32_e32 v3, v2
	s_cbranch_scc1 .LBB7_12
; %bb.13:
	s_delay_alu instid0(VALU_DEP_3)
	v_mov_b32_e32 v2, v1
.LBB7_14:
	s_cbranch_execnz .LBB7_17
.LBB7_15:
	v_mov_b32_e32 v5, 0
	s_and_not1_b32 vcc_lo, exec_lo, s37
	s_delay_alu instid0(VALU_DEP_1) | instskip(NEXT) | instid1(VALU_DEP_1)
	v_mul_u64_e32 v[0:1], s[20:21], v[4:5]
	v_add_nc_u32_e32 v0, v4, v1
	s_delay_alu instid0(VALU_DEP_1) | instskip(NEXT) | instid1(VALU_DEP_1)
	v_lshrrev_b32_e32 v6, s10, v0
	v_mul_lo_u32 v0, v6, s8
	s_delay_alu instid0(VALU_DEP_1) | instskip(NEXT) | instid1(VALU_DEP_1)
	v_sub_nc_u32_e32 v0, v4, v0
	v_mul_lo_u32 v2, v0, s13
	v_mul_lo_u32 v0, v0, s12
	s_cbranch_vccnz .LBB7_17
; %bb.16:
	v_mov_b32_e32 v7, v5
	s_delay_alu instid0(VALU_DEP_1) | instskip(NEXT) | instid1(VALU_DEP_1)
	v_mul_u64_e32 v[8:9], s[22:23], v[6:7]
	v_add_nc_u32_e32 v1, v6, v9
	s_delay_alu instid0(VALU_DEP_1) | instskip(NEXT) | instid1(VALU_DEP_1)
	v_lshrrev_b32_e32 v1, s1, v1
	v_mul_lo_u32 v1, v1, s11
	s_delay_alu instid0(VALU_DEP_1) | instskip(NEXT) | instid1(VALU_DEP_1)
	v_sub_nc_u32_e32 v1, v6, v1
	v_mad_u32 v0, v1, s14, v0
	v_mad_u32 v2, v1, s15, v2
.LBB7_17:
	v_mov_b32_e32 v3, 0
	s_and_b32 s0, 0xffff, s9
	s_delay_alu instid0(SALU_CYCLE_1) | instskip(NEXT) | instid1(VALU_DEP_1)
	s_cmp_lt_i32 s0, 11
	v_add_nc_u64_e32 v[2:3], s[6:7], v[2:3]
	s_cbranch_scc1 .LBB7_24
; %bb.18:
	s_cmp_gt_i32 s0, 25
	s_cbranch_scc0 .LBB7_72
; %bb.19:
	s_cmp_gt_i32 s0, 28
	s_cbranch_scc0 .LBB7_73
	;; [unrolled: 3-line block ×4, first 2 shown]
; %bb.22:
	s_cmp_eq_u32 s0, 46
	s_mov_b32 s28, 0
	s_cbranch_scc0 .LBB7_79
; %bb.23:
	global_load_b32 v1, v[2:3], off
	s_mov_b32 s27, -1
	s_mov_b32 s26, 0
	s_wait_loadcnt 0x0
	v_lshlrev_b32_e32 v1, 16, v1
	s_delay_alu instid0(VALU_DEP_1)
	v_cvt_f64_f32_e32 v[8:9], v1
	s_branch .LBB7_81
.LBB7_24:
	s_mov_b32 s26, 0
	s_mov_b32 s27, 0
                                        ; implicit-def: $vgpr8_vgpr9
	s_cbranch_execnz .LBB7_217
.LBB7_25:
	s_and_not1_b32 vcc_lo, exec_lo, s27
	s_cbranch_vccnz .LBB7_264
.LBB7_26:
	s_wait_loadcnt 0x0
	s_delay_alu instid0(VALU_DEP_1)
	v_cmp_nge_f64_e64 s27, v[8:9], -s[16:17]
	v_cmp_nge_f64_e32 vcc_lo, s[16:17], v[8:9]
	s_mov_b32 s0, 0
	s_mov_b32 s28, -1
	s_mov_b32 s29, 0
	s_or_b32 vcc_lo, s27, vcc_lo
	v_mov_b32_e32 v1, 0
	s_and_b32 s27, s18, 0xff
	s_delay_alu instid0(SALU_CYCLE_1) | instskip(NEXT) | instid1(VALU_DEP_1)
	s_cmp_lt_i32 s27, 11
	v_add_nc_u64_e32 v[6:7], s[4:5], v[0:1]
	v_dual_cndmask_b32 v1, 0, v9 :: v_dual_cndmask_b32 v0, 0, v8
	s_cbranch_scc1 .LBB7_33
; %bb.27:
	s_and_b32 s28, 0xffff, s27
	s_delay_alu instid0(SALU_CYCLE_1)
	s_cmp_gt_i32 s28, 25
	s_cbranch_scc0 .LBB7_74
; %bb.28:
	s_cmp_gt_i32 s28, 28
	s_cbranch_scc0 .LBB7_76
; %bb.29:
	;; [unrolled: 3-line block ×4, first 2 shown]
	s_mov_b32 s30, 0
	s_mov_b32 s0, -1
	s_cmp_eq_u32 s28, 46
	s_cbranch_scc0 .LBB7_85
; %bb.32:
	v_cvt_f32_f64_e32 v2, v[0:1]
	s_mov_b32 s29, -1
	s_mov_b32 s0, 0
	s_delay_alu instid0(VALU_DEP_1) | instskip(SKIP_1) | instid1(VALU_DEP_2)
	v_bfe_u32 v3, v2, 16, 1
	v_cmp_o_f32_e32 vcc_lo, v2, v2
	v_add3_u32 v3, v2, v3, 0x7fff
	s_delay_alu instid0(VALU_DEP_1) | instskip(NEXT) | instid1(VALU_DEP_1)
	v_lshrrev_b32_e32 v3, 16, v3
	v_cndmask_b32_e32 v2, 0x7fc0, v3, vcc_lo
	global_store_b32 v[6:7], v2, off
	s_branch .LBB7_85
.LBB7_33:
	s_and_b32 vcc_lo, exec_lo, s28
	s_cbranch_vccz .LBB7_154
; %bb.34:
	s_and_b32 s27, 0xffff, s27
	s_mov_b32 s28, -1
	s_cmp_lt_i32 s27, 5
	s_cbranch_scc1 .LBB7_55
; %bb.35:
	s_cmp_lt_i32 s27, 8
	s_cbranch_scc1 .LBB7_45
; %bb.36:
	s_cmp_lt_i32 s27, 9
	s_cbranch_scc1 .LBB7_42
; %bb.37:
	s_cmp_gt_i32 s27, 9
	s_cbranch_scc0 .LBB7_39
; %bb.38:
	s_wait_xcnt 0x0
	v_mov_b32_e32 v2, 0
	s_mov_b32 s28, 0
	s_delay_alu instid0(VALU_DEP_1)
	v_mov_b32_e32 v3, v2
	global_store_b128 v[6:7], v[0:3], off
.LBB7_39:
	s_and_not1_b32 vcc_lo, exec_lo, s28
	s_cbranch_vccnz .LBB7_41
; %bb.40:
	s_wait_xcnt 0x0
	v_cvt_f32_f64_e32 v2, v[0:1]
	v_mov_b32_e32 v3, 0
	global_store_b64 v[6:7], v[2:3], off
.LBB7_41:
	s_mov_b32 s28, 0
.LBB7_42:
	s_delay_alu instid0(SALU_CYCLE_1)
	s_and_not1_b32 vcc_lo, exec_lo, s28
	s_cbranch_vccnz .LBB7_44
; %bb.43:
	s_wait_xcnt 0x0
	v_and_or_b32 v2, 0x1ff, v1, v0
	v_lshrrev_b32_e32 v3, 8, v1
	v_bfe_u32 v5, v1, 20, 11
	s_delay_alu instid0(VALU_DEP_3) | instskip(NEXT) | instid1(VALU_DEP_2)
	v_cmp_ne_u32_e32 vcc_lo, 0, v2
	v_sub_nc_u32_e32 v8, 0x3f1, v5
	v_add_nc_u32_e32 v5, 0xfffffc10, v5
	v_cndmask_b32_e64 v2, 0, 1, vcc_lo
	s_delay_alu instid0(VALU_DEP_1) | instskip(NEXT) | instid1(VALU_DEP_4)
	v_and_or_b32 v2, 0xffe, v3, v2
	v_med3_i32 v3, v8, 0, 13
	s_delay_alu instid0(VALU_DEP_2) | instskip(NEXT) | instid1(VALU_DEP_1)
	v_or_b32_e32 v8, 0x1000, v2
	v_lshrrev_b32_e32 v9, v3, v8
	s_delay_alu instid0(VALU_DEP_1) | instskip(NEXT) | instid1(VALU_DEP_1)
	v_lshlrev_b32_e32 v3, v3, v9
	v_cmp_ne_u32_e32 vcc_lo, v3, v8
	v_lshl_or_b32 v8, v5, 12, v2
	v_cndmask_b32_e64 v3, 0, 1, vcc_lo
	v_cmp_gt_i32_e32 vcc_lo, 1, v5
	s_delay_alu instid0(VALU_DEP_2) | instskip(NEXT) | instid1(VALU_DEP_1)
	v_or_b32_e32 v3, v9, v3
	v_cndmask_b32_e32 v3, v8, v3, vcc_lo
	s_delay_alu instid0(VALU_DEP_1) | instskip(NEXT) | instid1(VALU_DEP_1)
	v_dual_lshrrev_b32 v3, 2, v3 :: v_dual_bitop2_b32 v8, 7, v3 bitop3:0x40
	v_cmp_lt_i32_e32 vcc_lo, 5, v8
	v_cndmask_b32_e64 v9, 0, 1, vcc_lo
	v_cmp_eq_u32_e32 vcc_lo, 3, v8
	v_cndmask_b32_e64 v8, 0, 1, vcc_lo
	v_cmp_ne_u32_e32 vcc_lo, 0, v2
	s_delay_alu instid0(VALU_DEP_2) | instskip(SKIP_1) | instid1(VALU_DEP_1)
	v_or_b32_e32 v8, v8, v9
	v_mov_b32_e32 v9, 0x7e00
	v_dual_cndmask_b32 v2, 0x7c00, v9 :: v_dual_add_nc_u32 v3, v3, v8
	v_cmp_gt_i32_e32 vcc_lo, 31, v5
	s_delay_alu instid0(VALU_DEP_2) | instskip(SKIP_1) | instid1(VALU_DEP_2)
	v_dual_cndmask_b32 v3, 0x7c00, v3 :: v_dual_lshrrev_b32 v8, 16, v1
	v_cmp_eq_u32_e32 vcc_lo, 0x40f, v5
	v_cndmask_b32_e32 v2, v3, v2, vcc_lo
	s_delay_alu instid0(VALU_DEP_3) | instskip(NEXT) | instid1(VALU_DEP_1)
	v_and_b32_e32 v3, 0x8000, v8
	v_bitop3_b32 v2, v3, 0xffff, v2 bitop3:0xc8
	global_store_b32 v[6:7], v2, off
.LBB7_44:
	s_mov_b32 s28, 0
.LBB7_45:
	s_delay_alu instid0(SALU_CYCLE_1)
	s_and_not1_b32 vcc_lo, exec_lo, s28
	s_cbranch_vccnz .LBB7_54
; %bb.46:
	s_cmp_lt_i32 s27, 6
	s_mov_b32 s28, -1
	s_cbranch_scc1 .LBB7_52
; %bb.47:
	s_cmp_gt_i32 s27, 6
	s_cbranch_scc0 .LBB7_49
; %bb.48:
	s_mov_b32 s28, 0
	global_store_b64 v[6:7], v[0:1], off
.LBB7_49:
	s_and_not1_b32 vcc_lo, exec_lo, s28
	s_cbranch_vccnz .LBB7_51
; %bb.50:
	s_wait_xcnt 0x0
	v_cvt_f32_f64_e32 v2, v[0:1]
	global_store_b32 v[6:7], v2, off
.LBB7_51:
	s_mov_b32 s28, 0
.LBB7_52:
	s_delay_alu instid0(SALU_CYCLE_1)
	s_and_not1_b32 vcc_lo, exec_lo, s28
	s_cbranch_vccnz .LBB7_54
; %bb.53:
	s_wait_xcnt 0x0
	v_and_or_b32 v2, 0x1ff, v1, v0
	v_lshrrev_b32_e32 v3, 8, v1
	v_bfe_u32 v5, v1, 20, 11
	s_delay_alu instid0(VALU_DEP_3) | instskip(NEXT) | instid1(VALU_DEP_2)
	v_cmp_ne_u32_e32 vcc_lo, 0, v2
	v_sub_nc_u32_e32 v8, 0x3f1, v5
	v_add_nc_u32_e32 v5, 0xfffffc10, v5
	v_cndmask_b32_e64 v2, 0, 1, vcc_lo
	s_delay_alu instid0(VALU_DEP_1) | instskip(NEXT) | instid1(VALU_DEP_4)
	v_and_or_b32 v2, 0xffe, v3, v2
	v_med3_i32 v3, v8, 0, 13
	s_delay_alu instid0(VALU_DEP_2) | instskip(NEXT) | instid1(VALU_DEP_1)
	v_or_b32_e32 v8, 0x1000, v2
	v_lshrrev_b32_e32 v9, v3, v8
	s_delay_alu instid0(VALU_DEP_1) | instskip(NEXT) | instid1(VALU_DEP_1)
	v_lshlrev_b32_e32 v3, v3, v9
	v_cmp_ne_u32_e32 vcc_lo, v3, v8
	v_lshl_or_b32 v8, v5, 12, v2
	v_cndmask_b32_e64 v3, 0, 1, vcc_lo
	v_cmp_gt_i32_e32 vcc_lo, 1, v5
	s_delay_alu instid0(VALU_DEP_2) | instskip(NEXT) | instid1(VALU_DEP_1)
	v_or_b32_e32 v3, v9, v3
	v_cndmask_b32_e32 v3, v8, v3, vcc_lo
	s_delay_alu instid0(VALU_DEP_1) | instskip(NEXT) | instid1(VALU_DEP_1)
	v_dual_lshrrev_b32 v3, 2, v3 :: v_dual_bitop2_b32 v8, 7, v3 bitop3:0x40
	v_cmp_lt_i32_e32 vcc_lo, 5, v8
	v_cndmask_b32_e64 v9, 0, 1, vcc_lo
	v_cmp_eq_u32_e32 vcc_lo, 3, v8
	v_cndmask_b32_e64 v8, 0, 1, vcc_lo
	v_cmp_ne_u32_e32 vcc_lo, 0, v2
	s_delay_alu instid0(VALU_DEP_2) | instskip(SKIP_1) | instid1(VALU_DEP_1)
	v_or_b32_e32 v8, v8, v9
	v_mov_b32_e32 v9, 0x7e00
	v_dual_cndmask_b32 v2, 0x7c00, v9 :: v_dual_add_nc_u32 v3, v3, v8
	v_cmp_gt_i32_e32 vcc_lo, 31, v5
	s_delay_alu instid0(VALU_DEP_2) | instskip(SKIP_1) | instid1(VALU_DEP_2)
	v_cndmask_b32_e32 v3, 0x7c00, v3, vcc_lo
	v_cmp_eq_u32_e32 vcc_lo, 0x40f, v5
	v_dual_cndmask_b32 v2, v3, v2 :: v_dual_lshrrev_b32 v3, 16, v1
	s_delay_alu instid0(VALU_DEP_1)
	v_and_or_b32 v2, 0x8000, v3, v2
	global_store_b16 v[6:7], v2, off
.LBB7_54:
	s_mov_b32 s28, 0
.LBB7_55:
	s_delay_alu instid0(SALU_CYCLE_1)
	s_and_not1_b32 vcc_lo, exec_lo, s28
	s_cbranch_vccnz .LBB7_71
; %bb.56:
	s_cmp_lt_i32 s27, 2
	s_mov_b32 s28, -1
	s_cbranch_scc1 .LBB7_66
; %bb.57:
	s_cmp_lt_i32 s27, 3
	s_cbranch_scc1 .LBB7_63
; %bb.58:
	s_cmp_gt_i32 s27, 3
	s_cbranch_scc0 .LBB7_60
; %bb.59:
	s_wait_xcnt 0x0
	v_trunc_f64_e32 v[2:3], v[0:1]
	s_mov_b32 s28, 0
	s_delay_alu instid0(VALU_DEP_1) | instskip(NEXT) | instid1(VALU_DEP_1)
	v_ldexp_f64 v[8:9], v[2:3], 0xffffffe0
	v_floor_f64_e32 v[8:9], v[8:9]
	s_delay_alu instid0(VALU_DEP_1) | instskip(SKIP_1) | instid1(VALU_DEP_2)
	v_fmamk_f64 v[2:3], v[8:9], 0xc1f00000, v[2:3]
	v_cvt_i32_f64_e32 v9, v[8:9]
	v_cvt_u32_f64_e32 v8, v[2:3]
	global_store_b64 v[6:7], v[8:9], off
.LBB7_60:
	s_and_not1_b32 vcc_lo, exec_lo, s28
	s_cbranch_vccnz .LBB7_62
; %bb.61:
	s_wait_xcnt 0x0
	v_cvt_i32_f64_e32 v2, v[0:1]
	global_store_b32 v[6:7], v2, off
.LBB7_62:
	s_mov_b32 s28, 0
.LBB7_63:
	s_delay_alu instid0(SALU_CYCLE_1)
	s_and_not1_b32 vcc_lo, exec_lo, s28
	s_cbranch_vccnz .LBB7_65
; %bb.64:
	s_wait_xcnt 0x0
	v_cvt_i32_f64_e32 v2, v[0:1]
	global_store_b16 v[6:7], v2, off
.LBB7_65:
	s_mov_b32 s28, 0
.LBB7_66:
	s_delay_alu instid0(SALU_CYCLE_1)
	s_and_not1_b32 vcc_lo, exec_lo, s28
	s_cbranch_vccnz .LBB7_71
; %bb.67:
	s_cmp_gt_i32 s27, 0
	s_mov_b32 s27, -1
	s_cbranch_scc0 .LBB7_69
; %bb.68:
	s_wait_xcnt 0x0
	v_cvt_i32_f64_e32 v2, v[0:1]
	s_mov_b32 s27, 0
	global_store_b8 v[6:7], v2, off
.LBB7_69:
	s_and_not1_b32 vcc_lo, exec_lo, s27
	s_cbranch_vccnz .LBB7_71
; %bb.70:
	s_wait_xcnt 0x0
	v_trunc_f64_e32 v[0:1], v[0:1]
	s_delay_alu instid0(VALU_DEP_1) | instskip(NEXT) | instid1(VALU_DEP_1)
	v_ldexp_f64 v[2:3], v[0:1], 0xffffffe0
	v_floor_f64_e32 v[2:3], v[2:3]
	s_delay_alu instid0(VALU_DEP_1) | instskip(NEXT) | instid1(VALU_DEP_1)
	v_fmamk_f64 v[0:1], v[2:3], 0xc1f00000, v[0:1]
	v_cvt_u32_f64_e32 v0, v[0:1]
	global_store_b8 v[6:7], v0, off
.LBB7_71:
	s_branch .LBB7_155
.LBB7_72:
	s_mov_b32 s26, 0
	s_mov_b32 s27, 0
                                        ; implicit-def: $vgpr8_vgpr9
	s_cbranch_execnz .LBB7_182
	s_branch .LBB7_216
.LBB7_73:
	s_mov_b32 s28, -1
	s_mov_b32 s26, 0
	s_mov_b32 s27, 0
                                        ; implicit-def: $vgpr8_vgpr9
	s_branch .LBB7_163
.LBB7_74:
	s_mov_b32 s30, -1
	s_branch .LBB7_112
.LBB7_75:
	s_mov_b32 s28, -1
	s_mov_b32 s26, 0
	s_mov_b32 s27, 0
                                        ; implicit-def: $vgpr8_vgpr9
	s_branch .LBB7_158
.LBB7_76:
	s_mov_b32 s30, -1
	s_branch .LBB7_95
.LBB7_77:
	s_mov_b32 s28, -1
	s_mov_b32 s26, 0
	s_branch .LBB7_80
.LBB7_78:
	s_mov_b32 s30, -1
	s_branch .LBB7_91
.LBB7_79:
	s_mov_b32 s26, -1
.LBB7_80:
	s_mov_b32 s27, 0
                                        ; implicit-def: $vgpr8_vgpr9
.LBB7_81:
	s_and_b32 vcc_lo, exec_lo, s28
	s_cbranch_vccz .LBB7_157
; %bb.82:
	s_cmp_eq_u32 s0, 44
	s_cbranch_scc0 .LBB7_156
; %bb.83:
	global_load_u8 v1, v[2:3], off
	s_mov_b32 s26, 0
	s_mov_b32 s27, -1
	s_wait_loadcnt 0x0
	v_cmp_ne_u32_e32 vcc_lo, 0xff, v1
	v_lshlrev_b32_e32 v5, 23, v1
	s_delay_alu instid0(VALU_DEP_1) | instskip(NEXT) | instid1(VALU_DEP_1)
	v_cvt_f64_f32_e32 v[6:7], v5
	v_cndmask_b32_e32 v5, 0x20000000, v6, vcc_lo
	s_delay_alu instid0(VALU_DEP_2) | instskip(SKIP_1) | instid1(VALU_DEP_2)
	v_cndmask_b32_e32 v6, 0x7ff80000, v7, vcc_lo
	v_cmp_ne_u32_e32 vcc_lo, 0, v1
	v_cndmask_b32_e32 v9, 0x38000000, v6, vcc_lo
	s_delay_alu instid0(VALU_DEP_4)
	v_cndmask_b32_e32 v8, 0, v5, vcc_lo
	s_branch .LBB7_157
.LBB7_84:
	s_mov_b32 s30, -1
.LBB7_85:
	s_delay_alu instid0(SALU_CYCLE_1)
	s_and_b32 vcc_lo, exec_lo, s30
	s_cbranch_vccz .LBB7_90
; %bb.86:
	s_cmp_eq_u32 s28, 44
	s_mov_b32 s0, -1
	s_cbranch_scc0 .LBB7_90
; %bb.87:
	s_wait_xcnt 0x0
	v_cvt_f32_f64_e32 v2, v[0:1]
	v_mov_b32_e32 v3, 0xff
	s_mov_b32 s29, exec_lo
	s_delay_alu instid0(VALU_DEP_2) | instskip(NEXT) | instid1(VALU_DEP_1)
	v_bfe_u32 v5, v2, 23, 8
	v_cmpx_ne_u32_e32 0xff, v5
	s_cbranch_execz .LBB7_89
; %bb.88:
	v_and_b32_e32 v3, 0x400000, v2
	v_and_or_b32 v5, 0x3fffff, v2, v5
	v_lshrrev_b32_e32 v2, 23, v2
	s_delay_alu instid0(VALU_DEP_3) | instskip(NEXT) | instid1(VALU_DEP_3)
	v_cmp_ne_u32_e32 vcc_lo, 0, v3
	v_cmp_ne_u32_e64 s0, 0, v5
	s_and_b32 s0, vcc_lo, s0
	s_delay_alu instid0(SALU_CYCLE_1) | instskip(NEXT) | instid1(VALU_DEP_1)
	v_cndmask_b32_e64 v3, 0, 1, s0
	v_add_nc_u32_e32 v3, v2, v3
.LBB7_89:
	s_or_b32 exec_lo, exec_lo, s29
	s_mov_b32 s29, -1
	s_mov_b32 s0, 0
	global_store_b8 v[6:7], v3, off
.LBB7_90:
	s_mov_b32 s30, 0
.LBB7_91:
	s_delay_alu instid0(SALU_CYCLE_1)
	s_and_b32 vcc_lo, exec_lo, s30
	s_cbranch_vccz .LBB7_94
; %bb.92:
	s_cmp_eq_u32 s28, 29
	s_mov_b32 s0, -1
	s_cbranch_scc0 .LBB7_94
; %bb.93:
	s_wait_xcnt 0x0
	v_trunc_f64_e32 v[2:3], v[0:1]
	s_mov_b32 s29, -1
	s_mov_b32 s0, 0
	s_mov_b32 s30, 0
	s_delay_alu instid0(VALU_DEP_1) | instskip(NEXT) | instid1(VALU_DEP_1)
	v_ldexp_f64 v[8:9], v[2:3], 0xffffffe0
	v_floor_f64_e32 v[8:9], v[8:9]
	s_delay_alu instid0(VALU_DEP_1) | instskip(SKIP_1) | instid1(VALU_DEP_2)
	v_fmamk_f64 v[2:3], v[8:9], 0xc1f00000, v[2:3]
	v_cvt_u32_f64_e32 v9, v[8:9]
	v_cvt_u32_f64_e32 v8, v[2:3]
	global_store_b64 v[6:7], v[8:9], off
	s_branch .LBB7_95
.LBB7_94:
	s_mov_b32 s30, 0
.LBB7_95:
	s_delay_alu instid0(SALU_CYCLE_1)
	s_and_b32 vcc_lo, exec_lo, s30
	s_cbranch_vccz .LBB7_111
; %bb.96:
	s_cmp_lt_i32 s28, 27
	s_mov_b32 s29, -1
	s_cbranch_scc1 .LBB7_102
; %bb.97:
	s_wait_xcnt 0x0
	v_cvt_u32_f64_e32 v2, v[0:1]
	s_cmp_gt_i32 s28, 27
	s_cbranch_scc0 .LBB7_99
; %bb.98:
	s_mov_b32 s29, 0
	global_store_b32 v[6:7], v2, off
.LBB7_99:
	s_and_not1_b32 vcc_lo, exec_lo, s29
	s_cbranch_vccnz .LBB7_101
; %bb.100:
	global_store_b16 v[6:7], v2, off
.LBB7_101:
	s_mov_b32 s29, 0
.LBB7_102:
	s_delay_alu instid0(SALU_CYCLE_1)
	s_and_not1_b32 vcc_lo, exec_lo, s29
	s_cbranch_vccnz .LBB7_110
; %bb.103:
	s_wait_xcnt 0x0
	v_cvt_f32_f64_e32 v2, v[0:1]
	v_mov_b32_e32 v5, 0x80
	s_mov_b32 s29, exec_lo
	s_delay_alu instid0(VALU_DEP_2) | instskip(NEXT) | instid1(VALU_DEP_1)
	v_and_b32_e32 v3, 0x7fffffff, v2
	v_cmpx_gt_u32_e32 0x43800000, v3
	s_cbranch_execz .LBB7_109
; %bb.104:
	v_cmp_lt_u32_e32 vcc_lo, 0x3bffffff, v3
	s_mov_b32 s30, 0
                                        ; implicit-def: $vgpr3
	s_and_saveexec_b32 s31, vcc_lo
	s_delay_alu instid0(SALU_CYCLE_1)
	s_xor_b32 s31, exec_lo, s31
	s_cbranch_execz .LBB7_349
; %bb.105:
	v_bfe_u32 v3, v2, 20, 1
	s_mov_b32 s30, exec_lo
	s_delay_alu instid0(VALU_DEP_1) | instskip(NEXT) | instid1(VALU_DEP_1)
	v_add3_u32 v3, v2, v3, 0x487ffff
	v_lshrrev_b32_e32 v3, 20, v3
	s_and_not1_saveexec_b32 s31, s31
	s_cbranch_execnz .LBB7_350
.LBB7_106:
	s_or_b32 exec_lo, exec_lo, s31
	v_mov_b32_e32 v5, 0
	s_and_saveexec_b32 s31, s30
.LBB7_107:
	v_lshrrev_b32_e32 v2, 24, v2
	s_delay_alu instid0(VALU_DEP_1)
	v_and_or_b32 v5, 0x80, v2, v3
.LBB7_108:
	s_or_b32 exec_lo, exec_lo, s31
.LBB7_109:
	s_delay_alu instid0(SALU_CYCLE_1)
	s_or_b32 exec_lo, exec_lo, s29
	global_store_b8 v[6:7], v5, off
.LBB7_110:
	s_mov_b32 s29, -1
.LBB7_111:
	s_mov_b32 s30, 0
.LBB7_112:
	s_delay_alu instid0(SALU_CYCLE_1)
	s_and_b32 vcc_lo, exec_lo, s30
	s_cbranch_vccz .LBB7_153
; %bb.113:
	s_cmp_gt_i32 s28, 22
	s_mov_b32 s30, -1
	s_cbranch_scc0 .LBB7_145
; %bb.114:
	s_cmp_lt_i32 s28, 24
	s_mov_b32 s29, -1
	s_cbranch_scc1 .LBB7_134
; %bb.115:
	s_cmp_gt_i32 s28, 24
	s_cbranch_scc0 .LBB7_123
; %bb.116:
	s_wait_xcnt 0x0
	v_cvt_f32_f64_e32 v2, v[0:1]
	v_mov_b32_e32 v5, 0x80
	s_mov_b32 s29, exec_lo
	s_delay_alu instid0(VALU_DEP_2) | instskip(NEXT) | instid1(VALU_DEP_1)
	v_and_b32_e32 v3, 0x7fffffff, v2
	v_cmpx_gt_u32_e32 0x47800000, v3
	s_cbranch_execz .LBB7_122
; %bb.117:
	v_cmp_lt_u32_e32 vcc_lo, 0x37ffffff, v3
	s_mov_b32 s30, 0
                                        ; implicit-def: $vgpr3
	s_and_saveexec_b32 s31, vcc_lo
	s_delay_alu instid0(SALU_CYCLE_1)
	s_xor_b32 s31, exec_lo, s31
	s_cbranch_execz .LBB7_353
; %bb.118:
	v_bfe_u32 v3, v2, 21, 1
	s_mov_b32 s30, exec_lo
	s_delay_alu instid0(VALU_DEP_1) | instskip(NEXT) | instid1(VALU_DEP_1)
	v_add3_u32 v3, v2, v3, 0x88fffff
	v_lshrrev_b32_e32 v3, 21, v3
	s_and_not1_saveexec_b32 s31, s31
	s_cbranch_execnz .LBB7_354
.LBB7_119:
	s_or_b32 exec_lo, exec_lo, s31
	v_mov_b32_e32 v5, 0
	s_and_saveexec_b32 s31, s30
.LBB7_120:
	v_lshrrev_b32_e32 v2, 24, v2
	s_delay_alu instid0(VALU_DEP_1)
	v_and_or_b32 v5, 0x80, v2, v3
.LBB7_121:
	s_or_b32 exec_lo, exec_lo, s31
.LBB7_122:
	s_delay_alu instid0(SALU_CYCLE_1)
	s_or_b32 exec_lo, exec_lo, s29
	s_mov_b32 s29, 0
	global_store_b8 v[6:7], v5, off
.LBB7_123:
	s_and_b32 vcc_lo, exec_lo, s29
	s_cbranch_vccz .LBB7_133
; %bb.124:
	s_wait_xcnt 0x0
	v_cvt_f32_f64_e32 v2, v[0:1]
	s_mov_b32 s29, exec_lo
                                        ; implicit-def: $vgpr3
	s_delay_alu instid0(VALU_DEP_1) | instskip(NEXT) | instid1(VALU_DEP_1)
	v_and_b32_e32 v5, 0x7fffffff, v2
	v_cmpx_gt_u32_e32 0x43f00000, v5
	s_xor_b32 s29, exec_lo, s29
	s_cbranch_execz .LBB7_130
; %bb.125:
	s_mov_b32 s30, exec_lo
                                        ; implicit-def: $vgpr3
	v_cmpx_lt_u32_e32 0x3c7fffff, v5
	s_xor_b32 s30, exec_lo, s30
; %bb.126:
	v_bfe_u32 v3, v2, 20, 1
	s_delay_alu instid0(VALU_DEP_1) | instskip(NEXT) | instid1(VALU_DEP_1)
	v_add3_u32 v3, v2, v3, 0x407ffff
	v_and_b32_e32 v5, 0xff00000, v3
	v_lshrrev_b32_e32 v3, 20, v3
	s_delay_alu instid0(VALU_DEP_2) | instskip(NEXT) | instid1(VALU_DEP_2)
	v_cmp_ne_u32_e32 vcc_lo, 0x7f00000, v5
	v_cndmask_b32_e32 v3, 0x7e, v3, vcc_lo
; %bb.127:
	s_and_not1_saveexec_b32 s30, s30
; %bb.128:
	v_add_f32_e64 v3, 0x46800000, |v2|
; %bb.129:
	s_or_b32 exec_lo, exec_lo, s30
                                        ; implicit-def: $vgpr5
.LBB7_130:
	s_and_not1_saveexec_b32 s29, s29
; %bb.131:
	v_mov_b32_e32 v3, 0x7f
	v_cmp_lt_u32_e32 vcc_lo, 0x7f800000, v5
	s_delay_alu instid0(VALU_DEP_2)
	v_cndmask_b32_e32 v3, 0x7e, v3, vcc_lo
; %bb.132:
	s_or_b32 exec_lo, exec_lo, s29
	v_lshrrev_b32_e32 v2, 24, v2
	s_delay_alu instid0(VALU_DEP_1)
	v_and_or_b32 v2, 0x80, v2, v3
	global_store_b8 v[6:7], v2, off
.LBB7_133:
	s_mov_b32 s29, 0
.LBB7_134:
	s_delay_alu instid0(SALU_CYCLE_1)
	s_and_not1_b32 vcc_lo, exec_lo, s29
	s_cbranch_vccnz .LBB7_144
; %bb.135:
	s_wait_xcnt 0x0
	v_cvt_f32_f64_e32 v2, v[0:1]
	s_mov_b32 s29, exec_lo
                                        ; implicit-def: $vgpr3
	s_delay_alu instid0(VALU_DEP_1) | instskip(NEXT) | instid1(VALU_DEP_1)
	v_and_b32_e32 v5, 0x7fffffff, v2
	v_cmpx_gt_u32_e32 0x47800000, v5
	s_xor_b32 s29, exec_lo, s29
	s_cbranch_execz .LBB7_141
; %bb.136:
	s_mov_b32 s30, exec_lo
                                        ; implicit-def: $vgpr3
	v_cmpx_lt_u32_e32 0x387fffff, v5
	s_xor_b32 s30, exec_lo, s30
; %bb.137:
	v_bfe_u32 v3, v2, 21, 1
	s_delay_alu instid0(VALU_DEP_1) | instskip(NEXT) | instid1(VALU_DEP_1)
	v_add3_u32 v3, v2, v3, 0x80fffff
	v_lshrrev_b32_e32 v3, 21, v3
; %bb.138:
	s_and_not1_saveexec_b32 s30, s30
; %bb.139:
	v_add_f32_e64 v3, 0x43000000, |v2|
; %bb.140:
	s_or_b32 exec_lo, exec_lo, s30
                                        ; implicit-def: $vgpr5
.LBB7_141:
	s_and_not1_saveexec_b32 s29, s29
; %bb.142:
	v_mov_b32_e32 v3, 0x7f
	v_cmp_lt_u32_e32 vcc_lo, 0x7f800000, v5
	s_delay_alu instid0(VALU_DEP_2)
	v_cndmask_b32_e32 v3, 0x7c, v3, vcc_lo
; %bb.143:
	s_or_b32 exec_lo, exec_lo, s29
	v_lshrrev_b32_e32 v2, 24, v2
	s_delay_alu instid0(VALU_DEP_1)
	v_and_or_b32 v2, 0x80, v2, v3
	global_store_b8 v[6:7], v2, off
.LBB7_144:
	s_mov_b32 s30, 0
	s_mov_b32 s29, -1
.LBB7_145:
	s_and_not1_b32 vcc_lo, exec_lo, s30
	s_cbranch_vccnz .LBB7_153
; %bb.146:
	s_cmp_gt_i32 s28, 14
	s_mov_b32 s30, -1
	s_cbranch_scc0 .LBB7_150
; %bb.147:
	s_cmp_eq_u32 s28, 15
	s_mov_b32 s0, -1
	s_cbranch_scc0 .LBB7_149
; %bb.148:
	s_wait_xcnt 0x0
	v_cvt_f32_f64_e32 v2, v[0:1]
	s_mov_b32 s29, -1
	s_mov_b32 s0, 0
	s_delay_alu instid0(VALU_DEP_1) | instskip(SKIP_1) | instid1(VALU_DEP_2)
	v_bfe_u32 v3, v2, 16, 1
	v_cmp_o_f32_e32 vcc_lo, v2, v2
	v_add3_u32 v3, v2, v3, 0x7fff
	s_delay_alu instid0(VALU_DEP_1) | instskip(NEXT) | instid1(VALU_DEP_1)
	v_lshrrev_b32_e32 v3, 16, v3
	v_cndmask_b32_e32 v2, 0x7fc0, v3, vcc_lo
	global_store_b16 v[6:7], v2, off
.LBB7_149:
	s_mov_b32 s30, 0
.LBB7_150:
	s_delay_alu instid0(SALU_CYCLE_1)
	s_and_b32 vcc_lo, exec_lo, s30
	s_cbranch_vccz .LBB7_153
; %bb.151:
	s_cmp_eq_u32 s28, 11
	s_mov_b32 s0, -1
	s_cbranch_scc0 .LBB7_153
; %bb.152:
	v_cmp_neq_f64_e32 vcc_lo, 0, v[0:1]
	s_mov_b32 s29, -1
	s_mov_b32 s0, 0
	s_wait_xcnt 0x0
	v_cndmask_b32_e64 v2, 0, 1, vcc_lo
	global_store_b8 v[6:7], v2, off
.LBB7_153:
.LBB7_154:
	s_and_not1_b32 vcc_lo, exec_lo, s29
	s_cbranch_vccnz .LBB7_265
.LBB7_155:
	v_add_nc_u32_e32 v4, 0x80, v4
	s_mov_b32 s27, -1
	s_branch .LBB7_266
.LBB7_156:
	s_mov_b32 s26, -1
                                        ; implicit-def: $vgpr8_vgpr9
.LBB7_157:
	s_mov_b32 s28, 0
.LBB7_158:
	s_delay_alu instid0(SALU_CYCLE_1)
	s_and_b32 vcc_lo, exec_lo, s28
	s_cbranch_vccz .LBB7_162
; %bb.159:
	s_cmp_eq_u32 s0, 29
	s_cbranch_scc0 .LBB7_161
; %bb.160:
	global_load_b64 v[6:7], v[2:3], off
	s_mov_b32 s27, -1
	s_mov_b32 s26, 0
	s_mov_b32 s28, 0
	s_wait_loadcnt 0x0
	v_cvt_f64_u32_e32 v[8:9], v7
	v_cvt_f64_u32_e32 v[6:7], v6
	s_delay_alu instid0(VALU_DEP_2) | instskip(NEXT) | instid1(VALU_DEP_1)
	v_ldexp_f64 v[8:9], v[8:9], 32
	v_add_f64_e32 v[8:9], v[8:9], v[6:7]
	s_branch .LBB7_163
.LBB7_161:
	s_mov_b32 s26, -1
                                        ; implicit-def: $vgpr8_vgpr9
.LBB7_162:
	s_mov_b32 s28, 0
.LBB7_163:
	s_delay_alu instid0(SALU_CYCLE_1)
	s_and_b32 vcc_lo, exec_lo, s28
	s_cbranch_vccz .LBB7_181
; %bb.164:
	s_cmp_lt_i32 s0, 27
	s_cbranch_scc1 .LBB7_167
; %bb.165:
	s_cmp_gt_i32 s0, 27
	s_cbranch_scc0 .LBB7_168
; %bb.166:
	global_load_b32 v1, v[2:3], off
	s_mov_b32 s27, 0
	s_wait_loadcnt 0x0
	v_cvt_f64_u32_e32 v[8:9], v1
	s_branch .LBB7_169
.LBB7_167:
	s_mov_b32 s27, -1
                                        ; implicit-def: $vgpr8_vgpr9
	s_branch .LBB7_172
.LBB7_168:
	s_mov_b32 s27, -1
                                        ; implicit-def: $vgpr8_vgpr9
.LBB7_169:
	s_delay_alu instid0(SALU_CYCLE_1)
	s_and_not1_b32 vcc_lo, exec_lo, s27
	s_cbranch_vccnz .LBB7_171
; %bb.170:
	global_load_u16 v1, v[2:3], off
	s_wait_loadcnt 0x0
	v_cvt_f64_u32_e32 v[8:9], v1
.LBB7_171:
	s_mov_b32 s27, 0
.LBB7_172:
	s_delay_alu instid0(SALU_CYCLE_1)
	s_and_not1_b32 vcc_lo, exec_lo, s27
	s_cbranch_vccnz .LBB7_180
; %bb.173:
	global_load_u8 v1, v[2:3], off
	s_mov_b32 s27, 0
	s_mov_b32 s28, exec_lo
	s_wait_loadcnt 0x0
	v_cmpx_lt_i16_e32 0x7f, v1
	s_xor_b32 s28, exec_lo, s28
	s_cbranch_execz .LBB7_193
; %bb.174:
	s_mov_b32 s27, -1
	s_mov_b32 s29, exec_lo
	v_cmpx_eq_u16_e32 0x80, v1
; %bb.175:
	s_xor_b32 s27, exec_lo, -1
; %bb.176:
	s_or_b32 exec_lo, exec_lo, s29
	s_delay_alu instid0(SALU_CYCLE_1)
	s_and_b32 s27, s27, exec_lo
	s_or_saveexec_b32 s28, s28
	v_mov_b64_e32 v[8:9], 0x7ff8000020000000
	s_xor_b32 exec_lo, exec_lo, s28
	s_cbranch_execnz .LBB7_194
.LBB7_177:
	s_or_b32 exec_lo, exec_lo, s28
	s_and_saveexec_b32 s28, s27
	s_cbranch_execz .LBB7_179
.LBB7_178:
	v_and_b32_e32 v5, 0xffff, v1
	s_delay_alu instid0(VALU_DEP_1) | instskip(SKIP_1) | instid1(VALU_DEP_2)
	v_and_b32_e32 v6, 7, v5
	v_bfe_u32 v9, v5, 3, 4
	v_clz_i32_u32_e32 v7, v6
	s_delay_alu instid0(VALU_DEP_2) | instskip(NEXT) | instid1(VALU_DEP_2)
	v_cmp_eq_u32_e32 vcc_lo, 0, v9
	v_min_u32_e32 v7, 32, v7
	s_delay_alu instid0(VALU_DEP_1) | instskip(NEXT) | instid1(VALU_DEP_1)
	v_subrev_nc_u32_e32 v8, 28, v7
	v_dual_lshlrev_b32 v5, v8, v5 :: v_dual_sub_nc_u32 v7, 29, v7
	s_delay_alu instid0(VALU_DEP_1) | instskip(NEXT) | instid1(VALU_DEP_2)
	v_and_b32_e32 v5, 7, v5
	v_dual_lshlrev_b32 v1, 24, v1 :: v_dual_cndmask_b32 v7, v9, v7, vcc_lo
	s_delay_alu instid0(VALU_DEP_2) | instskip(NEXT) | instid1(VALU_DEP_2)
	v_cndmask_b32_e32 v5, v6, v5, vcc_lo
	v_and_b32_e32 v1, 0x80000000, v1
	s_delay_alu instid0(VALU_DEP_3) | instskip(NEXT) | instid1(VALU_DEP_3)
	v_lshl_add_u32 v6, v7, 23, 0x3b800000
	v_lshlrev_b32_e32 v5, 20, v5
	s_delay_alu instid0(VALU_DEP_1) | instskip(NEXT) | instid1(VALU_DEP_1)
	v_or3_b32 v1, v1, v6, v5
	v_cvt_f64_f32_e32 v[8:9], v1
.LBB7_179:
	s_or_b32 exec_lo, exec_lo, s28
.LBB7_180:
	s_mov_b32 s27, -1
.LBB7_181:
	s_branch .LBB7_216
.LBB7_182:
	s_cmp_gt_i32 s0, 22
	s_cbranch_scc0 .LBB7_192
; %bb.183:
	s_cmp_lt_i32 s0, 24
	s_cbranch_scc1 .LBB7_195
; %bb.184:
	s_cmp_gt_i32 s0, 24
	s_cbranch_scc0 .LBB7_196
; %bb.185:
	global_load_u8 v1, v[2:3], off
	s_mov_b32 s27, 0
	s_mov_b32 s28, exec_lo
	s_wait_loadcnt 0x0
	v_cmpx_lt_i16_e32 0x7f, v1
	s_xor_b32 s28, exec_lo, s28
	s_cbranch_execz .LBB7_208
; %bb.186:
	s_mov_b32 s27, -1
	s_mov_b32 s29, exec_lo
	v_cmpx_eq_u16_e32 0x80, v1
; %bb.187:
	s_xor_b32 s27, exec_lo, -1
; %bb.188:
	s_or_b32 exec_lo, exec_lo, s29
	s_delay_alu instid0(SALU_CYCLE_1)
	s_and_b32 s27, s27, exec_lo
	s_or_saveexec_b32 s28, s28
	v_mov_b64_e32 v[8:9], 0x7ff8000020000000
	s_xor_b32 exec_lo, exec_lo, s28
	s_cbranch_execnz .LBB7_209
.LBB7_189:
	s_or_b32 exec_lo, exec_lo, s28
	s_and_saveexec_b32 s28, s27
	s_cbranch_execz .LBB7_191
.LBB7_190:
	v_and_b32_e32 v5, 0xffff, v1
	s_delay_alu instid0(VALU_DEP_1) | instskip(SKIP_1) | instid1(VALU_DEP_2)
	v_and_b32_e32 v6, 3, v5
	v_bfe_u32 v9, v5, 2, 5
	v_clz_i32_u32_e32 v7, v6
	s_delay_alu instid0(VALU_DEP_2) | instskip(NEXT) | instid1(VALU_DEP_2)
	v_cmp_eq_u32_e32 vcc_lo, 0, v9
	v_min_u32_e32 v7, 32, v7
	s_delay_alu instid0(VALU_DEP_1) | instskip(NEXT) | instid1(VALU_DEP_1)
	v_subrev_nc_u32_e32 v8, 29, v7
	v_dual_lshlrev_b32 v5, v8, v5 :: v_dual_sub_nc_u32 v7, 30, v7
	s_delay_alu instid0(VALU_DEP_1) | instskip(NEXT) | instid1(VALU_DEP_2)
	v_and_b32_e32 v5, 3, v5
	v_dual_lshlrev_b32 v1, 24, v1 :: v_dual_cndmask_b32 v7, v9, v7, vcc_lo
	s_delay_alu instid0(VALU_DEP_2) | instskip(NEXT) | instid1(VALU_DEP_2)
	v_cndmask_b32_e32 v5, v6, v5, vcc_lo
	v_and_b32_e32 v1, 0x80000000, v1
	s_delay_alu instid0(VALU_DEP_3) | instskip(NEXT) | instid1(VALU_DEP_3)
	v_lshl_add_u32 v6, v7, 23, 0x37800000
	v_lshlrev_b32_e32 v5, 21, v5
	s_delay_alu instid0(VALU_DEP_1) | instskip(NEXT) | instid1(VALU_DEP_1)
	v_or3_b32 v1, v1, v6, v5
	v_cvt_f64_f32_e32 v[8:9], v1
.LBB7_191:
	s_or_b32 exec_lo, exec_lo, s28
	s_mov_b32 s27, 0
	s_branch .LBB7_197
.LBB7_192:
	s_mov_b32 s28, -1
                                        ; implicit-def: $vgpr8_vgpr9
	s_branch .LBB7_203
.LBB7_193:
	s_or_saveexec_b32 s28, s28
	v_mov_b64_e32 v[8:9], 0x7ff8000020000000
	s_xor_b32 exec_lo, exec_lo, s28
	s_cbranch_execz .LBB7_177
.LBB7_194:
	v_cmp_ne_u16_e32 vcc_lo, 0, v1
	v_mov_b64_e32 v[8:9], 0
	s_and_not1_b32 s27, s27, exec_lo
	s_and_b32 s29, vcc_lo, exec_lo
	s_delay_alu instid0(SALU_CYCLE_1)
	s_or_b32 s27, s27, s29
	s_or_b32 exec_lo, exec_lo, s28
	s_and_saveexec_b32 s28, s27
	s_cbranch_execnz .LBB7_178
	s_branch .LBB7_179
.LBB7_195:
	s_mov_b32 s27, -1
                                        ; implicit-def: $vgpr8_vgpr9
	s_branch .LBB7_200
.LBB7_196:
	s_mov_b32 s27, -1
                                        ; implicit-def: $vgpr8_vgpr9
.LBB7_197:
	s_delay_alu instid0(SALU_CYCLE_1)
	s_and_b32 vcc_lo, exec_lo, s27
	s_cbranch_vccz .LBB7_199
; %bb.198:
	global_load_u8 v1, v[2:3], off
	s_wait_loadcnt 0x0
	v_lshlrev_b32_e32 v1, 24, v1
	s_delay_alu instid0(VALU_DEP_1) | instskip(NEXT) | instid1(VALU_DEP_1)
	v_and_b32_e32 v5, 0x7f000000, v1
	v_clz_i32_u32_e32 v6, v5
	v_cmp_ne_u32_e32 vcc_lo, 0, v5
	v_add_nc_u32_e32 v8, 0x1000000, v5
	s_delay_alu instid0(VALU_DEP_3) | instskip(NEXT) | instid1(VALU_DEP_1)
	v_min_u32_e32 v6, 32, v6
	v_sub_nc_u32_e64 v6, v6, 4 clamp
	s_delay_alu instid0(VALU_DEP_1) | instskip(NEXT) | instid1(VALU_DEP_1)
	v_dual_lshlrev_b32 v7, v6, v5 :: v_dual_lshlrev_b32 v6, 23, v6
	v_lshrrev_b32_e32 v7, 4, v7
	s_delay_alu instid0(VALU_DEP_1) | instskip(NEXT) | instid1(VALU_DEP_1)
	v_dual_sub_nc_u32 v6, v7, v6 :: v_dual_ashrrev_i32 v7, 8, v8
	v_add_nc_u32_e32 v6, 0x3c000000, v6
	s_delay_alu instid0(VALU_DEP_1) | instskip(NEXT) | instid1(VALU_DEP_1)
	v_and_or_b32 v6, 0x7f800000, v7, v6
	v_cndmask_b32_e32 v5, 0, v6, vcc_lo
	s_delay_alu instid0(VALU_DEP_1) | instskip(NEXT) | instid1(VALU_DEP_1)
	v_and_or_b32 v1, 0x80000000, v1, v5
	v_cvt_f64_f32_e32 v[8:9], v1
.LBB7_199:
	s_mov_b32 s27, 0
.LBB7_200:
	s_delay_alu instid0(SALU_CYCLE_1)
	s_and_not1_b32 vcc_lo, exec_lo, s27
	s_cbranch_vccnz .LBB7_202
; %bb.201:
	global_load_u8 v1, v[2:3], off
	s_wait_loadcnt 0x0
	v_lshlrev_b32_e32 v5, 25, v1
	v_lshlrev_b16 v1, 8, v1
	s_delay_alu instid0(VALU_DEP_1) | instskip(SKIP_1) | instid1(VALU_DEP_2)
	v_and_or_b32 v7, 0x7f00, v1, 0.5
	v_bfe_i32 v1, v1, 0, 16
	v_dual_add_f32 v7, -0.5, v7 :: v_dual_lshrrev_b32 v6, 4, v5
	v_cmp_gt_u32_e32 vcc_lo, 0x8000000, v5
	s_delay_alu instid0(VALU_DEP_2) | instskip(NEXT) | instid1(VALU_DEP_1)
	v_or_b32_e32 v6, 0x70000000, v6
	v_mul_f32_e32 v6, 0x7800000, v6
	s_delay_alu instid0(VALU_DEP_1) | instskip(NEXT) | instid1(VALU_DEP_1)
	v_cndmask_b32_e32 v5, v6, v7, vcc_lo
	v_and_or_b32 v1, 0x80000000, v1, v5
	s_delay_alu instid0(VALU_DEP_1)
	v_cvt_f64_f32_e32 v[8:9], v1
.LBB7_202:
	s_mov_b32 s28, 0
	s_mov_b32 s27, -1
.LBB7_203:
	s_and_not1_b32 vcc_lo, exec_lo, s28
	s_cbranch_vccnz .LBB7_216
; %bb.204:
	s_cmp_gt_i32 s0, 14
	s_cbranch_scc0 .LBB7_207
; %bb.205:
	s_cmp_eq_u32 s0, 15
	s_cbranch_scc0 .LBB7_210
; %bb.206:
	global_load_u16 v1, v[2:3], off
	s_mov_b32 s27, -1
	s_mov_b32 s26, 0
	s_wait_loadcnt 0x0
	v_lshlrev_b32_e32 v1, 16, v1
	s_delay_alu instid0(VALU_DEP_1)
	v_cvt_f64_f32_e32 v[8:9], v1
	s_branch .LBB7_211
.LBB7_207:
	s_mov_b32 s28, -1
                                        ; implicit-def: $vgpr8_vgpr9
	s_branch .LBB7_212
.LBB7_208:
	s_or_saveexec_b32 s28, s28
	v_mov_b64_e32 v[8:9], 0x7ff8000020000000
	s_xor_b32 exec_lo, exec_lo, s28
	s_cbranch_execz .LBB7_189
.LBB7_209:
	v_cmp_ne_u16_e32 vcc_lo, 0, v1
	v_mov_b64_e32 v[8:9], 0
	s_and_not1_b32 s27, s27, exec_lo
	s_and_b32 s29, vcc_lo, exec_lo
	s_delay_alu instid0(SALU_CYCLE_1)
	s_or_b32 s27, s27, s29
	s_or_b32 exec_lo, exec_lo, s28
	s_and_saveexec_b32 s28, s27
	s_cbranch_execnz .LBB7_190
	s_branch .LBB7_191
.LBB7_210:
	s_mov_b32 s26, -1
                                        ; implicit-def: $vgpr8_vgpr9
.LBB7_211:
	s_mov_b32 s28, 0
.LBB7_212:
	s_delay_alu instid0(SALU_CYCLE_1)
	s_and_b32 vcc_lo, exec_lo, s28
	s_cbranch_vccz .LBB7_216
; %bb.213:
	s_cmp_eq_u32 s0, 11
	s_cbranch_scc0 .LBB7_215
; %bb.214:
	global_load_u8 v1, v[2:3], off
	v_mov_b32_e32 v8, 0
	s_mov_b32 s26, 0
	s_mov_b32 s27, -1
	s_wait_loadcnt 0x0
	v_cmp_ne_u16_e32 vcc_lo, 0, v1
	v_cndmask_b32_e64 v9, 0, 0x3ff00000, vcc_lo
	s_branch .LBB7_216
.LBB7_215:
	s_mov_b32 s26, -1
                                        ; implicit-def: $vgpr8_vgpr9
.LBB7_216:
	s_branch .LBB7_25
.LBB7_217:
	s_cmp_lt_i32 s0, 5
	s_cbranch_scc1 .LBB7_222
; %bb.218:
	s_cmp_lt_i32 s0, 8
	s_cbranch_scc1 .LBB7_223
; %bb.219:
	;; [unrolled: 3-line block ×3, first 2 shown]
	s_cmp_gt_i32 s0, 9
	s_cbranch_scc0 .LBB7_225
; %bb.221:
	global_load_b64 v[8:9], v[2:3], off
	s_mov_b32 s27, 0
	s_branch .LBB7_226
.LBB7_222:
                                        ; implicit-def: $vgpr8_vgpr9
	s_branch .LBB7_244
.LBB7_223:
	s_mov_b32 s27, -1
                                        ; implicit-def: $vgpr8_vgpr9
	s_branch .LBB7_232
.LBB7_224:
	s_mov_b32 s27, -1
                                        ; implicit-def: $vgpr8_vgpr9
	s_branch .LBB7_229
.LBB7_225:
	s_mov_b32 s27, -1
                                        ; implicit-def: $vgpr8_vgpr9
.LBB7_226:
	s_delay_alu instid0(SALU_CYCLE_1)
	s_and_not1_b32 vcc_lo, exec_lo, s27
	s_cbranch_vccnz .LBB7_228
; %bb.227:
	global_load_b32 v1, v[2:3], off
	s_wait_loadcnt 0x0
	v_cvt_f64_f32_e32 v[8:9], v1
.LBB7_228:
	s_mov_b32 s27, 0
.LBB7_229:
	s_delay_alu instid0(SALU_CYCLE_1)
	s_and_not1_b32 vcc_lo, exec_lo, s27
	s_cbranch_vccnz .LBB7_231
; %bb.230:
	global_load_b32 v1, v[2:3], off
	s_wait_loadcnt 0x0
	v_cvt_f32_f16_e32 v1, v1
	s_delay_alu instid0(VALU_DEP_1)
	v_cvt_f64_f32_e32 v[8:9], v1
.LBB7_231:
	s_mov_b32 s27, 0
.LBB7_232:
	s_delay_alu instid0(SALU_CYCLE_1)
	s_and_not1_b32 vcc_lo, exec_lo, s27
	s_cbranch_vccnz .LBB7_243
; %bb.233:
	s_cmp_lt_i32 s0, 6
	s_cbranch_scc1 .LBB7_236
; %bb.234:
	s_cmp_gt_i32 s0, 6
	s_cbranch_scc0 .LBB7_237
; %bb.235:
	s_wait_loadcnt 0x0
	global_load_b64 v[8:9], v[2:3], off
	s_mov_b32 s27, 0
	s_branch .LBB7_238
.LBB7_236:
	s_mov_b32 s27, -1
                                        ; implicit-def: $vgpr8_vgpr9
	s_branch .LBB7_241
.LBB7_237:
	s_mov_b32 s27, -1
                                        ; implicit-def: $vgpr8_vgpr9
.LBB7_238:
	s_delay_alu instid0(SALU_CYCLE_1)
	s_and_not1_b32 vcc_lo, exec_lo, s27
	s_cbranch_vccnz .LBB7_240
; %bb.239:
	global_load_b32 v1, v[2:3], off
	s_wait_loadcnt 0x0
	v_cvt_f64_f32_e32 v[8:9], v1
.LBB7_240:
	s_mov_b32 s27, 0
.LBB7_241:
	s_delay_alu instid0(SALU_CYCLE_1)
	s_and_not1_b32 vcc_lo, exec_lo, s27
	s_cbranch_vccnz .LBB7_243
; %bb.242:
	global_load_u16 v1, v[2:3], off
	s_wait_loadcnt 0x0
	v_cvt_f32_f16_e32 v1, v1
	s_delay_alu instid0(VALU_DEP_1)
	v_cvt_f64_f32_e32 v[8:9], v1
.LBB7_243:
	s_cbranch_execnz .LBB7_263
.LBB7_244:
	s_cmp_lt_i32 s0, 2
	s_cbranch_scc1 .LBB7_248
; %bb.245:
	s_cmp_lt_i32 s0, 3
	s_cbranch_scc1 .LBB7_249
; %bb.246:
	s_cmp_gt_i32 s0, 3
	s_cbranch_scc0 .LBB7_250
; %bb.247:
	global_load_b64 v[6:7], v[2:3], off
	s_mov_b32 s27, 0
	s_wait_loadcnt 0x0
	v_cvt_f64_i32_e32 v[8:9], v7
	v_cvt_f64_u32_e32 v[6:7], v6
	s_delay_alu instid0(VALU_DEP_2) | instskip(NEXT) | instid1(VALU_DEP_1)
	v_ldexp_f64 v[8:9], v[8:9], 32
	v_add_f64_e32 v[8:9], v[8:9], v[6:7]
	s_branch .LBB7_251
.LBB7_248:
	s_mov_b32 s27, -1
                                        ; implicit-def: $vgpr8_vgpr9
	s_branch .LBB7_257
.LBB7_249:
	s_mov_b32 s27, -1
                                        ; implicit-def: $vgpr8_vgpr9
	s_branch .LBB7_254
.LBB7_250:
	s_mov_b32 s27, -1
                                        ; implicit-def: $vgpr8_vgpr9
.LBB7_251:
	s_delay_alu instid0(SALU_CYCLE_1)
	s_and_not1_b32 vcc_lo, exec_lo, s27
	s_cbranch_vccnz .LBB7_253
; %bb.252:
	global_load_b32 v1, v[2:3], off
	s_wait_loadcnt 0x0
	v_cvt_f64_i32_e32 v[8:9], v1
.LBB7_253:
	s_mov_b32 s27, 0
.LBB7_254:
	s_delay_alu instid0(SALU_CYCLE_1)
	s_and_not1_b32 vcc_lo, exec_lo, s27
	s_cbranch_vccnz .LBB7_256
; %bb.255:
	global_load_i16 v1, v[2:3], off
	s_wait_loadcnt 0x0
	v_cvt_f64_i32_e32 v[8:9], v1
.LBB7_256:
	s_mov_b32 s27, 0
.LBB7_257:
	s_delay_alu instid0(SALU_CYCLE_1)
	s_and_not1_b32 vcc_lo, exec_lo, s27
	s_cbranch_vccnz .LBB7_263
; %bb.258:
	s_cmp_gt_i32 s0, 0
	s_mov_b32 s0, 0
	s_cbranch_scc0 .LBB7_260
; %bb.259:
	global_load_i8 v1, v[2:3], off
	s_wait_loadcnt 0x0
	v_cvt_f64_i32_e32 v[8:9], v1
	s_branch .LBB7_261
.LBB7_260:
	s_mov_b32 s0, -1
                                        ; implicit-def: $vgpr8_vgpr9
.LBB7_261:
	s_delay_alu instid0(SALU_CYCLE_1)
	s_and_not1_b32 vcc_lo, exec_lo, s0
	s_cbranch_vccnz .LBB7_263
; %bb.262:
	global_load_u8 v1, v[2:3], off
	s_wait_loadcnt 0x0
	v_cvt_f64_u32_e32 v[8:9], v1
.LBB7_263:
	s_branch .LBB7_26
.LBB7_264:
	s_mov_b32 s0, 0
.LBB7_265:
	s_mov_b32 s27, 0
                                        ; implicit-def: $vgpr4
.LBB7_266:
	s_and_b32 s41, s0, exec_lo
	s_and_b32 s42, s26, exec_lo
	s_or_not1_b32 s27, s27, exec_lo
.LBB7_267:
	s_wait_xcnt 0x0
	s_or_b32 exec_lo, exec_lo, s43
	s_mov_b32 s26, 0
	s_mov_b32 s0, 0
                                        ; implicit-def: $vgpr0_vgpr1
                                        ; implicit-def: $vgpr2
                                        ; implicit-def: $vgpr6_vgpr7
	s_and_saveexec_b32 s43, s27
	s_cbranch_execz .LBB7_275
; %bb.268:
	s_mov_b32 s0, -1
	s_mov_b32 s44, s42
	s_mov_b32 s45, s41
	s_mov_b32 s46, exec_lo
	v_cmpx_gt_i32_e64 s38, v4
	s_cbranch_execz .LBB7_545
; %bb.269:
	s_and_not1_b32 vcc_lo, exec_lo, s35
	s_cbranch_vccnz .LBB7_278
; %bb.270:
	s_and_not1_b32 vcc_lo, exec_lo, s40
	s_cbranch_vccnz .LBB7_279
; %bb.271:
	s_add_co_i32 s0, s39, 1
	s_cmp_eq_u32 s33, 2
	s_cbranch_scc1 .LBB7_280
; %bb.272:
	v_dual_mov_b32 v0, 0 :: v_dual_mov_b32 v2, 0
	v_mov_b32_e32 v3, v4
	s_and_b32 s26, s0, 28
	s_mov_b32 s27, 0
	s_mov_b64 s[28:29], s[2:3]
	s_mov_b64 s[30:31], s[24:25]
.LBB7_273:                              ; =>This Inner Loop Header: Depth=1
	s_clause 0x1
	s_load_b256 s[48:55], s[28:29], 0x4
	s_load_b128 s[64:67], s[28:29], 0x24
	s_load_b256 s[56:63], s[30:31], 0x0
	s_add_co_i32 s27, s27, 4
	s_wait_xcnt 0x0
	s_add_nc_u64 s[28:29], s[28:29], 48
	s_cmp_eq_u32 s26, s27
	s_add_nc_u64 s[30:31], s[30:31], 32
	s_wait_kmcnt 0x0
	v_mul_hi_u32 v1, s49, v3
	s_delay_alu instid0(VALU_DEP_1) | instskip(NEXT) | instid1(VALU_DEP_1)
	v_add_nc_u32_e32 v1, v3, v1
	v_lshrrev_b32_e32 v1, s50, v1
	s_delay_alu instid0(VALU_DEP_1) | instskip(NEXT) | instid1(VALU_DEP_1)
	v_mul_lo_u32 v7, v1, s48
	v_sub_nc_u32_e32 v3, v3, v7
	v_mul_hi_u32 v5, s52, v1
	s_delay_alu instid0(VALU_DEP_2) | instskip(SKIP_1) | instid1(VALU_DEP_3)
	v_mad_u32 v2, v3, s57, v2
	v_mad_u32 v0, v3, s56, v0
	v_add_nc_u32_e32 v5, v1, v5
	s_delay_alu instid0(VALU_DEP_1) | instskip(NEXT) | instid1(VALU_DEP_1)
	v_lshrrev_b32_e32 v5, s53, v5
	v_mul_lo_u32 v7, v5, s51
	s_delay_alu instid0(VALU_DEP_1) | instskip(SKIP_1) | instid1(VALU_DEP_2)
	v_sub_nc_u32_e32 v1, v1, v7
	v_mul_hi_u32 v6, s55, v5
	v_mad_u32 v2, v1, s59, v2
	v_mad_u32 v0, v1, s58, v0
	s_delay_alu instid0(VALU_DEP_3) | instskip(NEXT) | instid1(VALU_DEP_1)
	v_add_nc_u32_e32 v6, v5, v6
	v_lshrrev_b32_e32 v6, s64, v6
	s_wait_loadcnt 0x0
	s_delay_alu instid0(VALU_DEP_1) | instskip(SKIP_1) | instid1(VALU_DEP_1)
	v_mul_hi_u32 v8, s66, v6
	v_mul_lo_u32 v7, v6, s54
	v_dual_add_nc_u32 v3, v6, v8 :: v_dual_sub_nc_u32 v1, v5, v7
	s_delay_alu instid0(VALU_DEP_1) | instskip(NEXT) | instid1(VALU_DEP_2)
	v_lshrrev_b32_e32 v3, s67, v3
	v_mad_u32 v2, v1, s61, v2
	v_mad_u32 v0, v1, s60, v0
	s_delay_alu instid0(VALU_DEP_3) | instskip(NEXT) | instid1(VALU_DEP_1)
	v_mul_lo_u32 v5, v3, s65
	v_sub_nc_u32_e32 v1, v6, v5
	s_delay_alu instid0(VALU_DEP_1) | instskip(NEXT) | instid1(VALU_DEP_4)
	v_mad_u32 v2, v1, s63, v2
	v_mad_u32 v0, v1, s62, v0
	s_cbranch_scc0 .LBB7_273
; %bb.274:
	s_delay_alu instid0(VALU_DEP_2)
	v_mov_b32_e32 v1, v2
	s_branch .LBB7_281
.LBB7_275:
	s_or_b32 exec_lo, exec_lo, s43
	s_mov_b32 s1, 0
	s_and_saveexec_b32 s6, s42
	s_cbranch_execnz .LBB7_926
.LBB7_276:
	s_or_b32 exec_lo, exec_lo, s6
	s_and_saveexec_b32 s6, s21
	s_delay_alu instid0(SALU_CYCLE_1)
	s_xor_b32 s6, exec_lo, s6
	s_cbranch_execz .LBB7_927
.LBB7_277:
	global_load_u8 v3, v[0:1], off
	v_mov_b32_e32 v6, 0
	s_or_b32 s0, s0, exec_lo
	s_wait_loadcnt 0x0
	v_cmp_ne_u16_e32 vcc_lo, 0, v3
	v_cndmask_b32_e64 v7, 0, 0x3ff00000, vcc_lo
	s_wait_xcnt 0x0
	s_or_b32 exec_lo, exec_lo, s6
	s_and_saveexec_b32 s6, s26
	s_cbranch_execz .LBB7_973
	s_branch .LBB7_928
.LBB7_278:
                                        ; implicit-def: $vgpr2
                                        ; implicit-def: $vgpr0
	s_and_not1_b32 vcc_lo, exec_lo, s0
	s_cbranch_vccnz .LBB7_288
	s_branch .LBB7_286
.LBB7_279:
	v_dual_mov_b32 v2, 0 :: v_dual_mov_b32 v0, 0
	s_branch .LBB7_285
.LBB7_280:
	v_mov_b64_e32 v[0:1], 0
	v_mov_b32_e32 v3, v4
                                        ; implicit-def: $vgpr2
.LBB7_281:
	s_and_b32 s0, s0, 3
	s_mov_b32 s27, 0
	s_cmp_eq_u32 s0, 0
	s_cbranch_scc1 .LBB7_285
; %bb.282:
	s_lshl_b32 s28, s26, 3
	s_mov_b32 s29, s27
	s_mul_u64 s[30:31], s[26:27], 12
	s_add_nc_u64 s[28:29], s[2:3], s[28:29]
	s_delay_alu instid0(SALU_CYCLE_1)
	s_add_nc_u64 s[26:27], s[28:29], 0xc4
	s_add_nc_u64 s[28:29], s[2:3], s[30:31]
.LBB7_283:                              ; =>This Inner Loop Header: Depth=1
	s_load_b96 s[48:50], s[28:29], 0x4
	s_load_b64 s[30:31], s[26:27], 0x0
	s_add_co_i32 s0, s0, -1
	s_wait_xcnt 0x0
	s_add_nc_u64 s[28:29], s[28:29], 12
	s_cmp_lg_u32 s0, 0
	s_add_nc_u64 s[26:27], s[26:27], 8
	s_wait_kmcnt 0x0
	v_mul_hi_u32 v2, s49, v3
	s_delay_alu instid0(VALU_DEP_1) | instskip(NEXT) | instid1(VALU_DEP_1)
	v_add_nc_u32_e32 v2, v3, v2
	v_lshrrev_b32_e32 v2, s50, v2
	s_delay_alu instid0(VALU_DEP_1) | instskip(NEXT) | instid1(VALU_DEP_1)
	v_mul_lo_u32 v5, v2, s48
	v_sub_nc_u32_e32 v3, v3, v5
	s_delay_alu instid0(VALU_DEP_1)
	v_mad_u32 v1, v3, s31, v1
	v_mad_u32 v0, v3, s30, v0
	v_mov_b32_e32 v3, v2
	s_cbranch_scc1 .LBB7_283
; %bb.284:
	s_delay_alu instid0(VALU_DEP_3)
	v_mov_b32_e32 v2, v1
.LBB7_285:
	s_cbranch_execnz .LBB7_288
.LBB7_286:
	v_mov_b32_e32 v5, 0
	s_and_not1_b32 vcc_lo, exec_lo, s37
	s_delay_alu instid0(VALU_DEP_1) | instskip(NEXT) | instid1(VALU_DEP_1)
	v_mul_u64_e32 v[0:1], s[20:21], v[4:5]
	v_add_nc_u32_e32 v0, v4, v1
	s_delay_alu instid0(VALU_DEP_1) | instskip(NEXT) | instid1(VALU_DEP_1)
	v_lshrrev_b32_e32 v6, s10, v0
	v_mul_lo_u32 v0, v6, s8
	s_delay_alu instid0(VALU_DEP_1) | instskip(NEXT) | instid1(VALU_DEP_1)
	v_sub_nc_u32_e32 v0, v4, v0
	v_mul_lo_u32 v2, v0, s13
	v_mul_lo_u32 v0, v0, s12
	s_cbranch_vccnz .LBB7_288
; %bb.287:
	v_mov_b32_e32 v7, v5
	s_wait_loadcnt 0x0
	s_delay_alu instid0(VALU_DEP_1) | instskip(NEXT) | instid1(VALU_DEP_1)
	v_mul_u64_e32 v[8:9], s[22:23], v[6:7]
	v_add_nc_u32_e32 v1, v6, v9
	s_delay_alu instid0(VALU_DEP_1) | instskip(NEXT) | instid1(VALU_DEP_1)
	v_lshrrev_b32_e32 v1, s1, v1
	v_mul_lo_u32 v1, v1, s11
	s_delay_alu instid0(VALU_DEP_1) | instskip(NEXT) | instid1(VALU_DEP_1)
	v_sub_nc_u32_e32 v1, v6, v1
	v_mad_u32 v0, v1, s14, v0
	v_mad_u32 v2, v1, s15, v2
.LBB7_288:
	v_mov_b32_e32 v3, 0
	s_and_b32 s0, 0xffff, s9
	s_delay_alu instid0(SALU_CYCLE_1) | instskip(NEXT) | instid1(VALU_DEP_1)
	s_cmp_lt_i32 s0, 11
	v_add_nc_u64_e32 v[2:3], s[6:7], v[2:3]
	s_cbranch_scc1 .LBB7_295
; %bb.289:
	s_cmp_gt_i32 s0, 25
	s_cbranch_scc0 .LBB7_344
; %bb.290:
	s_cmp_gt_i32 s0, 28
	s_cbranch_scc0 .LBB7_345
	;; [unrolled: 3-line block ×4, first 2 shown]
; %bb.293:
	s_cmp_eq_u32 s0, 46
	s_mov_b32 s28, 0
	s_cbranch_scc0 .LBB7_355
; %bb.294:
	global_load_b32 v1, v[2:3], off
	s_mov_b32 s27, -1
	s_mov_b32 s26, 0
	s_wait_loadcnt 0x0
	v_lshlrev_b32_e32 v1, 16, v1
	s_delay_alu instid0(VALU_DEP_1)
	v_cvt_f64_f32_e32 v[8:9], v1
	s_branch .LBB7_357
.LBB7_295:
	s_mov_b32 s27, 0
	s_mov_b32 s26, s42
                                        ; implicit-def: $vgpr8_vgpr9
	s_cbranch_execnz .LBB7_494
.LBB7_296:
	s_and_not1_b32 vcc_lo, exec_lo, s27
	s_cbranch_vccnz .LBB7_542
.LBB7_297:
	s_wait_loadcnt 0x0
	s_delay_alu instid0(VALU_DEP_1)
	v_cmp_nge_f64_e64 s0, v[8:9], -s[16:17]
	v_cmp_nge_f64_e32 vcc_lo, s[16:17], v[8:9]
	s_and_b32 s27, s18, 0xff
	s_mov_b32 s29, 0
	s_mov_b32 s28, -1
	s_or_b32 vcc_lo, s0, vcc_lo
	v_mov_b32_e32 v1, 0
	s_cmp_lt_i32 s27, 11
	s_mov_b32 s0, s41
	s_delay_alu instid0(VALU_DEP_1)
	v_add_nc_u64_e32 v[6:7], s[4:5], v[0:1]
	v_dual_cndmask_b32 v1, 0, v9 :: v_dual_cndmask_b32 v0, 0, v8
	s_cbranch_scc1 .LBB7_304
; %bb.298:
	s_and_b32 s28, 0xffff, s27
	s_delay_alu instid0(SALU_CYCLE_1)
	s_cmp_gt_i32 s28, 25
	s_cbranch_scc0 .LBB7_346
; %bb.299:
	s_cmp_gt_i32 s28, 28
	s_cbranch_scc0 .LBB7_348
; %bb.300:
	;; [unrolled: 3-line block ×4, first 2 shown]
	s_mov_b32 s30, 0
	s_mov_b32 s0, -1
	s_cmp_eq_u32 s28, 46
	s_cbranch_scc0 .LBB7_361
; %bb.303:
	s_wait_xcnt 0x0
	v_cvt_f32_f64_e32 v2, v[0:1]
	s_mov_b32 s29, -1
	s_mov_b32 s0, 0
	s_delay_alu instid0(VALU_DEP_1) | instskip(SKIP_1) | instid1(VALU_DEP_2)
	v_bfe_u32 v3, v2, 16, 1
	v_cmp_o_f32_e32 vcc_lo, v2, v2
	v_add3_u32 v3, v2, v3, 0x7fff
	s_delay_alu instid0(VALU_DEP_1) | instskip(NEXT) | instid1(VALU_DEP_1)
	v_lshrrev_b32_e32 v3, 16, v3
	v_cndmask_b32_e32 v2, 0x7fc0, v3, vcc_lo
	global_store_b32 v[6:7], v2, off
	s_branch .LBB7_361
.LBB7_304:
	s_and_b32 vcc_lo, exec_lo, s28
	s_cbranch_vccz .LBB7_430
; %bb.305:
	s_and_b32 s27, 0xffff, s27
	s_mov_b32 s28, -1
	s_cmp_lt_i32 s27, 5
	s_cbranch_scc1 .LBB7_326
; %bb.306:
	s_cmp_lt_i32 s27, 8
	s_cbranch_scc1 .LBB7_316
; %bb.307:
	;; [unrolled: 3-line block ×3, first 2 shown]
	s_cmp_gt_i32 s27, 9
	s_cbranch_scc0 .LBB7_310
; %bb.309:
	s_wait_xcnt 0x0
	v_mov_b32_e32 v2, 0
	s_mov_b32 s28, 0
	s_delay_alu instid0(VALU_DEP_1)
	v_mov_b32_e32 v3, v2
	global_store_b128 v[6:7], v[0:3], off
.LBB7_310:
	s_and_not1_b32 vcc_lo, exec_lo, s28
	s_cbranch_vccnz .LBB7_312
; %bb.311:
	s_wait_xcnt 0x0
	v_cvt_f32_f64_e32 v2, v[0:1]
	v_mov_b32_e32 v3, 0
	global_store_b64 v[6:7], v[2:3], off
.LBB7_312:
	s_mov_b32 s28, 0
.LBB7_313:
	s_delay_alu instid0(SALU_CYCLE_1)
	s_and_not1_b32 vcc_lo, exec_lo, s28
	s_cbranch_vccnz .LBB7_315
; %bb.314:
	s_wait_xcnt 0x0
	v_and_or_b32 v2, 0x1ff, v1, v0
	v_lshrrev_b32_e32 v3, 8, v1
	v_bfe_u32 v5, v1, 20, 11
	s_delay_alu instid0(VALU_DEP_3) | instskip(NEXT) | instid1(VALU_DEP_2)
	v_cmp_ne_u32_e32 vcc_lo, 0, v2
	v_sub_nc_u32_e32 v8, 0x3f1, v5
	v_add_nc_u32_e32 v5, 0xfffffc10, v5
	v_cndmask_b32_e64 v2, 0, 1, vcc_lo
	s_delay_alu instid0(VALU_DEP_1) | instskip(NEXT) | instid1(VALU_DEP_4)
	v_and_or_b32 v2, 0xffe, v3, v2
	v_med3_i32 v3, v8, 0, 13
	s_delay_alu instid0(VALU_DEP_2) | instskip(NEXT) | instid1(VALU_DEP_1)
	v_or_b32_e32 v8, 0x1000, v2
	v_lshrrev_b32_e32 v9, v3, v8
	s_delay_alu instid0(VALU_DEP_1) | instskip(NEXT) | instid1(VALU_DEP_1)
	v_lshlrev_b32_e32 v3, v3, v9
	v_cmp_ne_u32_e32 vcc_lo, v3, v8
	v_lshl_or_b32 v8, v5, 12, v2
	v_cndmask_b32_e64 v3, 0, 1, vcc_lo
	v_cmp_gt_i32_e32 vcc_lo, 1, v5
	s_delay_alu instid0(VALU_DEP_2) | instskip(NEXT) | instid1(VALU_DEP_1)
	v_or_b32_e32 v3, v9, v3
	v_cndmask_b32_e32 v3, v8, v3, vcc_lo
	s_delay_alu instid0(VALU_DEP_1) | instskip(NEXT) | instid1(VALU_DEP_1)
	v_dual_lshrrev_b32 v3, 2, v3 :: v_dual_bitop2_b32 v8, 7, v3 bitop3:0x40
	v_cmp_lt_i32_e32 vcc_lo, 5, v8
	v_cndmask_b32_e64 v9, 0, 1, vcc_lo
	v_cmp_eq_u32_e32 vcc_lo, 3, v8
	v_cndmask_b32_e64 v8, 0, 1, vcc_lo
	v_cmp_ne_u32_e32 vcc_lo, 0, v2
	s_delay_alu instid0(VALU_DEP_2) | instskip(SKIP_1) | instid1(VALU_DEP_1)
	v_or_b32_e32 v8, v8, v9
	v_mov_b32_e32 v9, 0x7e00
	v_dual_cndmask_b32 v2, 0x7c00, v9 :: v_dual_add_nc_u32 v3, v3, v8
	v_cmp_gt_i32_e32 vcc_lo, 31, v5
	s_delay_alu instid0(VALU_DEP_2) | instskip(SKIP_1) | instid1(VALU_DEP_2)
	v_dual_cndmask_b32 v3, 0x7c00, v3 :: v_dual_lshrrev_b32 v8, 16, v1
	v_cmp_eq_u32_e32 vcc_lo, 0x40f, v5
	v_cndmask_b32_e32 v2, v3, v2, vcc_lo
	s_delay_alu instid0(VALU_DEP_3) | instskip(NEXT) | instid1(VALU_DEP_1)
	v_and_b32_e32 v3, 0x8000, v8
	v_bitop3_b32 v2, v3, 0xffff, v2 bitop3:0xc8
	global_store_b32 v[6:7], v2, off
.LBB7_315:
	s_mov_b32 s28, 0
.LBB7_316:
	s_delay_alu instid0(SALU_CYCLE_1)
	s_and_not1_b32 vcc_lo, exec_lo, s28
	s_cbranch_vccnz .LBB7_325
; %bb.317:
	s_cmp_lt_i32 s27, 6
	s_mov_b32 s28, -1
	s_cbranch_scc1 .LBB7_323
; %bb.318:
	s_cmp_gt_i32 s27, 6
	s_cbranch_scc0 .LBB7_320
; %bb.319:
	s_mov_b32 s28, 0
	global_store_b64 v[6:7], v[0:1], off
.LBB7_320:
	s_and_not1_b32 vcc_lo, exec_lo, s28
	s_cbranch_vccnz .LBB7_322
; %bb.321:
	s_wait_xcnt 0x0
	v_cvt_f32_f64_e32 v2, v[0:1]
	global_store_b32 v[6:7], v2, off
.LBB7_322:
	s_mov_b32 s28, 0
.LBB7_323:
	s_delay_alu instid0(SALU_CYCLE_1)
	s_and_not1_b32 vcc_lo, exec_lo, s28
	s_cbranch_vccnz .LBB7_325
; %bb.324:
	s_wait_xcnt 0x0
	v_and_or_b32 v2, 0x1ff, v1, v0
	v_lshrrev_b32_e32 v3, 8, v1
	v_bfe_u32 v5, v1, 20, 11
	s_delay_alu instid0(VALU_DEP_3) | instskip(NEXT) | instid1(VALU_DEP_2)
	v_cmp_ne_u32_e32 vcc_lo, 0, v2
	v_sub_nc_u32_e32 v8, 0x3f1, v5
	v_add_nc_u32_e32 v5, 0xfffffc10, v5
	v_cndmask_b32_e64 v2, 0, 1, vcc_lo
	s_delay_alu instid0(VALU_DEP_1) | instskip(NEXT) | instid1(VALU_DEP_4)
	v_and_or_b32 v2, 0xffe, v3, v2
	v_med3_i32 v3, v8, 0, 13
	s_delay_alu instid0(VALU_DEP_2) | instskip(NEXT) | instid1(VALU_DEP_1)
	v_or_b32_e32 v8, 0x1000, v2
	v_lshrrev_b32_e32 v9, v3, v8
	s_delay_alu instid0(VALU_DEP_1) | instskip(NEXT) | instid1(VALU_DEP_1)
	v_lshlrev_b32_e32 v3, v3, v9
	v_cmp_ne_u32_e32 vcc_lo, v3, v8
	v_lshl_or_b32 v8, v5, 12, v2
	v_cndmask_b32_e64 v3, 0, 1, vcc_lo
	v_cmp_gt_i32_e32 vcc_lo, 1, v5
	s_delay_alu instid0(VALU_DEP_2) | instskip(NEXT) | instid1(VALU_DEP_1)
	v_or_b32_e32 v3, v9, v3
	v_cndmask_b32_e32 v3, v8, v3, vcc_lo
	s_delay_alu instid0(VALU_DEP_1) | instskip(NEXT) | instid1(VALU_DEP_1)
	v_dual_lshrrev_b32 v3, 2, v3 :: v_dual_bitop2_b32 v8, 7, v3 bitop3:0x40
	v_cmp_lt_i32_e32 vcc_lo, 5, v8
	v_cndmask_b32_e64 v9, 0, 1, vcc_lo
	v_cmp_eq_u32_e32 vcc_lo, 3, v8
	v_cndmask_b32_e64 v8, 0, 1, vcc_lo
	v_cmp_ne_u32_e32 vcc_lo, 0, v2
	s_delay_alu instid0(VALU_DEP_2) | instskip(SKIP_1) | instid1(VALU_DEP_1)
	v_or_b32_e32 v8, v8, v9
	v_mov_b32_e32 v9, 0x7e00
	v_dual_cndmask_b32 v2, 0x7c00, v9 :: v_dual_add_nc_u32 v3, v3, v8
	v_cmp_gt_i32_e32 vcc_lo, 31, v5
	s_delay_alu instid0(VALU_DEP_2) | instskip(SKIP_1) | instid1(VALU_DEP_2)
	v_cndmask_b32_e32 v3, 0x7c00, v3, vcc_lo
	v_cmp_eq_u32_e32 vcc_lo, 0x40f, v5
	v_dual_cndmask_b32 v2, v3, v2 :: v_dual_lshrrev_b32 v3, 16, v1
	s_delay_alu instid0(VALU_DEP_1)
	v_and_or_b32 v2, 0x8000, v3, v2
	global_store_b16 v[6:7], v2, off
.LBB7_325:
	s_mov_b32 s28, 0
.LBB7_326:
	s_delay_alu instid0(SALU_CYCLE_1)
	s_and_not1_b32 vcc_lo, exec_lo, s28
	s_cbranch_vccnz .LBB7_342
; %bb.327:
	s_cmp_lt_i32 s27, 2
	s_mov_b32 s28, -1
	s_cbranch_scc1 .LBB7_337
; %bb.328:
	s_cmp_lt_i32 s27, 3
	s_cbranch_scc1 .LBB7_334
; %bb.329:
	s_cmp_gt_i32 s27, 3
	s_cbranch_scc0 .LBB7_331
; %bb.330:
	s_wait_xcnt 0x0
	v_trunc_f64_e32 v[2:3], v[0:1]
	s_mov_b32 s28, 0
	s_delay_alu instid0(VALU_DEP_1) | instskip(NEXT) | instid1(VALU_DEP_1)
	v_ldexp_f64 v[8:9], v[2:3], 0xffffffe0
	v_floor_f64_e32 v[8:9], v[8:9]
	s_delay_alu instid0(VALU_DEP_1) | instskip(SKIP_1) | instid1(VALU_DEP_2)
	v_fmamk_f64 v[2:3], v[8:9], 0xc1f00000, v[2:3]
	v_cvt_i32_f64_e32 v9, v[8:9]
	v_cvt_u32_f64_e32 v8, v[2:3]
	global_store_b64 v[6:7], v[8:9], off
.LBB7_331:
	s_and_not1_b32 vcc_lo, exec_lo, s28
	s_cbranch_vccnz .LBB7_333
; %bb.332:
	s_wait_xcnt 0x0
	v_cvt_i32_f64_e32 v2, v[0:1]
	global_store_b32 v[6:7], v2, off
.LBB7_333:
	s_mov_b32 s28, 0
.LBB7_334:
	s_delay_alu instid0(SALU_CYCLE_1)
	s_and_not1_b32 vcc_lo, exec_lo, s28
	s_cbranch_vccnz .LBB7_336
; %bb.335:
	s_wait_xcnt 0x0
	v_cvt_i32_f64_e32 v2, v[0:1]
	global_store_b16 v[6:7], v2, off
.LBB7_336:
	s_mov_b32 s28, 0
.LBB7_337:
	s_delay_alu instid0(SALU_CYCLE_1)
	s_and_not1_b32 vcc_lo, exec_lo, s28
	s_cbranch_vccnz .LBB7_342
; %bb.338:
	s_cmp_gt_i32 s27, 0
	s_mov_b32 s27, -1
	s_cbranch_scc0 .LBB7_340
; %bb.339:
	s_wait_xcnt 0x0
	v_cvt_i32_f64_e32 v2, v[0:1]
	s_mov_b32 s27, 0
	global_store_b8 v[6:7], v2, off
.LBB7_340:
	s_and_not1_b32 vcc_lo, exec_lo, s27
	s_cbranch_vccnz .LBB7_342
; %bb.341:
	s_wait_xcnt 0x0
	v_trunc_f64_e32 v[0:1], v[0:1]
	s_delay_alu instid0(VALU_DEP_1) | instskip(NEXT) | instid1(VALU_DEP_1)
	v_ldexp_f64 v[2:3], v[0:1], 0xffffffe0
	v_floor_f64_e32 v[2:3], v[2:3]
	s_delay_alu instid0(VALU_DEP_1) | instskip(NEXT) | instid1(VALU_DEP_1)
	v_fmamk_f64 v[0:1], v[2:3], 0xc1f00000, v[0:1]
	v_cvt_u32_f64_e32 v0, v[0:1]
	global_store_b8 v[6:7], v0, off
.LBB7_342:
	s_branch .LBB7_431
.LBB7_343:
	s_mov_b32 s27, 0
	s_branch .LBB7_543
.LBB7_344:
	s_mov_b32 s28, -1
	s_mov_b32 s27, 0
	s_mov_b32 s26, s42
                                        ; implicit-def: $vgpr8_vgpr9
	s_branch .LBB7_458
.LBB7_345:
	s_mov_b32 s28, -1
	s_mov_b32 s27, 0
	s_mov_b32 s26, s42
                                        ; implicit-def: $vgpr8_vgpr9
	s_branch .LBB7_439
.LBB7_346:
	s_mov_b32 s30, -1
	s_mov_b32 s0, s41
	s_branch .LBB7_388
.LBB7_347:
	s_mov_b32 s28, -1
	s_mov_b32 s27, 0
	s_mov_b32 s26, s42
                                        ; implicit-def: $vgpr8_vgpr9
	s_branch .LBB7_434
.LBB7_348:
	s_mov_b32 s30, -1
	s_mov_b32 s0, s41
	s_branch .LBB7_371
.LBB7_349:
	s_and_not1_saveexec_b32 s31, s31
	s_cbranch_execz .LBB7_106
.LBB7_350:
	v_add_f32_e64 v3, 0x46000000, |v2|
	s_and_not1_b32 s30, s30, exec_lo
	s_delay_alu instid0(VALU_DEP_1) | instskip(NEXT) | instid1(VALU_DEP_1)
	v_and_b32_e32 v3, 0xff, v3
	v_cmp_ne_u32_e32 vcc_lo, 0, v3
	s_and_b32 s41, vcc_lo, exec_lo
	s_delay_alu instid0(SALU_CYCLE_1)
	s_or_b32 s30, s30, s41
	s_or_b32 exec_lo, exec_lo, s31
	v_mov_b32_e32 v5, 0
	s_and_saveexec_b32 s31, s30
	s_cbranch_execnz .LBB7_107
	s_branch .LBB7_108
.LBB7_351:
	s_mov_b32 s28, -1
	s_mov_b32 s27, 0
	s_mov_b32 s26, s42
	s_branch .LBB7_356
.LBB7_352:
	s_mov_b32 s30, -1
	s_mov_b32 s0, s41
	s_branch .LBB7_367
.LBB7_353:
	s_and_not1_saveexec_b32 s31, s31
	s_cbranch_execz .LBB7_119
.LBB7_354:
	v_add_f32_e64 v3, 0x42800000, |v2|
	s_and_not1_b32 s30, s30, exec_lo
	s_delay_alu instid0(VALU_DEP_1) | instskip(NEXT) | instid1(VALU_DEP_1)
	v_and_b32_e32 v3, 0xff, v3
	v_cmp_ne_u32_e32 vcc_lo, 0, v3
	s_and_b32 s41, vcc_lo, exec_lo
	s_delay_alu instid0(SALU_CYCLE_1)
	s_or_b32 s30, s30, s41
	s_or_b32 exec_lo, exec_lo, s31
	v_mov_b32_e32 v5, 0
	s_and_saveexec_b32 s31, s30
	s_cbranch_execnz .LBB7_120
	s_branch .LBB7_121
.LBB7_355:
	s_mov_b32 s26, -1
	s_mov_b32 s27, 0
.LBB7_356:
                                        ; implicit-def: $vgpr8_vgpr9
.LBB7_357:
	s_and_b32 vcc_lo, exec_lo, s28
	s_cbranch_vccz .LBB7_433
; %bb.358:
	s_cmp_eq_u32 s0, 44
	s_cbranch_scc0 .LBB7_432
; %bb.359:
	global_load_u8 v1, v[2:3], off
	s_mov_b32 s26, 0
	s_mov_b32 s27, -1
	s_wait_loadcnt 0x0
	v_cmp_ne_u32_e32 vcc_lo, 0xff, v1
	v_lshlrev_b32_e32 v5, 23, v1
	s_delay_alu instid0(VALU_DEP_1) | instskip(NEXT) | instid1(VALU_DEP_1)
	v_cvt_f64_f32_e32 v[6:7], v5
	v_cndmask_b32_e32 v5, 0x20000000, v6, vcc_lo
	s_delay_alu instid0(VALU_DEP_2) | instskip(SKIP_1) | instid1(VALU_DEP_2)
	v_cndmask_b32_e32 v6, 0x7ff80000, v7, vcc_lo
	v_cmp_ne_u32_e32 vcc_lo, 0, v1
	v_cndmask_b32_e32 v9, 0x38000000, v6, vcc_lo
	s_delay_alu instid0(VALU_DEP_4)
	v_cndmask_b32_e32 v8, 0, v5, vcc_lo
	s_branch .LBB7_433
.LBB7_360:
	s_mov_b32 s30, -1
	s_mov_b32 s0, s41
.LBB7_361:
	s_and_b32 vcc_lo, exec_lo, s30
	s_cbranch_vccz .LBB7_366
; %bb.362:
	s_cmp_eq_u32 s28, 44
	s_mov_b32 s0, -1
	s_cbranch_scc0 .LBB7_366
; %bb.363:
	s_wait_xcnt 0x0
	v_cvt_f32_f64_e32 v2, v[0:1]
	v_mov_b32_e32 v3, 0xff
	s_mov_b32 s29, exec_lo
	s_delay_alu instid0(VALU_DEP_2) | instskip(NEXT) | instid1(VALU_DEP_1)
	v_bfe_u32 v5, v2, 23, 8
	v_cmpx_ne_u32_e32 0xff, v5
	s_cbranch_execz .LBB7_365
; %bb.364:
	v_and_b32_e32 v3, 0x400000, v2
	v_and_or_b32 v5, 0x3fffff, v2, v5
	v_lshrrev_b32_e32 v2, 23, v2
	s_delay_alu instid0(VALU_DEP_3) | instskip(NEXT) | instid1(VALU_DEP_3)
	v_cmp_ne_u32_e32 vcc_lo, 0, v3
	v_cmp_ne_u32_e64 s0, 0, v5
	s_and_b32 s0, vcc_lo, s0
	s_delay_alu instid0(SALU_CYCLE_1) | instskip(NEXT) | instid1(VALU_DEP_1)
	v_cndmask_b32_e64 v3, 0, 1, s0
	v_add_nc_u32_e32 v3, v2, v3
.LBB7_365:
	s_or_b32 exec_lo, exec_lo, s29
	s_mov_b32 s29, -1
	s_mov_b32 s0, 0
	global_store_b8 v[6:7], v3, off
.LBB7_366:
	s_mov_b32 s30, 0
.LBB7_367:
	s_delay_alu instid0(SALU_CYCLE_1)
	s_and_b32 vcc_lo, exec_lo, s30
	s_cbranch_vccz .LBB7_370
; %bb.368:
	s_cmp_eq_u32 s28, 29
	s_mov_b32 s0, -1
	s_cbranch_scc0 .LBB7_370
; %bb.369:
	s_wait_xcnt 0x0
	v_trunc_f64_e32 v[2:3], v[0:1]
	s_mov_b32 s29, -1
	s_mov_b32 s0, 0
	s_mov_b32 s30, 0
	s_delay_alu instid0(VALU_DEP_1) | instskip(NEXT) | instid1(VALU_DEP_1)
	v_ldexp_f64 v[8:9], v[2:3], 0xffffffe0
	v_floor_f64_e32 v[8:9], v[8:9]
	s_delay_alu instid0(VALU_DEP_1) | instskip(SKIP_1) | instid1(VALU_DEP_2)
	v_fmamk_f64 v[2:3], v[8:9], 0xc1f00000, v[2:3]
	v_cvt_u32_f64_e32 v9, v[8:9]
	v_cvt_u32_f64_e32 v8, v[2:3]
	global_store_b64 v[6:7], v[8:9], off
	s_branch .LBB7_371
.LBB7_370:
	s_mov_b32 s30, 0
.LBB7_371:
	s_delay_alu instid0(SALU_CYCLE_1)
	s_and_b32 vcc_lo, exec_lo, s30
	s_cbranch_vccz .LBB7_387
; %bb.372:
	s_cmp_lt_i32 s28, 27
	s_mov_b32 s29, -1
	s_cbranch_scc1 .LBB7_378
; %bb.373:
	s_wait_xcnt 0x0
	v_cvt_u32_f64_e32 v2, v[0:1]
	s_cmp_gt_i32 s28, 27
	s_cbranch_scc0 .LBB7_375
; %bb.374:
	s_mov_b32 s29, 0
	global_store_b32 v[6:7], v2, off
.LBB7_375:
	s_and_not1_b32 vcc_lo, exec_lo, s29
	s_cbranch_vccnz .LBB7_377
; %bb.376:
	global_store_b16 v[6:7], v2, off
.LBB7_377:
	s_mov_b32 s29, 0
.LBB7_378:
	s_delay_alu instid0(SALU_CYCLE_1)
	s_and_not1_b32 vcc_lo, exec_lo, s29
	s_cbranch_vccnz .LBB7_386
; %bb.379:
	s_wait_xcnt 0x0
	v_cvt_f32_f64_e32 v2, v[0:1]
	v_mov_b32_e32 v5, 0x80
	s_mov_b32 s29, exec_lo
	s_delay_alu instid0(VALU_DEP_2) | instskip(NEXT) | instid1(VALU_DEP_1)
	v_and_b32_e32 v3, 0x7fffffff, v2
	v_cmpx_gt_u32_e32 0x43800000, v3
	s_cbranch_execz .LBB7_385
; %bb.380:
	v_cmp_lt_u32_e32 vcc_lo, 0x3bffffff, v3
	s_mov_b32 s30, 0
                                        ; implicit-def: $vgpr3
	s_and_saveexec_b32 s31, vcc_lo
	s_delay_alu instid0(SALU_CYCLE_1)
	s_xor_b32 s31, exec_lo, s31
	s_cbranch_execz .LBB7_575
; %bb.381:
	v_bfe_u32 v3, v2, 20, 1
	s_mov_b32 s30, exec_lo
	s_delay_alu instid0(VALU_DEP_1) | instskip(NEXT) | instid1(VALU_DEP_1)
	v_add3_u32 v3, v2, v3, 0x487ffff
	v_lshrrev_b32_e32 v3, 20, v3
	s_and_not1_saveexec_b32 s31, s31
	s_cbranch_execnz .LBB7_576
.LBB7_382:
	s_or_b32 exec_lo, exec_lo, s31
	v_mov_b32_e32 v5, 0
	s_and_saveexec_b32 s31, s30
.LBB7_383:
	v_lshrrev_b32_e32 v2, 24, v2
	s_delay_alu instid0(VALU_DEP_1)
	v_and_or_b32 v5, 0x80, v2, v3
.LBB7_384:
	s_or_b32 exec_lo, exec_lo, s31
.LBB7_385:
	s_delay_alu instid0(SALU_CYCLE_1)
	s_or_b32 exec_lo, exec_lo, s29
	global_store_b8 v[6:7], v5, off
.LBB7_386:
	s_mov_b32 s29, -1
.LBB7_387:
	s_mov_b32 s30, 0
.LBB7_388:
	s_delay_alu instid0(SALU_CYCLE_1)
	s_and_b32 vcc_lo, exec_lo, s30
	s_cbranch_vccz .LBB7_429
; %bb.389:
	s_cmp_gt_i32 s28, 22
	s_mov_b32 s30, -1
	s_cbranch_scc0 .LBB7_421
; %bb.390:
	s_cmp_lt_i32 s28, 24
	s_mov_b32 s29, -1
	s_cbranch_scc1 .LBB7_410
; %bb.391:
	s_cmp_gt_i32 s28, 24
	s_cbranch_scc0 .LBB7_399
; %bb.392:
	s_wait_xcnt 0x0
	v_cvt_f32_f64_e32 v2, v[0:1]
	v_mov_b32_e32 v5, 0x80
	s_mov_b32 s29, exec_lo
	s_delay_alu instid0(VALU_DEP_2) | instskip(NEXT) | instid1(VALU_DEP_1)
	v_and_b32_e32 v3, 0x7fffffff, v2
	v_cmpx_gt_u32_e32 0x47800000, v3
	s_cbranch_execz .LBB7_398
; %bb.393:
	v_cmp_lt_u32_e32 vcc_lo, 0x37ffffff, v3
	s_mov_b32 s30, 0
                                        ; implicit-def: $vgpr3
	s_and_saveexec_b32 s31, vcc_lo
	s_delay_alu instid0(SALU_CYCLE_1)
	s_xor_b32 s31, exec_lo, s31
	s_cbranch_execz .LBB7_578
; %bb.394:
	v_bfe_u32 v3, v2, 21, 1
	s_mov_b32 s30, exec_lo
	s_delay_alu instid0(VALU_DEP_1) | instskip(NEXT) | instid1(VALU_DEP_1)
	v_add3_u32 v3, v2, v3, 0x88fffff
	v_lshrrev_b32_e32 v3, 21, v3
	s_and_not1_saveexec_b32 s31, s31
	s_cbranch_execnz .LBB7_579
.LBB7_395:
	s_or_b32 exec_lo, exec_lo, s31
	v_mov_b32_e32 v5, 0
	s_and_saveexec_b32 s31, s30
.LBB7_396:
	v_lshrrev_b32_e32 v2, 24, v2
	s_delay_alu instid0(VALU_DEP_1)
	v_and_or_b32 v5, 0x80, v2, v3
.LBB7_397:
	s_or_b32 exec_lo, exec_lo, s31
.LBB7_398:
	s_delay_alu instid0(SALU_CYCLE_1)
	s_or_b32 exec_lo, exec_lo, s29
	s_mov_b32 s29, 0
	global_store_b8 v[6:7], v5, off
.LBB7_399:
	s_and_b32 vcc_lo, exec_lo, s29
	s_cbranch_vccz .LBB7_409
; %bb.400:
	s_wait_xcnt 0x0
	v_cvt_f32_f64_e32 v2, v[0:1]
	s_mov_b32 s29, exec_lo
                                        ; implicit-def: $vgpr3
	s_delay_alu instid0(VALU_DEP_1) | instskip(NEXT) | instid1(VALU_DEP_1)
	v_and_b32_e32 v5, 0x7fffffff, v2
	v_cmpx_gt_u32_e32 0x43f00000, v5
	s_xor_b32 s29, exec_lo, s29
	s_cbranch_execz .LBB7_406
; %bb.401:
	s_mov_b32 s30, exec_lo
                                        ; implicit-def: $vgpr3
	v_cmpx_lt_u32_e32 0x3c7fffff, v5
	s_xor_b32 s30, exec_lo, s30
; %bb.402:
	v_bfe_u32 v3, v2, 20, 1
	s_delay_alu instid0(VALU_DEP_1) | instskip(NEXT) | instid1(VALU_DEP_1)
	v_add3_u32 v3, v2, v3, 0x407ffff
	v_and_b32_e32 v5, 0xff00000, v3
	v_lshrrev_b32_e32 v3, 20, v3
	s_delay_alu instid0(VALU_DEP_2) | instskip(NEXT) | instid1(VALU_DEP_2)
	v_cmp_ne_u32_e32 vcc_lo, 0x7f00000, v5
	v_cndmask_b32_e32 v3, 0x7e, v3, vcc_lo
; %bb.403:
	s_and_not1_saveexec_b32 s30, s30
; %bb.404:
	v_add_f32_e64 v3, 0x46800000, |v2|
; %bb.405:
	s_or_b32 exec_lo, exec_lo, s30
                                        ; implicit-def: $vgpr5
.LBB7_406:
	s_and_not1_saveexec_b32 s29, s29
; %bb.407:
	v_mov_b32_e32 v3, 0x7f
	v_cmp_lt_u32_e32 vcc_lo, 0x7f800000, v5
	s_delay_alu instid0(VALU_DEP_2)
	v_cndmask_b32_e32 v3, 0x7e, v3, vcc_lo
; %bb.408:
	s_or_b32 exec_lo, exec_lo, s29
	v_lshrrev_b32_e32 v2, 24, v2
	s_delay_alu instid0(VALU_DEP_1)
	v_and_or_b32 v2, 0x80, v2, v3
	global_store_b8 v[6:7], v2, off
.LBB7_409:
	s_mov_b32 s29, 0
.LBB7_410:
	s_delay_alu instid0(SALU_CYCLE_1)
	s_and_not1_b32 vcc_lo, exec_lo, s29
	s_cbranch_vccnz .LBB7_420
; %bb.411:
	s_wait_xcnt 0x0
	v_cvt_f32_f64_e32 v2, v[0:1]
	s_mov_b32 s29, exec_lo
                                        ; implicit-def: $vgpr3
	s_delay_alu instid0(VALU_DEP_1) | instskip(NEXT) | instid1(VALU_DEP_1)
	v_and_b32_e32 v5, 0x7fffffff, v2
	v_cmpx_gt_u32_e32 0x47800000, v5
	s_xor_b32 s29, exec_lo, s29
	s_cbranch_execz .LBB7_417
; %bb.412:
	s_mov_b32 s30, exec_lo
                                        ; implicit-def: $vgpr3
	v_cmpx_lt_u32_e32 0x387fffff, v5
	s_xor_b32 s30, exec_lo, s30
; %bb.413:
	v_bfe_u32 v3, v2, 21, 1
	s_delay_alu instid0(VALU_DEP_1) | instskip(NEXT) | instid1(VALU_DEP_1)
	v_add3_u32 v3, v2, v3, 0x80fffff
	v_lshrrev_b32_e32 v3, 21, v3
; %bb.414:
	s_and_not1_saveexec_b32 s30, s30
; %bb.415:
	v_add_f32_e64 v3, 0x43000000, |v2|
; %bb.416:
	s_or_b32 exec_lo, exec_lo, s30
                                        ; implicit-def: $vgpr5
.LBB7_417:
	s_and_not1_saveexec_b32 s29, s29
; %bb.418:
	v_mov_b32_e32 v3, 0x7f
	v_cmp_lt_u32_e32 vcc_lo, 0x7f800000, v5
	s_delay_alu instid0(VALU_DEP_2)
	v_cndmask_b32_e32 v3, 0x7c, v3, vcc_lo
; %bb.419:
	s_or_b32 exec_lo, exec_lo, s29
	v_lshrrev_b32_e32 v2, 24, v2
	s_delay_alu instid0(VALU_DEP_1)
	v_and_or_b32 v2, 0x80, v2, v3
	global_store_b8 v[6:7], v2, off
.LBB7_420:
	s_mov_b32 s30, 0
	s_mov_b32 s29, -1
.LBB7_421:
	s_and_not1_b32 vcc_lo, exec_lo, s30
	s_cbranch_vccnz .LBB7_429
; %bb.422:
	s_cmp_gt_i32 s28, 14
	s_mov_b32 s30, -1
	s_cbranch_scc0 .LBB7_426
; %bb.423:
	s_cmp_eq_u32 s28, 15
	s_mov_b32 s0, -1
	s_cbranch_scc0 .LBB7_425
; %bb.424:
	s_wait_xcnt 0x0
	v_cvt_f32_f64_e32 v2, v[0:1]
	s_mov_b32 s29, -1
	s_mov_b32 s0, 0
	s_delay_alu instid0(VALU_DEP_1) | instskip(SKIP_1) | instid1(VALU_DEP_2)
	v_bfe_u32 v3, v2, 16, 1
	v_cmp_o_f32_e32 vcc_lo, v2, v2
	v_add3_u32 v3, v2, v3, 0x7fff
	s_delay_alu instid0(VALU_DEP_1) | instskip(NEXT) | instid1(VALU_DEP_1)
	v_lshrrev_b32_e32 v3, 16, v3
	v_cndmask_b32_e32 v2, 0x7fc0, v3, vcc_lo
	global_store_b16 v[6:7], v2, off
.LBB7_425:
	s_mov_b32 s30, 0
.LBB7_426:
	s_delay_alu instid0(SALU_CYCLE_1)
	s_and_b32 vcc_lo, exec_lo, s30
	s_cbranch_vccz .LBB7_429
; %bb.427:
	s_cmp_eq_u32 s28, 11
	s_mov_b32 s0, -1
	s_cbranch_scc0 .LBB7_429
; %bb.428:
	v_cmp_neq_f64_e32 vcc_lo, 0, v[0:1]
	s_mov_b32 s29, -1
	s_mov_b32 s0, 0
	s_wait_xcnt 0x0
	v_cndmask_b32_e64 v2, 0, 1, vcc_lo
	global_store_b8 v[6:7], v2, off
.LBB7_429:
.LBB7_430:
	s_and_not1_b32 vcc_lo, exec_lo, s29
	s_cbranch_vccnz .LBB7_343
.LBB7_431:
	v_add_nc_u32_e32 v4, 0x80, v4
	s_mov_b32 s27, -1
	s_branch .LBB7_544
.LBB7_432:
	s_mov_b32 s26, -1
                                        ; implicit-def: $vgpr8_vgpr9
.LBB7_433:
	s_mov_b32 s28, 0
.LBB7_434:
	s_delay_alu instid0(SALU_CYCLE_1)
	s_and_b32 vcc_lo, exec_lo, s28
	s_cbranch_vccz .LBB7_438
; %bb.435:
	s_cmp_eq_u32 s0, 29
	s_cbranch_scc0 .LBB7_437
; %bb.436:
	global_load_b64 v[6:7], v[2:3], off
	s_mov_b32 s27, -1
	s_mov_b32 s26, 0
	s_mov_b32 s28, 0
	s_wait_loadcnt 0x0
	v_cvt_f64_u32_e32 v[8:9], v7
	v_cvt_f64_u32_e32 v[6:7], v6
	s_delay_alu instid0(VALU_DEP_2) | instskip(NEXT) | instid1(VALU_DEP_1)
	v_ldexp_f64 v[8:9], v[8:9], 32
	v_add_f64_e32 v[8:9], v[8:9], v[6:7]
	s_branch .LBB7_439
.LBB7_437:
	s_mov_b32 s26, -1
                                        ; implicit-def: $vgpr8_vgpr9
.LBB7_438:
	s_mov_b32 s28, 0
.LBB7_439:
	s_delay_alu instid0(SALU_CYCLE_1)
	s_and_b32 vcc_lo, exec_lo, s28
	s_cbranch_vccz .LBB7_457
; %bb.440:
	s_cmp_lt_i32 s0, 27
	s_cbranch_scc1 .LBB7_443
; %bb.441:
	s_cmp_gt_i32 s0, 27
	s_cbranch_scc0 .LBB7_444
; %bb.442:
	global_load_b32 v1, v[2:3], off
	s_mov_b32 s27, 0
	s_wait_loadcnt 0x0
	v_cvt_f64_u32_e32 v[8:9], v1
	s_branch .LBB7_445
.LBB7_443:
	s_mov_b32 s27, -1
                                        ; implicit-def: $vgpr8_vgpr9
	s_branch .LBB7_448
.LBB7_444:
	s_mov_b32 s27, -1
                                        ; implicit-def: $vgpr8_vgpr9
.LBB7_445:
	s_delay_alu instid0(SALU_CYCLE_1)
	s_and_not1_b32 vcc_lo, exec_lo, s27
	s_cbranch_vccnz .LBB7_447
; %bb.446:
	global_load_u16 v1, v[2:3], off
	s_wait_loadcnt 0x0
	v_cvt_f64_u32_e32 v[8:9], v1
.LBB7_447:
	s_mov_b32 s27, 0
.LBB7_448:
	s_delay_alu instid0(SALU_CYCLE_1)
	s_and_not1_b32 vcc_lo, exec_lo, s27
	s_cbranch_vccnz .LBB7_456
; %bb.449:
	global_load_u8 v1, v[2:3], off
	s_mov_b32 s27, 0
	s_mov_b32 s28, exec_lo
	s_wait_loadcnt 0x0
	v_cmpx_lt_i16_e32 0x7f, v1
	s_xor_b32 s28, exec_lo, s28
	s_cbranch_execz .LBB7_470
; %bb.450:
	s_mov_b32 s27, -1
	s_mov_b32 s29, exec_lo
	v_cmpx_eq_u16_e32 0x80, v1
; %bb.451:
	s_xor_b32 s27, exec_lo, -1
; %bb.452:
	s_or_b32 exec_lo, exec_lo, s29
	s_delay_alu instid0(SALU_CYCLE_1)
	s_and_b32 s27, s27, exec_lo
	s_or_saveexec_b32 s28, s28
	v_mov_b64_e32 v[8:9], 0x7ff8000020000000
	s_xor_b32 exec_lo, exec_lo, s28
	s_cbranch_execnz .LBB7_471
.LBB7_453:
	s_or_b32 exec_lo, exec_lo, s28
	s_and_saveexec_b32 s28, s27
	s_cbranch_execz .LBB7_455
.LBB7_454:
	v_and_b32_e32 v5, 0xffff, v1
	s_delay_alu instid0(VALU_DEP_1) | instskip(SKIP_1) | instid1(VALU_DEP_2)
	v_and_b32_e32 v6, 7, v5
	v_bfe_u32 v9, v5, 3, 4
	v_clz_i32_u32_e32 v7, v6
	s_delay_alu instid0(VALU_DEP_2) | instskip(NEXT) | instid1(VALU_DEP_2)
	v_cmp_eq_u32_e32 vcc_lo, 0, v9
	v_min_u32_e32 v7, 32, v7
	s_delay_alu instid0(VALU_DEP_1) | instskip(NEXT) | instid1(VALU_DEP_1)
	v_subrev_nc_u32_e32 v8, 28, v7
	v_dual_lshlrev_b32 v5, v8, v5 :: v_dual_sub_nc_u32 v7, 29, v7
	s_delay_alu instid0(VALU_DEP_1) | instskip(NEXT) | instid1(VALU_DEP_2)
	v_and_b32_e32 v5, 7, v5
	v_dual_lshlrev_b32 v1, 24, v1 :: v_dual_cndmask_b32 v7, v9, v7, vcc_lo
	s_delay_alu instid0(VALU_DEP_2) | instskip(NEXT) | instid1(VALU_DEP_2)
	v_cndmask_b32_e32 v5, v6, v5, vcc_lo
	v_and_b32_e32 v1, 0x80000000, v1
	s_delay_alu instid0(VALU_DEP_3) | instskip(NEXT) | instid1(VALU_DEP_3)
	v_lshl_add_u32 v6, v7, 23, 0x3b800000
	v_lshlrev_b32_e32 v5, 20, v5
	s_delay_alu instid0(VALU_DEP_1) | instskip(NEXT) | instid1(VALU_DEP_1)
	v_or3_b32 v1, v1, v6, v5
	v_cvt_f64_f32_e32 v[8:9], v1
.LBB7_455:
	s_or_b32 exec_lo, exec_lo, s28
.LBB7_456:
	s_mov_b32 s27, -1
.LBB7_457:
	s_mov_b32 s28, 0
.LBB7_458:
	s_delay_alu instid0(SALU_CYCLE_1)
	s_and_b32 vcc_lo, exec_lo, s28
	s_cbranch_vccz .LBB7_493
; %bb.459:
	s_cmp_gt_i32 s0, 22
	s_cbranch_scc0 .LBB7_469
; %bb.460:
	s_cmp_lt_i32 s0, 24
	s_cbranch_scc1 .LBB7_472
; %bb.461:
	s_cmp_gt_i32 s0, 24
	s_cbranch_scc0 .LBB7_473
; %bb.462:
	global_load_u8 v1, v[2:3], off
	s_mov_b32 s27, 0
	s_mov_b32 s28, exec_lo
	s_wait_loadcnt 0x0
	v_cmpx_lt_i16_e32 0x7f, v1
	s_xor_b32 s28, exec_lo, s28
	s_cbranch_execz .LBB7_485
; %bb.463:
	s_mov_b32 s27, -1
	s_mov_b32 s29, exec_lo
	v_cmpx_eq_u16_e32 0x80, v1
; %bb.464:
	s_xor_b32 s27, exec_lo, -1
; %bb.465:
	s_or_b32 exec_lo, exec_lo, s29
	s_delay_alu instid0(SALU_CYCLE_1)
	s_and_b32 s27, s27, exec_lo
	s_or_saveexec_b32 s28, s28
	v_mov_b64_e32 v[8:9], 0x7ff8000020000000
	s_xor_b32 exec_lo, exec_lo, s28
	s_cbranch_execnz .LBB7_486
.LBB7_466:
	s_or_b32 exec_lo, exec_lo, s28
	s_and_saveexec_b32 s28, s27
	s_cbranch_execz .LBB7_468
.LBB7_467:
	v_and_b32_e32 v5, 0xffff, v1
	s_delay_alu instid0(VALU_DEP_1) | instskip(SKIP_1) | instid1(VALU_DEP_2)
	v_and_b32_e32 v6, 3, v5
	v_bfe_u32 v9, v5, 2, 5
	v_clz_i32_u32_e32 v7, v6
	s_delay_alu instid0(VALU_DEP_2) | instskip(NEXT) | instid1(VALU_DEP_2)
	v_cmp_eq_u32_e32 vcc_lo, 0, v9
	v_min_u32_e32 v7, 32, v7
	s_delay_alu instid0(VALU_DEP_1) | instskip(NEXT) | instid1(VALU_DEP_1)
	v_subrev_nc_u32_e32 v8, 29, v7
	v_dual_lshlrev_b32 v5, v8, v5 :: v_dual_sub_nc_u32 v7, 30, v7
	s_delay_alu instid0(VALU_DEP_1) | instskip(NEXT) | instid1(VALU_DEP_2)
	v_and_b32_e32 v5, 3, v5
	v_dual_lshlrev_b32 v1, 24, v1 :: v_dual_cndmask_b32 v7, v9, v7, vcc_lo
	s_delay_alu instid0(VALU_DEP_2) | instskip(NEXT) | instid1(VALU_DEP_2)
	v_cndmask_b32_e32 v5, v6, v5, vcc_lo
	v_and_b32_e32 v1, 0x80000000, v1
	s_delay_alu instid0(VALU_DEP_3) | instskip(NEXT) | instid1(VALU_DEP_3)
	v_lshl_add_u32 v6, v7, 23, 0x37800000
	v_lshlrev_b32_e32 v5, 21, v5
	s_delay_alu instid0(VALU_DEP_1) | instskip(NEXT) | instid1(VALU_DEP_1)
	v_or3_b32 v1, v1, v6, v5
	v_cvt_f64_f32_e32 v[8:9], v1
.LBB7_468:
	s_or_b32 exec_lo, exec_lo, s28
	s_mov_b32 s27, 0
	s_branch .LBB7_474
.LBB7_469:
	s_mov_b32 s28, -1
                                        ; implicit-def: $vgpr8_vgpr9
	s_branch .LBB7_480
.LBB7_470:
	s_or_saveexec_b32 s28, s28
	v_mov_b64_e32 v[8:9], 0x7ff8000020000000
	s_xor_b32 exec_lo, exec_lo, s28
	s_cbranch_execz .LBB7_453
.LBB7_471:
	v_cmp_ne_u16_e32 vcc_lo, 0, v1
	v_mov_b64_e32 v[8:9], 0
	s_and_not1_b32 s27, s27, exec_lo
	s_and_b32 s29, vcc_lo, exec_lo
	s_delay_alu instid0(SALU_CYCLE_1)
	s_or_b32 s27, s27, s29
	s_or_b32 exec_lo, exec_lo, s28
	s_and_saveexec_b32 s28, s27
	s_cbranch_execnz .LBB7_454
	s_branch .LBB7_455
.LBB7_472:
	s_mov_b32 s27, -1
                                        ; implicit-def: $vgpr8_vgpr9
	s_branch .LBB7_477
.LBB7_473:
	s_mov_b32 s27, -1
                                        ; implicit-def: $vgpr8_vgpr9
.LBB7_474:
	s_delay_alu instid0(SALU_CYCLE_1)
	s_and_b32 vcc_lo, exec_lo, s27
	s_cbranch_vccz .LBB7_476
; %bb.475:
	global_load_u8 v1, v[2:3], off
	s_wait_loadcnt 0x0
	v_lshlrev_b32_e32 v1, 24, v1
	s_delay_alu instid0(VALU_DEP_1) | instskip(NEXT) | instid1(VALU_DEP_1)
	v_and_b32_e32 v5, 0x7f000000, v1
	v_clz_i32_u32_e32 v6, v5
	v_cmp_ne_u32_e32 vcc_lo, 0, v5
	v_add_nc_u32_e32 v8, 0x1000000, v5
	s_delay_alu instid0(VALU_DEP_3) | instskip(NEXT) | instid1(VALU_DEP_1)
	v_min_u32_e32 v6, 32, v6
	v_sub_nc_u32_e64 v6, v6, 4 clamp
	s_delay_alu instid0(VALU_DEP_1) | instskip(NEXT) | instid1(VALU_DEP_1)
	v_dual_lshlrev_b32 v7, v6, v5 :: v_dual_lshlrev_b32 v6, 23, v6
	v_lshrrev_b32_e32 v7, 4, v7
	s_delay_alu instid0(VALU_DEP_1) | instskip(NEXT) | instid1(VALU_DEP_1)
	v_dual_sub_nc_u32 v6, v7, v6 :: v_dual_ashrrev_i32 v7, 8, v8
	v_add_nc_u32_e32 v6, 0x3c000000, v6
	s_delay_alu instid0(VALU_DEP_1) | instskip(NEXT) | instid1(VALU_DEP_1)
	v_and_or_b32 v6, 0x7f800000, v7, v6
	v_cndmask_b32_e32 v5, 0, v6, vcc_lo
	s_delay_alu instid0(VALU_DEP_1) | instskip(NEXT) | instid1(VALU_DEP_1)
	v_and_or_b32 v1, 0x80000000, v1, v5
	v_cvt_f64_f32_e32 v[8:9], v1
.LBB7_476:
	s_mov_b32 s27, 0
.LBB7_477:
	s_delay_alu instid0(SALU_CYCLE_1)
	s_and_not1_b32 vcc_lo, exec_lo, s27
	s_cbranch_vccnz .LBB7_479
; %bb.478:
	global_load_u8 v1, v[2:3], off
	s_wait_loadcnt 0x0
	v_lshlrev_b32_e32 v5, 25, v1
	v_lshlrev_b16 v1, 8, v1
	s_delay_alu instid0(VALU_DEP_1) | instskip(SKIP_1) | instid1(VALU_DEP_2)
	v_and_or_b32 v7, 0x7f00, v1, 0.5
	v_bfe_i32 v1, v1, 0, 16
	v_dual_add_f32 v7, -0.5, v7 :: v_dual_lshrrev_b32 v6, 4, v5
	v_cmp_gt_u32_e32 vcc_lo, 0x8000000, v5
	s_delay_alu instid0(VALU_DEP_2) | instskip(NEXT) | instid1(VALU_DEP_1)
	v_or_b32_e32 v6, 0x70000000, v6
	v_mul_f32_e32 v6, 0x7800000, v6
	s_delay_alu instid0(VALU_DEP_1) | instskip(NEXT) | instid1(VALU_DEP_1)
	v_cndmask_b32_e32 v5, v6, v7, vcc_lo
	v_and_or_b32 v1, 0x80000000, v1, v5
	s_delay_alu instid0(VALU_DEP_1)
	v_cvt_f64_f32_e32 v[8:9], v1
.LBB7_479:
	s_mov_b32 s28, 0
	s_mov_b32 s27, -1
.LBB7_480:
	s_and_not1_b32 vcc_lo, exec_lo, s28
	s_cbranch_vccnz .LBB7_493
; %bb.481:
	s_cmp_gt_i32 s0, 14
	s_cbranch_scc0 .LBB7_484
; %bb.482:
	s_cmp_eq_u32 s0, 15
	s_cbranch_scc0 .LBB7_487
; %bb.483:
	global_load_u16 v1, v[2:3], off
	s_mov_b32 s27, -1
	s_mov_b32 s26, 0
	s_wait_loadcnt 0x0
	v_lshlrev_b32_e32 v1, 16, v1
	s_delay_alu instid0(VALU_DEP_1)
	v_cvt_f64_f32_e32 v[8:9], v1
	s_branch .LBB7_488
.LBB7_484:
	s_mov_b32 s28, -1
                                        ; implicit-def: $vgpr8_vgpr9
	s_branch .LBB7_489
.LBB7_485:
	s_or_saveexec_b32 s28, s28
	v_mov_b64_e32 v[8:9], 0x7ff8000020000000
	s_xor_b32 exec_lo, exec_lo, s28
	s_cbranch_execz .LBB7_466
.LBB7_486:
	v_cmp_ne_u16_e32 vcc_lo, 0, v1
	v_mov_b64_e32 v[8:9], 0
	s_and_not1_b32 s27, s27, exec_lo
	s_and_b32 s29, vcc_lo, exec_lo
	s_delay_alu instid0(SALU_CYCLE_1)
	s_or_b32 s27, s27, s29
	s_or_b32 exec_lo, exec_lo, s28
	s_and_saveexec_b32 s28, s27
	s_cbranch_execnz .LBB7_467
	s_branch .LBB7_468
.LBB7_487:
	s_mov_b32 s26, -1
                                        ; implicit-def: $vgpr8_vgpr9
.LBB7_488:
	s_mov_b32 s28, 0
.LBB7_489:
	s_delay_alu instid0(SALU_CYCLE_1)
	s_and_b32 vcc_lo, exec_lo, s28
	s_cbranch_vccz .LBB7_493
; %bb.490:
	s_cmp_eq_u32 s0, 11
	s_cbranch_scc0 .LBB7_492
; %bb.491:
	global_load_u8 v1, v[2:3], off
	s_wait_loadcnt 0x1
	v_mov_b32_e32 v8, 0
	s_mov_b32 s26, 0
	s_mov_b32 s27, -1
	s_wait_loadcnt 0x0
	v_cmp_ne_u16_e32 vcc_lo, 0, v1
	v_cndmask_b32_e64 v9, 0, 0x3ff00000, vcc_lo
	s_branch .LBB7_493
.LBB7_492:
	s_mov_b32 s26, -1
                                        ; implicit-def: $vgpr8_vgpr9
.LBB7_493:
	s_branch .LBB7_296
.LBB7_494:
	s_cmp_lt_i32 s0, 5
	s_cbranch_scc1 .LBB7_499
; %bb.495:
	s_cmp_lt_i32 s0, 8
	s_cbranch_scc1 .LBB7_500
; %bb.496:
	;; [unrolled: 3-line block ×3, first 2 shown]
	s_cmp_gt_i32 s0, 9
	s_cbranch_scc0 .LBB7_502
; %bb.498:
	s_wait_loadcnt 0x0
	global_load_b64 v[8:9], v[2:3], off
	s_mov_b32 s27, 0
	s_branch .LBB7_503
.LBB7_499:
	s_mov_b32 s27, -1
                                        ; implicit-def: $vgpr8_vgpr9
	s_branch .LBB7_521
.LBB7_500:
	s_mov_b32 s27, -1
                                        ; implicit-def: $vgpr8_vgpr9
	s_branch .LBB7_509
.LBB7_501:
	s_mov_b32 s27, -1
                                        ; implicit-def: $vgpr8_vgpr9
	s_branch .LBB7_506
.LBB7_502:
	s_mov_b32 s27, -1
                                        ; implicit-def: $vgpr8_vgpr9
.LBB7_503:
	s_delay_alu instid0(SALU_CYCLE_1)
	s_and_not1_b32 vcc_lo, exec_lo, s27
	s_cbranch_vccnz .LBB7_505
; %bb.504:
	global_load_b32 v1, v[2:3], off
	s_wait_loadcnt 0x0
	v_cvt_f64_f32_e32 v[8:9], v1
.LBB7_505:
	s_mov_b32 s27, 0
.LBB7_506:
	s_delay_alu instid0(SALU_CYCLE_1)
	s_and_not1_b32 vcc_lo, exec_lo, s27
	s_cbranch_vccnz .LBB7_508
; %bb.507:
	global_load_b32 v1, v[2:3], off
	s_wait_loadcnt 0x0
	v_cvt_f32_f16_e32 v1, v1
	s_delay_alu instid0(VALU_DEP_1)
	v_cvt_f64_f32_e32 v[8:9], v1
.LBB7_508:
	s_mov_b32 s27, 0
.LBB7_509:
	s_delay_alu instid0(SALU_CYCLE_1)
	s_and_not1_b32 vcc_lo, exec_lo, s27
	s_cbranch_vccnz .LBB7_520
; %bb.510:
	s_cmp_lt_i32 s0, 6
	s_cbranch_scc1 .LBB7_513
; %bb.511:
	s_cmp_gt_i32 s0, 6
	s_cbranch_scc0 .LBB7_514
; %bb.512:
	s_wait_loadcnt 0x0
	global_load_b64 v[8:9], v[2:3], off
	s_mov_b32 s27, 0
	s_branch .LBB7_515
.LBB7_513:
	s_mov_b32 s27, -1
                                        ; implicit-def: $vgpr8_vgpr9
	s_branch .LBB7_518
.LBB7_514:
	s_mov_b32 s27, -1
                                        ; implicit-def: $vgpr8_vgpr9
.LBB7_515:
	s_delay_alu instid0(SALU_CYCLE_1)
	s_and_not1_b32 vcc_lo, exec_lo, s27
	s_cbranch_vccnz .LBB7_517
; %bb.516:
	global_load_b32 v1, v[2:3], off
	s_wait_loadcnt 0x0
	v_cvt_f64_f32_e32 v[8:9], v1
.LBB7_517:
	s_mov_b32 s27, 0
.LBB7_518:
	s_delay_alu instid0(SALU_CYCLE_1)
	s_and_not1_b32 vcc_lo, exec_lo, s27
	s_cbranch_vccnz .LBB7_520
; %bb.519:
	global_load_u16 v1, v[2:3], off
	s_wait_loadcnt 0x0
	v_cvt_f32_f16_e32 v1, v1
	s_delay_alu instid0(VALU_DEP_1)
	v_cvt_f64_f32_e32 v[8:9], v1
.LBB7_520:
	s_mov_b32 s27, 0
.LBB7_521:
	s_delay_alu instid0(SALU_CYCLE_1)
	s_and_not1_b32 vcc_lo, exec_lo, s27
	s_cbranch_vccnz .LBB7_541
; %bb.522:
	s_cmp_lt_i32 s0, 2
	s_cbranch_scc1 .LBB7_526
; %bb.523:
	s_cmp_lt_i32 s0, 3
	s_cbranch_scc1 .LBB7_527
; %bb.524:
	s_cmp_gt_i32 s0, 3
	s_cbranch_scc0 .LBB7_528
; %bb.525:
	global_load_b64 v[6:7], v[2:3], off
	s_mov_b32 s27, 0
	s_wait_loadcnt 0x0
	v_cvt_f64_i32_e32 v[8:9], v7
	v_cvt_f64_u32_e32 v[6:7], v6
	s_delay_alu instid0(VALU_DEP_2) | instskip(NEXT) | instid1(VALU_DEP_1)
	v_ldexp_f64 v[8:9], v[8:9], 32
	v_add_f64_e32 v[8:9], v[8:9], v[6:7]
	s_branch .LBB7_529
.LBB7_526:
	s_mov_b32 s27, -1
                                        ; implicit-def: $vgpr8_vgpr9
	s_branch .LBB7_535
.LBB7_527:
	s_mov_b32 s27, -1
                                        ; implicit-def: $vgpr8_vgpr9
	s_branch .LBB7_532
.LBB7_528:
	s_mov_b32 s27, -1
                                        ; implicit-def: $vgpr8_vgpr9
.LBB7_529:
	s_delay_alu instid0(SALU_CYCLE_1)
	s_and_not1_b32 vcc_lo, exec_lo, s27
	s_cbranch_vccnz .LBB7_531
; %bb.530:
	global_load_b32 v1, v[2:3], off
	s_wait_loadcnt 0x0
	v_cvt_f64_i32_e32 v[8:9], v1
.LBB7_531:
	s_mov_b32 s27, 0
.LBB7_532:
	s_delay_alu instid0(SALU_CYCLE_1)
	s_and_not1_b32 vcc_lo, exec_lo, s27
	s_cbranch_vccnz .LBB7_534
; %bb.533:
	global_load_i16 v1, v[2:3], off
	s_wait_loadcnt 0x0
	v_cvt_f64_i32_e32 v[8:9], v1
.LBB7_534:
	s_mov_b32 s27, 0
.LBB7_535:
	s_delay_alu instid0(SALU_CYCLE_1)
	s_and_not1_b32 vcc_lo, exec_lo, s27
	s_cbranch_vccnz .LBB7_541
; %bb.536:
	s_cmp_gt_i32 s0, 0
	s_mov_b32 s0, 0
	s_cbranch_scc0 .LBB7_538
; %bb.537:
	global_load_i8 v1, v[2:3], off
	s_wait_loadcnt 0x0
	v_cvt_f64_i32_e32 v[8:9], v1
	s_branch .LBB7_539
.LBB7_538:
	s_mov_b32 s0, -1
                                        ; implicit-def: $vgpr8_vgpr9
.LBB7_539:
	s_delay_alu instid0(SALU_CYCLE_1)
	s_and_not1_b32 vcc_lo, exec_lo, s0
	s_cbranch_vccnz .LBB7_541
; %bb.540:
	global_load_u8 v1, v[2:3], off
	s_wait_loadcnt 0x0
	v_cvt_f64_u32_e32 v[8:9], v1
.LBB7_541:
	s_branch .LBB7_297
.LBB7_542:
	s_mov_b32 s27, 0
	s_mov_b32 s0, s41
.LBB7_543:
                                        ; implicit-def: $vgpr4
.LBB7_544:
	s_and_not1_b32 s28, s41, exec_lo
	s_and_b32 s0, s0, exec_lo
	s_and_not1_b32 s29, s42, exec_lo
	s_and_b32 s26, s26, exec_lo
	s_or_b32 s45, s28, s0
	s_or_b32 s44, s29, s26
	s_or_not1_b32 s0, s27, exec_lo
.LBB7_545:
	s_wait_xcnt 0x0
	s_or_b32 exec_lo, exec_lo, s46
	s_mov_b32 s27, 0
	s_mov_b32 s26, 0
	s_mov_b32 s28, 0
                                        ; implicit-def: $vgpr0_vgpr1
                                        ; implicit-def: $vgpr2
                                        ; implicit-def: $vgpr6_vgpr7
	s_and_saveexec_b32 s46, s0
	s_cbranch_execz .LBB7_925
; %bb.546:
	s_mov_b32 s29, -1
	s_mov_b32 s0, s44
	s_mov_b32 s30, s45
	s_mov_b32 s47, exec_lo
	v_cmpx_gt_i32_e64 s38, v4
	s_cbranch_execz .LBB7_822
; %bb.547:
	s_and_not1_b32 vcc_lo, exec_lo, s35
	s_cbranch_vccnz .LBB7_553
; %bb.548:
	s_and_not1_b32 vcc_lo, exec_lo, s40
	s_cbranch_vccnz .LBB7_554
; %bb.549:
	s_add_co_i32 s0, s39, 1
	s_cmp_eq_u32 s33, 2
	s_cbranch_scc1 .LBB7_555
; %bb.550:
	v_dual_mov_b32 v0, 0 :: v_dual_mov_b32 v2, 0
	v_mov_b32_e32 v3, v4
	s_and_b32 s26, s0, 28
	s_mov_b64 s[28:29], s[2:3]
	s_mov_b64 s[30:31], s[24:25]
.LBB7_551:                              ; =>This Inner Loop Header: Depth=1
	s_clause 0x1
	s_load_b256 s[48:55], s[28:29], 0x4
	s_load_b128 s[64:67], s[28:29], 0x24
	s_load_b256 s[56:63], s[30:31], 0x0
	s_add_co_i32 s27, s27, 4
	s_wait_xcnt 0x0
	s_add_nc_u64 s[28:29], s[28:29], 48
	s_cmp_eq_u32 s26, s27
	s_add_nc_u64 s[30:31], s[30:31], 32
	s_wait_kmcnt 0x0
	v_mul_hi_u32 v1, s49, v3
	s_delay_alu instid0(VALU_DEP_1) | instskip(NEXT) | instid1(VALU_DEP_1)
	v_add_nc_u32_e32 v1, v3, v1
	v_lshrrev_b32_e32 v1, s50, v1
	s_delay_alu instid0(VALU_DEP_1) | instskip(NEXT) | instid1(VALU_DEP_1)
	v_mul_lo_u32 v7, v1, s48
	v_sub_nc_u32_e32 v3, v3, v7
	v_mul_hi_u32 v5, s52, v1
	s_delay_alu instid0(VALU_DEP_2) | instskip(SKIP_1) | instid1(VALU_DEP_3)
	v_mad_u32 v2, v3, s57, v2
	v_mad_u32 v0, v3, s56, v0
	v_add_nc_u32_e32 v5, v1, v5
	s_delay_alu instid0(VALU_DEP_1) | instskip(NEXT) | instid1(VALU_DEP_1)
	v_lshrrev_b32_e32 v5, s53, v5
	v_mul_lo_u32 v7, v5, s51
	s_delay_alu instid0(VALU_DEP_1) | instskip(SKIP_1) | instid1(VALU_DEP_2)
	v_sub_nc_u32_e32 v1, v1, v7
	v_mul_hi_u32 v6, s55, v5
	v_mad_u32 v2, v1, s59, v2
	v_mad_u32 v0, v1, s58, v0
	s_delay_alu instid0(VALU_DEP_3) | instskip(NEXT) | instid1(VALU_DEP_1)
	v_add_nc_u32_e32 v6, v5, v6
	v_lshrrev_b32_e32 v6, s64, v6
	s_wait_loadcnt 0x0
	s_delay_alu instid0(VALU_DEP_1) | instskip(SKIP_1) | instid1(VALU_DEP_1)
	v_mul_hi_u32 v8, s66, v6
	v_mul_lo_u32 v7, v6, s54
	v_dual_add_nc_u32 v3, v6, v8 :: v_dual_sub_nc_u32 v1, v5, v7
	s_delay_alu instid0(VALU_DEP_1) | instskip(NEXT) | instid1(VALU_DEP_2)
	v_lshrrev_b32_e32 v3, s67, v3
	v_mad_u32 v2, v1, s61, v2
	v_mad_u32 v0, v1, s60, v0
	s_delay_alu instid0(VALU_DEP_3) | instskip(NEXT) | instid1(VALU_DEP_1)
	v_mul_lo_u32 v5, v3, s65
	v_sub_nc_u32_e32 v1, v6, v5
	s_delay_alu instid0(VALU_DEP_1) | instskip(NEXT) | instid1(VALU_DEP_4)
	v_mad_u32 v2, v1, s63, v2
	v_mad_u32 v0, v1, s62, v0
	s_cbranch_scc0 .LBB7_551
; %bb.552:
	s_delay_alu instid0(VALU_DEP_2)
	v_mov_b32_e32 v1, v2
	s_branch .LBB7_556
.LBB7_553:
	s_mov_b32 s0, -1
                                        ; implicit-def: $vgpr2
                                        ; implicit-def: $vgpr0
	s_branch .LBB7_561
.LBB7_554:
	v_dual_mov_b32 v2, 0 :: v_dual_mov_b32 v0, 0
	s_branch .LBB7_560
.LBB7_555:
	v_mov_b64_e32 v[0:1], 0
	v_mov_b32_e32 v3, v4
                                        ; implicit-def: $vgpr2
.LBB7_556:
	s_and_b32 s0, s0, 3
	s_mov_b32 s27, 0
	s_cmp_eq_u32 s0, 0
	s_cbranch_scc1 .LBB7_560
; %bb.557:
	s_lshl_b32 s28, s26, 3
	s_mov_b32 s29, s27
	s_mul_u64 s[30:31], s[26:27], 12
	s_add_nc_u64 s[28:29], s[2:3], s[28:29]
	s_delay_alu instid0(SALU_CYCLE_1)
	s_add_nc_u64 s[26:27], s[28:29], 0xc4
	s_add_nc_u64 s[28:29], s[2:3], s[30:31]
.LBB7_558:                              ; =>This Inner Loop Header: Depth=1
	s_load_b96 s[48:50], s[28:29], 0x4
	s_load_b64 s[30:31], s[26:27], 0x0
	s_add_co_i32 s0, s0, -1
	s_wait_xcnt 0x0
	s_add_nc_u64 s[28:29], s[28:29], 12
	s_cmp_lg_u32 s0, 0
	s_add_nc_u64 s[26:27], s[26:27], 8
	s_wait_kmcnt 0x0
	v_mul_hi_u32 v2, s49, v3
	s_delay_alu instid0(VALU_DEP_1) | instskip(NEXT) | instid1(VALU_DEP_1)
	v_add_nc_u32_e32 v2, v3, v2
	v_lshrrev_b32_e32 v2, s50, v2
	s_delay_alu instid0(VALU_DEP_1) | instskip(NEXT) | instid1(VALU_DEP_1)
	v_mul_lo_u32 v5, v2, s48
	v_sub_nc_u32_e32 v3, v3, v5
	s_delay_alu instid0(VALU_DEP_1)
	v_mad_u32 v1, v3, s31, v1
	v_mad_u32 v0, v3, s30, v0
	v_mov_b32_e32 v3, v2
	s_cbranch_scc1 .LBB7_558
; %bb.559:
	s_delay_alu instid0(VALU_DEP_3)
	v_mov_b32_e32 v2, v1
.LBB7_560:
	s_mov_b32 s0, 0
.LBB7_561:
	s_delay_alu instid0(SALU_CYCLE_1)
	s_and_not1_b32 vcc_lo, exec_lo, s0
	s_cbranch_vccnz .LBB7_564
; %bb.562:
	v_mov_b32_e32 v5, 0
	s_and_not1_b32 vcc_lo, exec_lo, s37
	s_delay_alu instid0(VALU_DEP_1) | instskip(NEXT) | instid1(VALU_DEP_1)
	v_mul_u64_e32 v[0:1], s[20:21], v[4:5]
	v_add_nc_u32_e32 v0, v4, v1
	s_delay_alu instid0(VALU_DEP_1) | instskip(NEXT) | instid1(VALU_DEP_1)
	v_lshrrev_b32_e32 v6, s10, v0
	v_mul_lo_u32 v0, v6, s8
	s_delay_alu instid0(VALU_DEP_1) | instskip(NEXT) | instid1(VALU_DEP_1)
	v_sub_nc_u32_e32 v0, v4, v0
	v_mul_lo_u32 v2, v0, s13
	v_mul_lo_u32 v0, v0, s12
	s_cbranch_vccnz .LBB7_564
; %bb.563:
	v_mov_b32_e32 v7, v5
	s_wait_loadcnt 0x0
	s_delay_alu instid0(VALU_DEP_1) | instskip(NEXT) | instid1(VALU_DEP_1)
	v_mul_u64_e32 v[8:9], s[22:23], v[6:7]
	v_add_nc_u32_e32 v1, v6, v9
	s_delay_alu instid0(VALU_DEP_1) | instskip(NEXT) | instid1(VALU_DEP_1)
	v_lshrrev_b32_e32 v1, s1, v1
	v_mul_lo_u32 v1, v1, s11
	s_delay_alu instid0(VALU_DEP_1) | instskip(NEXT) | instid1(VALU_DEP_1)
	v_sub_nc_u32_e32 v1, v6, v1
	v_mad_u32 v0, v1, s14, v0
	v_mad_u32 v2, v1, s15, v2
.LBB7_564:
	v_mov_b32_e32 v3, 0
	s_and_b32 s0, 0xffff, s9
	s_delay_alu instid0(SALU_CYCLE_1) | instskip(NEXT) | instid1(VALU_DEP_1)
	s_cmp_lt_i32 s0, 11
	v_add_nc_u64_e32 v[2:3], s[6:7], v[2:3]
	s_cbranch_scc1 .LBB7_571
; %bb.565:
	s_cmp_gt_i32 s0, 25
	s_cbranch_scc0 .LBB7_572
; %bb.566:
	s_cmp_gt_i32 s0, 28
	s_cbranch_scc0 .LBB7_573
	;; [unrolled: 3-line block ×4, first 2 shown]
; %bb.569:
	s_cmp_eq_u32 s0, 46
	s_mov_b32 s28, 0
	s_cbranch_scc0 .LBB7_580
; %bb.570:
	global_load_b32 v1, v[2:3], off
	s_mov_b32 s27, -1
	s_mov_b32 s26, 0
	s_wait_loadcnt 0x0
	v_lshlrev_b32_e32 v1, 16, v1
	s_delay_alu instid0(VALU_DEP_1)
	v_cvt_f64_f32_e32 v[8:9], v1
	s_branch .LBB7_582
.LBB7_571:
	s_mov_b32 s28, -1
	s_mov_b32 s27, 0
	s_mov_b32 s26, s44
                                        ; implicit-def: $vgpr8_vgpr9
	s_branch .LBB7_647
.LBB7_572:
	s_mov_b32 s28, -1
	s_mov_b32 s27, 0
	s_mov_b32 s26, s44
                                        ; implicit-def: $vgpr8_vgpr9
	s_branch .LBB7_611
.LBB7_573:
	s_mov_b32 s28, -1
	s_mov_b32 s27, 0
	s_mov_b32 s26, s44
                                        ; implicit-def: $vgpr8_vgpr9
	s_branch .LBB7_592
.LBB7_574:
	s_mov_b32 s28, -1
	s_mov_b32 s27, 0
	s_mov_b32 s26, s44
                                        ; implicit-def: $vgpr8_vgpr9
	s_branch .LBB7_587
.LBB7_575:
	s_and_not1_saveexec_b32 s31, s31
	s_cbranch_execz .LBB7_382
.LBB7_576:
	v_add_f32_e64 v3, 0x46000000, |v2|
	s_and_not1_b32 s30, s30, exec_lo
	s_delay_alu instid0(VALU_DEP_1) | instskip(NEXT) | instid1(VALU_DEP_1)
	v_and_b32_e32 v3, 0xff, v3
	v_cmp_ne_u32_e32 vcc_lo, 0, v3
	s_and_b32 s44, vcc_lo, exec_lo
	s_delay_alu instid0(SALU_CYCLE_1)
	s_or_b32 s30, s30, s44
	s_or_b32 exec_lo, exec_lo, s31
	v_mov_b32_e32 v5, 0
	s_and_saveexec_b32 s31, s30
	s_cbranch_execnz .LBB7_383
	s_branch .LBB7_384
.LBB7_577:
	s_mov_b32 s28, -1
	s_mov_b32 s27, 0
	s_mov_b32 s26, s44
	s_branch .LBB7_581
.LBB7_578:
	s_and_not1_saveexec_b32 s31, s31
	s_cbranch_execz .LBB7_395
.LBB7_579:
	v_add_f32_e64 v3, 0x42800000, |v2|
	s_and_not1_b32 s30, s30, exec_lo
	s_delay_alu instid0(VALU_DEP_1) | instskip(NEXT) | instid1(VALU_DEP_1)
	v_and_b32_e32 v3, 0xff, v3
	v_cmp_ne_u32_e32 vcc_lo, 0, v3
	s_and_b32 s44, vcc_lo, exec_lo
	s_delay_alu instid0(SALU_CYCLE_1)
	s_or_b32 s30, s30, s44
	s_or_b32 exec_lo, exec_lo, s31
	v_mov_b32_e32 v5, 0
	s_and_saveexec_b32 s31, s30
	s_cbranch_execnz .LBB7_396
	s_branch .LBB7_397
.LBB7_580:
	s_mov_b32 s26, -1
	s_mov_b32 s27, 0
.LBB7_581:
                                        ; implicit-def: $vgpr8_vgpr9
.LBB7_582:
	s_and_b32 vcc_lo, exec_lo, s28
	s_cbranch_vccz .LBB7_586
; %bb.583:
	s_cmp_eq_u32 s0, 44
	s_cbranch_scc0 .LBB7_585
; %bb.584:
	global_load_u8 v1, v[2:3], off
	s_mov_b32 s26, 0
	s_mov_b32 s27, -1
	s_wait_loadcnt 0x0
	v_cmp_ne_u32_e32 vcc_lo, 0xff, v1
	v_lshlrev_b32_e32 v5, 23, v1
	s_delay_alu instid0(VALU_DEP_1) | instskip(NEXT) | instid1(VALU_DEP_1)
	v_cvt_f64_f32_e32 v[6:7], v5
	v_cndmask_b32_e32 v5, 0x20000000, v6, vcc_lo
	s_delay_alu instid0(VALU_DEP_2) | instskip(SKIP_1) | instid1(VALU_DEP_2)
	v_cndmask_b32_e32 v6, 0x7ff80000, v7, vcc_lo
	v_cmp_ne_u32_e32 vcc_lo, 0, v1
	v_cndmask_b32_e32 v9, 0x38000000, v6, vcc_lo
	s_delay_alu instid0(VALU_DEP_4)
	v_cndmask_b32_e32 v8, 0, v5, vcc_lo
	s_branch .LBB7_586
.LBB7_585:
	s_mov_b32 s26, -1
                                        ; implicit-def: $vgpr8_vgpr9
.LBB7_586:
	s_mov_b32 s28, 0
.LBB7_587:
	s_delay_alu instid0(SALU_CYCLE_1)
	s_and_b32 vcc_lo, exec_lo, s28
	s_cbranch_vccz .LBB7_591
; %bb.588:
	s_cmp_eq_u32 s0, 29
	s_cbranch_scc0 .LBB7_590
; %bb.589:
	global_load_b64 v[6:7], v[2:3], off
	s_mov_b32 s27, -1
	s_mov_b32 s26, 0
	s_mov_b32 s28, 0
	s_wait_loadcnt 0x0
	v_cvt_f64_u32_e32 v[8:9], v7
	v_cvt_f64_u32_e32 v[6:7], v6
	s_delay_alu instid0(VALU_DEP_2) | instskip(NEXT) | instid1(VALU_DEP_1)
	v_ldexp_f64 v[8:9], v[8:9], 32
	v_add_f64_e32 v[8:9], v[8:9], v[6:7]
	s_branch .LBB7_592
.LBB7_590:
	s_mov_b32 s26, -1
                                        ; implicit-def: $vgpr8_vgpr9
.LBB7_591:
	s_mov_b32 s28, 0
.LBB7_592:
	s_delay_alu instid0(SALU_CYCLE_1)
	s_and_b32 vcc_lo, exec_lo, s28
	s_cbranch_vccz .LBB7_610
; %bb.593:
	s_cmp_lt_i32 s0, 27
	s_cbranch_scc1 .LBB7_596
; %bb.594:
	s_cmp_gt_i32 s0, 27
	s_cbranch_scc0 .LBB7_597
; %bb.595:
	global_load_b32 v1, v[2:3], off
	s_mov_b32 s27, 0
	s_wait_loadcnt 0x0
	v_cvt_f64_u32_e32 v[8:9], v1
	s_branch .LBB7_598
.LBB7_596:
	s_mov_b32 s27, -1
                                        ; implicit-def: $vgpr8_vgpr9
	s_branch .LBB7_601
.LBB7_597:
	s_mov_b32 s27, -1
                                        ; implicit-def: $vgpr8_vgpr9
.LBB7_598:
	s_delay_alu instid0(SALU_CYCLE_1)
	s_and_not1_b32 vcc_lo, exec_lo, s27
	s_cbranch_vccnz .LBB7_600
; %bb.599:
	global_load_u16 v1, v[2:3], off
	s_wait_loadcnt 0x0
	v_cvt_f64_u32_e32 v[8:9], v1
.LBB7_600:
	s_mov_b32 s27, 0
.LBB7_601:
	s_delay_alu instid0(SALU_CYCLE_1)
	s_and_not1_b32 vcc_lo, exec_lo, s27
	s_cbranch_vccnz .LBB7_609
; %bb.602:
	global_load_u8 v1, v[2:3], off
	s_mov_b32 s27, 0
	s_mov_b32 s28, exec_lo
	s_wait_loadcnt 0x0
	v_cmpx_lt_i16_e32 0x7f, v1
	s_xor_b32 s28, exec_lo, s28
	s_cbranch_execz .LBB7_623
; %bb.603:
	s_mov_b32 s27, -1
	s_mov_b32 s29, exec_lo
	v_cmpx_eq_u16_e32 0x80, v1
; %bb.604:
	s_xor_b32 s27, exec_lo, -1
; %bb.605:
	s_or_b32 exec_lo, exec_lo, s29
	s_delay_alu instid0(SALU_CYCLE_1)
	s_and_b32 s27, s27, exec_lo
	s_or_saveexec_b32 s28, s28
	v_mov_b64_e32 v[8:9], 0x7ff8000020000000
	s_xor_b32 exec_lo, exec_lo, s28
	s_cbranch_execnz .LBB7_624
.LBB7_606:
	s_or_b32 exec_lo, exec_lo, s28
	s_and_saveexec_b32 s28, s27
	s_cbranch_execz .LBB7_608
.LBB7_607:
	v_and_b32_e32 v5, 0xffff, v1
	s_delay_alu instid0(VALU_DEP_1) | instskip(SKIP_1) | instid1(VALU_DEP_2)
	v_and_b32_e32 v6, 7, v5
	v_bfe_u32 v9, v5, 3, 4
	v_clz_i32_u32_e32 v7, v6
	s_delay_alu instid0(VALU_DEP_2) | instskip(NEXT) | instid1(VALU_DEP_2)
	v_cmp_eq_u32_e32 vcc_lo, 0, v9
	v_min_u32_e32 v7, 32, v7
	s_delay_alu instid0(VALU_DEP_1) | instskip(NEXT) | instid1(VALU_DEP_1)
	v_subrev_nc_u32_e32 v8, 28, v7
	v_dual_lshlrev_b32 v5, v8, v5 :: v_dual_sub_nc_u32 v7, 29, v7
	s_delay_alu instid0(VALU_DEP_1) | instskip(NEXT) | instid1(VALU_DEP_2)
	v_and_b32_e32 v5, 7, v5
	v_dual_lshlrev_b32 v1, 24, v1 :: v_dual_cndmask_b32 v7, v9, v7, vcc_lo
	s_delay_alu instid0(VALU_DEP_2) | instskip(NEXT) | instid1(VALU_DEP_2)
	v_cndmask_b32_e32 v5, v6, v5, vcc_lo
	v_and_b32_e32 v1, 0x80000000, v1
	s_delay_alu instid0(VALU_DEP_3) | instskip(NEXT) | instid1(VALU_DEP_3)
	v_lshl_add_u32 v6, v7, 23, 0x3b800000
	v_lshlrev_b32_e32 v5, 20, v5
	s_delay_alu instid0(VALU_DEP_1) | instskip(NEXT) | instid1(VALU_DEP_1)
	v_or3_b32 v1, v1, v6, v5
	v_cvt_f64_f32_e32 v[8:9], v1
.LBB7_608:
	s_or_b32 exec_lo, exec_lo, s28
.LBB7_609:
	s_mov_b32 s27, -1
.LBB7_610:
	s_mov_b32 s28, 0
.LBB7_611:
	s_delay_alu instid0(SALU_CYCLE_1)
	s_and_b32 vcc_lo, exec_lo, s28
	s_cbranch_vccz .LBB7_646
; %bb.612:
	s_cmp_gt_i32 s0, 22
	s_cbranch_scc0 .LBB7_622
; %bb.613:
	s_cmp_lt_i32 s0, 24
	s_cbranch_scc1 .LBB7_625
; %bb.614:
	s_cmp_gt_i32 s0, 24
	s_cbranch_scc0 .LBB7_626
; %bb.615:
	global_load_u8 v1, v[2:3], off
	s_mov_b32 s27, 0
	s_mov_b32 s28, exec_lo
	s_wait_loadcnt 0x0
	v_cmpx_lt_i16_e32 0x7f, v1
	s_xor_b32 s28, exec_lo, s28
	s_cbranch_execz .LBB7_638
; %bb.616:
	s_mov_b32 s27, -1
	s_mov_b32 s29, exec_lo
	v_cmpx_eq_u16_e32 0x80, v1
; %bb.617:
	s_xor_b32 s27, exec_lo, -1
; %bb.618:
	s_or_b32 exec_lo, exec_lo, s29
	s_delay_alu instid0(SALU_CYCLE_1)
	s_and_b32 s27, s27, exec_lo
	s_or_saveexec_b32 s28, s28
	v_mov_b64_e32 v[8:9], 0x7ff8000020000000
	s_xor_b32 exec_lo, exec_lo, s28
	s_cbranch_execnz .LBB7_639
.LBB7_619:
	s_or_b32 exec_lo, exec_lo, s28
	s_and_saveexec_b32 s28, s27
	s_cbranch_execz .LBB7_621
.LBB7_620:
	v_and_b32_e32 v5, 0xffff, v1
	s_delay_alu instid0(VALU_DEP_1) | instskip(SKIP_1) | instid1(VALU_DEP_2)
	v_and_b32_e32 v6, 3, v5
	v_bfe_u32 v9, v5, 2, 5
	v_clz_i32_u32_e32 v7, v6
	s_delay_alu instid0(VALU_DEP_2) | instskip(NEXT) | instid1(VALU_DEP_2)
	v_cmp_eq_u32_e32 vcc_lo, 0, v9
	v_min_u32_e32 v7, 32, v7
	s_delay_alu instid0(VALU_DEP_1) | instskip(NEXT) | instid1(VALU_DEP_1)
	v_subrev_nc_u32_e32 v8, 29, v7
	v_dual_lshlrev_b32 v5, v8, v5 :: v_dual_sub_nc_u32 v7, 30, v7
	s_delay_alu instid0(VALU_DEP_1) | instskip(NEXT) | instid1(VALU_DEP_2)
	v_and_b32_e32 v5, 3, v5
	v_dual_lshlrev_b32 v1, 24, v1 :: v_dual_cndmask_b32 v7, v9, v7, vcc_lo
	s_delay_alu instid0(VALU_DEP_2) | instskip(NEXT) | instid1(VALU_DEP_2)
	v_cndmask_b32_e32 v5, v6, v5, vcc_lo
	v_and_b32_e32 v1, 0x80000000, v1
	s_delay_alu instid0(VALU_DEP_3) | instskip(NEXT) | instid1(VALU_DEP_3)
	v_lshl_add_u32 v6, v7, 23, 0x37800000
	v_lshlrev_b32_e32 v5, 21, v5
	s_delay_alu instid0(VALU_DEP_1) | instskip(NEXT) | instid1(VALU_DEP_1)
	v_or3_b32 v1, v1, v6, v5
	v_cvt_f64_f32_e32 v[8:9], v1
.LBB7_621:
	s_or_b32 exec_lo, exec_lo, s28
	s_mov_b32 s27, 0
	s_branch .LBB7_627
.LBB7_622:
	s_mov_b32 s28, -1
                                        ; implicit-def: $vgpr8_vgpr9
	s_branch .LBB7_633
.LBB7_623:
	s_or_saveexec_b32 s28, s28
	v_mov_b64_e32 v[8:9], 0x7ff8000020000000
	s_xor_b32 exec_lo, exec_lo, s28
	s_cbranch_execz .LBB7_606
.LBB7_624:
	v_cmp_ne_u16_e32 vcc_lo, 0, v1
	v_mov_b64_e32 v[8:9], 0
	s_and_not1_b32 s27, s27, exec_lo
	s_and_b32 s29, vcc_lo, exec_lo
	s_delay_alu instid0(SALU_CYCLE_1)
	s_or_b32 s27, s27, s29
	s_or_b32 exec_lo, exec_lo, s28
	s_and_saveexec_b32 s28, s27
	s_cbranch_execnz .LBB7_607
	s_branch .LBB7_608
.LBB7_625:
	s_mov_b32 s27, -1
                                        ; implicit-def: $vgpr8_vgpr9
	s_branch .LBB7_630
.LBB7_626:
	s_mov_b32 s27, -1
                                        ; implicit-def: $vgpr8_vgpr9
.LBB7_627:
	s_delay_alu instid0(SALU_CYCLE_1)
	s_and_b32 vcc_lo, exec_lo, s27
	s_cbranch_vccz .LBB7_629
; %bb.628:
	global_load_u8 v1, v[2:3], off
	s_wait_loadcnt 0x0
	v_lshlrev_b32_e32 v1, 24, v1
	s_delay_alu instid0(VALU_DEP_1) | instskip(NEXT) | instid1(VALU_DEP_1)
	v_and_b32_e32 v5, 0x7f000000, v1
	v_clz_i32_u32_e32 v6, v5
	v_cmp_ne_u32_e32 vcc_lo, 0, v5
	v_add_nc_u32_e32 v8, 0x1000000, v5
	s_delay_alu instid0(VALU_DEP_3) | instskip(NEXT) | instid1(VALU_DEP_1)
	v_min_u32_e32 v6, 32, v6
	v_sub_nc_u32_e64 v6, v6, 4 clamp
	s_delay_alu instid0(VALU_DEP_1) | instskip(NEXT) | instid1(VALU_DEP_1)
	v_dual_lshlrev_b32 v7, v6, v5 :: v_dual_lshlrev_b32 v6, 23, v6
	v_lshrrev_b32_e32 v7, 4, v7
	s_delay_alu instid0(VALU_DEP_1) | instskip(NEXT) | instid1(VALU_DEP_1)
	v_dual_sub_nc_u32 v6, v7, v6 :: v_dual_ashrrev_i32 v7, 8, v8
	v_add_nc_u32_e32 v6, 0x3c000000, v6
	s_delay_alu instid0(VALU_DEP_1) | instskip(NEXT) | instid1(VALU_DEP_1)
	v_and_or_b32 v6, 0x7f800000, v7, v6
	v_cndmask_b32_e32 v5, 0, v6, vcc_lo
	s_delay_alu instid0(VALU_DEP_1) | instskip(NEXT) | instid1(VALU_DEP_1)
	v_and_or_b32 v1, 0x80000000, v1, v5
	v_cvt_f64_f32_e32 v[8:9], v1
.LBB7_629:
	s_mov_b32 s27, 0
.LBB7_630:
	s_delay_alu instid0(SALU_CYCLE_1)
	s_and_not1_b32 vcc_lo, exec_lo, s27
	s_cbranch_vccnz .LBB7_632
; %bb.631:
	global_load_u8 v1, v[2:3], off
	s_wait_loadcnt 0x0
	v_lshlrev_b32_e32 v5, 25, v1
	v_lshlrev_b16 v1, 8, v1
	s_delay_alu instid0(VALU_DEP_1) | instskip(SKIP_1) | instid1(VALU_DEP_2)
	v_and_or_b32 v7, 0x7f00, v1, 0.5
	v_bfe_i32 v1, v1, 0, 16
	v_dual_add_f32 v7, -0.5, v7 :: v_dual_lshrrev_b32 v6, 4, v5
	v_cmp_gt_u32_e32 vcc_lo, 0x8000000, v5
	s_delay_alu instid0(VALU_DEP_2) | instskip(NEXT) | instid1(VALU_DEP_1)
	v_or_b32_e32 v6, 0x70000000, v6
	v_mul_f32_e32 v6, 0x7800000, v6
	s_delay_alu instid0(VALU_DEP_1) | instskip(NEXT) | instid1(VALU_DEP_1)
	v_cndmask_b32_e32 v5, v6, v7, vcc_lo
	v_and_or_b32 v1, 0x80000000, v1, v5
	s_delay_alu instid0(VALU_DEP_1)
	v_cvt_f64_f32_e32 v[8:9], v1
.LBB7_632:
	s_mov_b32 s28, 0
	s_mov_b32 s27, -1
.LBB7_633:
	s_and_not1_b32 vcc_lo, exec_lo, s28
	s_cbranch_vccnz .LBB7_646
; %bb.634:
	s_cmp_gt_i32 s0, 14
	s_cbranch_scc0 .LBB7_637
; %bb.635:
	s_cmp_eq_u32 s0, 15
	s_cbranch_scc0 .LBB7_640
; %bb.636:
	global_load_u16 v1, v[2:3], off
	s_mov_b32 s27, -1
	s_mov_b32 s26, 0
	s_wait_loadcnt 0x0
	v_lshlrev_b32_e32 v1, 16, v1
	s_delay_alu instid0(VALU_DEP_1)
	v_cvt_f64_f32_e32 v[8:9], v1
	s_branch .LBB7_641
.LBB7_637:
	s_mov_b32 s28, -1
                                        ; implicit-def: $vgpr8_vgpr9
	s_branch .LBB7_642
.LBB7_638:
	s_or_saveexec_b32 s28, s28
	v_mov_b64_e32 v[8:9], 0x7ff8000020000000
	s_xor_b32 exec_lo, exec_lo, s28
	s_cbranch_execz .LBB7_619
.LBB7_639:
	v_cmp_ne_u16_e32 vcc_lo, 0, v1
	v_mov_b64_e32 v[8:9], 0
	s_and_not1_b32 s27, s27, exec_lo
	s_and_b32 s29, vcc_lo, exec_lo
	s_delay_alu instid0(SALU_CYCLE_1)
	s_or_b32 s27, s27, s29
	s_or_b32 exec_lo, exec_lo, s28
	s_and_saveexec_b32 s28, s27
	s_cbranch_execnz .LBB7_620
	s_branch .LBB7_621
.LBB7_640:
	s_mov_b32 s26, -1
                                        ; implicit-def: $vgpr8_vgpr9
.LBB7_641:
	s_mov_b32 s28, 0
.LBB7_642:
	s_delay_alu instid0(SALU_CYCLE_1)
	s_and_b32 vcc_lo, exec_lo, s28
	s_cbranch_vccz .LBB7_646
; %bb.643:
	s_cmp_eq_u32 s0, 11
	s_cbranch_scc0 .LBB7_645
; %bb.644:
	global_load_u8 v1, v[2:3], off
	s_wait_loadcnt 0x1
	v_mov_b32_e32 v8, 0
	s_mov_b32 s26, 0
	s_mov_b32 s27, -1
	s_wait_loadcnt 0x0
	v_cmp_ne_u16_e32 vcc_lo, 0, v1
	v_cndmask_b32_e64 v9, 0, 0x3ff00000, vcc_lo
	s_branch .LBB7_646
.LBB7_645:
	s_mov_b32 s26, -1
                                        ; implicit-def: $vgpr8_vgpr9
.LBB7_646:
	s_mov_b32 s28, 0
.LBB7_647:
	s_delay_alu instid0(SALU_CYCLE_1)
	s_and_b32 vcc_lo, exec_lo, s28
	s_cbranch_vccz .LBB7_696
; %bb.648:
	s_cmp_lt_i32 s0, 5
	s_cbranch_scc1 .LBB7_653
; %bb.649:
	s_cmp_lt_i32 s0, 8
	s_cbranch_scc1 .LBB7_654
	;; [unrolled: 3-line block ×3, first 2 shown]
; %bb.651:
	s_cmp_gt_i32 s0, 9
	s_cbranch_scc0 .LBB7_656
; %bb.652:
	s_wait_loadcnt 0x0
	global_load_b64 v[8:9], v[2:3], off
	s_mov_b32 s27, 0
	s_branch .LBB7_657
.LBB7_653:
	s_mov_b32 s27, -1
                                        ; implicit-def: $vgpr8_vgpr9
	s_branch .LBB7_675
.LBB7_654:
	s_mov_b32 s27, -1
                                        ; implicit-def: $vgpr8_vgpr9
	s_branch .LBB7_663
.LBB7_655:
	s_mov_b32 s27, -1
                                        ; implicit-def: $vgpr8_vgpr9
	s_branch .LBB7_660
.LBB7_656:
	s_mov_b32 s27, -1
                                        ; implicit-def: $vgpr8_vgpr9
.LBB7_657:
	s_delay_alu instid0(SALU_CYCLE_1)
	s_and_not1_b32 vcc_lo, exec_lo, s27
	s_cbranch_vccnz .LBB7_659
; %bb.658:
	global_load_b32 v1, v[2:3], off
	s_wait_loadcnt 0x0
	v_cvt_f64_f32_e32 v[8:9], v1
.LBB7_659:
	s_mov_b32 s27, 0
.LBB7_660:
	s_delay_alu instid0(SALU_CYCLE_1)
	s_and_not1_b32 vcc_lo, exec_lo, s27
	s_cbranch_vccnz .LBB7_662
; %bb.661:
	global_load_b32 v1, v[2:3], off
	s_wait_loadcnt 0x0
	v_cvt_f32_f16_e32 v1, v1
	s_delay_alu instid0(VALU_DEP_1)
	v_cvt_f64_f32_e32 v[8:9], v1
.LBB7_662:
	s_mov_b32 s27, 0
.LBB7_663:
	s_delay_alu instid0(SALU_CYCLE_1)
	s_and_not1_b32 vcc_lo, exec_lo, s27
	s_cbranch_vccnz .LBB7_674
; %bb.664:
	s_cmp_lt_i32 s0, 6
	s_cbranch_scc1 .LBB7_667
; %bb.665:
	s_cmp_gt_i32 s0, 6
	s_cbranch_scc0 .LBB7_668
; %bb.666:
	s_wait_loadcnt 0x0
	global_load_b64 v[8:9], v[2:3], off
	s_mov_b32 s27, 0
	s_branch .LBB7_669
.LBB7_667:
	s_mov_b32 s27, -1
                                        ; implicit-def: $vgpr8_vgpr9
	s_branch .LBB7_672
.LBB7_668:
	s_mov_b32 s27, -1
                                        ; implicit-def: $vgpr8_vgpr9
.LBB7_669:
	s_delay_alu instid0(SALU_CYCLE_1)
	s_and_not1_b32 vcc_lo, exec_lo, s27
	s_cbranch_vccnz .LBB7_671
; %bb.670:
	global_load_b32 v1, v[2:3], off
	s_wait_loadcnt 0x0
	v_cvt_f64_f32_e32 v[8:9], v1
.LBB7_671:
	s_mov_b32 s27, 0
.LBB7_672:
	s_delay_alu instid0(SALU_CYCLE_1)
	s_and_not1_b32 vcc_lo, exec_lo, s27
	s_cbranch_vccnz .LBB7_674
; %bb.673:
	global_load_u16 v1, v[2:3], off
	s_wait_loadcnt 0x0
	v_cvt_f32_f16_e32 v1, v1
	s_delay_alu instid0(VALU_DEP_1)
	v_cvt_f64_f32_e32 v[8:9], v1
.LBB7_674:
	s_mov_b32 s27, 0
.LBB7_675:
	s_delay_alu instid0(SALU_CYCLE_1)
	s_and_not1_b32 vcc_lo, exec_lo, s27
	s_cbranch_vccnz .LBB7_695
; %bb.676:
	s_cmp_lt_i32 s0, 2
	s_cbranch_scc1 .LBB7_680
; %bb.677:
	s_cmp_lt_i32 s0, 3
	s_cbranch_scc1 .LBB7_681
; %bb.678:
	s_cmp_gt_i32 s0, 3
	s_cbranch_scc0 .LBB7_682
; %bb.679:
	global_load_b64 v[6:7], v[2:3], off
	s_mov_b32 s27, 0
	s_wait_loadcnt 0x0
	v_cvt_f64_i32_e32 v[8:9], v7
	v_cvt_f64_u32_e32 v[6:7], v6
	s_delay_alu instid0(VALU_DEP_2) | instskip(NEXT) | instid1(VALU_DEP_1)
	v_ldexp_f64 v[8:9], v[8:9], 32
	v_add_f64_e32 v[8:9], v[8:9], v[6:7]
	s_branch .LBB7_683
.LBB7_680:
	s_mov_b32 s27, -1
                                        ; implicit-def: $vgpr8_vgpr9
	s_branch .LBB7_689
.LBB7_681:
	s_mov_b32 s27, -1
                                        ; implicit-def: $vgpr8_vgpr9
	s_branch .LBB7_686
.LBB7_682:
	s_mov_b32 s27, -1
                                        ; implicit-def: $vgpr8_vgpr9
.LBB7_683:
	s_delay_alu instid0(SALU_CYCLE_1)
	s_and_not1_b32 vcc_lo, exec_lo, s27
	s_cbranch_vccnz .LBB7_685
; %bb.684:
	global_load_b32 v1, v[2:3], off
	s_wait_loadcnt 0x0
	v_cvt_f64_i32_e32 v[8:9], v1
.LBB7_685:
	s_mov_b32 s27, 0
.LBB7_686:
	s_delay_alu instid0(SALU_CYCLE_1)
	s_and_not1_b32 vcc_lo, exec_lo, s27
	s_cbranch_vccnz .LBB7_688
; %bb.687:
	global_load_i16 v1, v[2:3], off
	s_wait_loadcnt 0x0
	v_cvt_f64_i32_e32 v[8:9], v1
.LBB7_688:
	s_mov_b32 s27, 0
.LBB7_689:
	s_delay_alu instid0(SALU_CYCLE_1)
	s_and_not1_b32 vcc_lo, exec_lo, s27
	s_cbranch_vccnz .LBB7_695
; %bb.690:
	s_cmp_gt_i32 s0, 0
	s_mov_b32 s0, 0
	s_cbranch_scc0 .LBB7_692
; %bb.691:
	global_load_i8 v1, v[2:3], off
	s_wait_loadcnt 0x0
	v_cvt_f64_i32_e32 v[8:9], v1
	s_branch .LBB7_693
.LBB7_692:
	s_mov_b32 s0, -1
                                        ; implicit-def: $vgpr8_vgpr9
.LBB7_693:
	s_delay_alu instid0(SALU_CYCLE_1)
	s_and_not1_b32 vcc_lo, exec_lo, s0
	s_cbranch_vccnz .LBB7_695
; %bb.694:
	global_load_u8 v1, v[2:3], off
	s_wait_loadcnt 0x0
	v_cvt_f64_u32_e32 v[8:9], v1
.LBB7_695:
	s_mov_b32 s27, -1
.LBB7_696:
	s_delay_alu instid0(SALU_CYCLE_1)
	s_and_not1_b32 vcc_lo, exec_lo, s27
	s_cbranch_vccnz .LBB7_704
; %bb.697:
	s_wait_loadcnt 0x0
	s_delay_alu instid0(VALU_DEP_1)
	v_cmp_nge_f64_e64 s0, v[8:9], -s[16:17]
	v_cmp_nge_f64_e32 vcc_lo, s[16:17], v[8:9]
	s_and_b32 s27, s18, 0xff
	s_mov_b32 s29, 0
	s_mov_b32 s28, -1
	s_or_b32 vcc_lo, s0, vcc_lo
	v_mov_b32_e32 v1, 0
	s_cmp_lt_i32 s27, 11
	s_mov_b32 s0, s45
	s_delay_alu instid0(VALU_DEP_1)
	v_add_nc_u64_e32 v[6:7], s[4:5], v[0:1]
	v_dual_cndmask_b32 v1, 0, v9 :: v_dual_cndmask_b32 v0, 0, v8
	s_cbranch_scc1 .LBB7_705
; %bb.698:
	s_and_b32 s28, 0xffff, s27
	s_delay_alu instid0(SALU_CYCLE_1)
	s_cmp_gt_i32 s28, 25
	s_cbranch_scc0 .LBB7_746
; %bb.699:
	s_cmp_gt_i32 s28, 28
	s_cbranch_scc0 .LBB7_747
; %bb.700:
	;; [unrolled: 3-line block ×4, first 2 shown]
	s_mov_b32 s30, 0
	s_mov_b32 s0, -1
	s_cmp_eq_u32 s28, 46
	s_cbranch_scc0 .LBB7_750
; %bb.703:
	s_wait_xcnt 0x0
	v_cvt_f32_f64_e32 v2, v[0:1]
	s_mov_b32 s29, -1
	s_mov_b32 s0, 0
	s_delay_alu instid0(VALU_DEP_1) | instskip(SKIP_1) | instid1(VALU_DEP_2)
	v_bfe_u32 v3, v2, 16, 1
	v_cmp_o_f32_e32 vcc_lo, v2, v2
	v_add3_u32 v3, v2, v3, 0x7fff
	s_delay_alu instid0(VALU_DEP_1) | instskip(NEXT) | instid1(VALU_DEP_1)
	v_lshrrev_b32_e32 v3, 16, v3
	v_cndmask_b32_e32 v2, 0x7fc0, v3, vcc_lo
	global_store_b32 v[6:7], v2, off
	s_branch .LBB7_750
.LBB7_704:
	s_mov_b32 s27, 0
	s_mov_b32 s0, s45
	s_branch .LBB7_745
.LBB7_705:
	s_and_b32 vcc_lo, exec_lo, s28
	s_cbranch_vccz .LBB7_819
; %bb.706:
	s_and_b32 s27, 0xffff, s27
	s_mov_b32 s28, -1
	s_cmp_lt_i32 s27, 5
	s_cbranch_scc1 .LBB7_727
; %bb.707:
	s_cmp_lt_i32 s27, 8
	s_cbranch_scc1 .LBB7_717
; %bb.708:
	;; [unrolled: 3-line block ×3, first 2 shown]
	s_cmp_gt_i32 s27, 9
	s_cbranch_scc0 .LBB7_711
; %bb.710:
	s_wait_xcnt 0x0
	v_mov_b32_e32 v2, 0
	s_mov_b32 s28, 0
	s_delay_alu instid0(VALU_DEP_1)
	v_mov_b32_e32 v3, v2
	global_store_b128 v[6:7], v[0:3], off
.LBB7_711:
	s_and_not1_b32 vcc_lo, exec_lo, s28
	s_cbranch_vccnz .LBB7_713
; %bb.712:
	s_wait_xcnt 0x0
	v_cvt_f32_f64_e32 v2, v[0:1]
	v_mov_b32_e32 v3, 0
	global_store_b64 v[6:7], v[2:3], off
.LBB7_713:
	s_mov_b32 s28, 0
.LBB7_714:
	s_delay_alu instid0(SALU_CYCLE_1)
	s_and_not1_b32 vcc_lo, exec_lo, s28
	s_cbranch_vccnz .LBB7_716
; %bb.715:
	s_wait_xcnt 0x0
	v_and_or_b32 v2, 0x1ff, v1, v0
	v_lshrrev_b32_e32 v3, 8, v1
	v_bfe_u32 v5, v1, 20, 11
	s_delay_alu instid0(VALU_DEP_3) | instskip(NEXT) | instid1(VALU_DEP_2)
	v_cmp_ne_u32_e32 vcc_lo, 0, v2
	v_sub_nc_u32_e32 v8, 0x3f1, v5
	v_add_nc_u32_e32 v5, 0xfffffc10, v5
	v_cndmask_b32_e64 v2, 0, 1, vcc_lo
	s_delay_alu instid0(VALU_DEP_1) | instskip(NEXT) | instid1(VALU_DEP_4)
	v_and_or_b32 v2, 0xffe, v3, v2
	v_med3_i32 v3, v8, 0, 13
	s_delay_alu instid0(VALU_DEP_2) | instskip(NEXT) | instid1(VALU_DEP_1)
	v_or_b32_e32 v8, 0x1000, v2
	v_lshrrev_b32_e32 v9, v3, v8
	s_delay_alu instid0(VALU_DEP_1) | instskip(NEXT) | instid1(VALU_DEP_1)
	v_lshlrev_b32_e32 v3, v3, v9
	v_cmp_ne_u32_e32 vcc_lo, v3, v8
	v_lshl_or_b32 v8, v5, 12, v2
	v_cndmask_b32_e64 v3, 0, 1, vcc_lo
	v_cmp_gt_i32_e32 vcc_lo, 1, v5
	s_delay_alu instid0(VALU_DEP_2) | instskip(NEXT) | instid1(VALU_DEP_1)
	v_or_b32_e32 v3, v9, v3
	v_cndmask_b32_e32 v3, v8, v3, vcc_lo
	s_delay_alu instid0(VALU_DEP_1) | instskip(NEXT) | instid1(VALU_DEP_1)
	v_dual_lshrrev_b32 v3, 2, v3 :: v_dual_bitop2_b32 v8, 7, v3 bitop3:0x40
	v_cmp_lt_i32_e32 vcc_lo, 5, v8
	v_cndmask_b32_e64 v9, 0, 1, vcc_lo
	v_cmp_eq_u32_e32 vcc_lo, 3, v8
	v_cndmask_b32_e64 v8, 0, 1, vcc_lo
	v_cmp_ne_u32_e32 vcc_lo, 0, v2
	s_delay_alu instid0(VALU_DEP_2) | instskip(SKIP_1) | instid1(VALU_DEP_1)
	v_or_b32_e32 v8, v8, v9
	v_mov_b32_e32 v9, 0x7e00
	v_dual_cndmask_b32 v2, 0x7c00, v9 :: v_dual_add_nc_u32 v3, v3, v8
	v_cmp_gt_i32_e32 vcc_lo, 31, v5
	s_delay_alu instid0(VALU_DEP_2) | instskip(SKIP_1) | instid1(VALU_DEP_2)
	v_dual_cndmask_b32 v3, 0x7c00, v3 :: v_dual_lshrrev_b32 v8, 16, v1
	v_cmp_eq_u32_e32 vcc_lo, 0x40f, v5
	v_cndmask_b32_e32 v2, v3, v2, vcc_lo
	s_delay_alu instid0(VALU_DEP_3) | instskip(NEXT) | instid1(VALU_DEP_1)
	v_and_b32_e32 v3, 0x8000, v8
	v_bitop3_b32 v2, v3, 0xffff, v2 bitop3:0xc8
	global_store_b32 v[6:7], v2, off
.LBB7_716:
	s_mov_b32 s28, 0
.LBB7_717:
	s_delay_alu instid0(SALU_CYCLE_1)
	s_and_not1_b32 vcc_lo, exec_lo, s28
	s_cbranch_vccnz .LBB7_726
; %bb.718:
	s_cmp_lt_i32 s27, 6
	s_mov_b32 s28, -1
	s_cbranch_scc1 .LBB7_724
; %bb.719:
	s_cmp_gt_i32 s27, 6
	s_cbranch_scc0 .LBB7_721
; %bb.720:
	s_mov_b32 s28, 0
	global_store_b64 v[6:7], v[0:1], off
.LBB7_721:
	s_and_not1_b32 vcc_lo, exec_lo, s28
	s_cbranch_vccnz .LBB7_723
; %bb.722:
	s_wait_xcnt 0x0
	v_cvt_f32_f64_e32 v2, v[0:1]
	global_store_b32 v[6:7], v2, off
.LBB7_723:
	s_mov_b32 s28, 0
.LBB7_724:
	s_delay_alu instid0(SALU_CYCLE_1)
	s_and_not1_b32 vcc_lo, exec_lo, s28
	s_cbranch_vccnz .LBB7_726
; %bb.725:
	s_wait_xcnt 0x0
	v_and_or_b32 v2, 0x1ff, v1, v0
	v_lshrrev_b32_e32 v3, 8, v1
	v_bfe_u32 v5, v1, 20, 11
	s_delay_alu instid0(VALU_DEP_3) | instskip(NEXT) | instid1(VALU_DEP_2)
	v_cmp_ne_u32_e32 vcc_lo, 0, v2
	v_sub_nc_u32_e32 v8, 0x3f1, v5
	v_add_nc_u32_e32 v5, 0xfffffc10, v5
	v_cndmask_b32_e64 v2, 0, 1, vcc_lo
	s_delay_alu instid0(VALU_DEP_1) | instskip(NEXT) | instid1(VALU_DEP_4)
	v_and_or_b32 v2, 0xffe, v3, v2
	v_med3_i32 v3, v8, 0, 13
	s_delay_alu instid0(VALU_DEP_2) | instskip(NEXT) | instid1(VALU_DEP_1)
	v_or_b32_e32 v8, 0x1000, v2
	v_lshrrev_b32_e32 v9, v3, v8
	s_delay_alu instid0(VALU_DEP_1) | instskip(NEXT) | instid1(VALU_DEP_1)
	v_lshlrev_b32_e32 v3, v3, v9
	v_cmp_ne_u32_e32 vcc_lo, v3, v8
	v_lshl_or_b32 v8, v5, 12, v2
	v_cndmask_b32_e64 v3, 0, 1, vcc_lo
	v_cmp_gt_i32_e32 vcc_lo, 1, v5
	s_delay_alu instid0(VALU_DEP_2) | instskip(NEXT) | instid1(VALU_DEP_1)
	v_or_b32_e32 v3, v9, v3
	v_cndmask_b32_e32 v3, v8, v3, vcc_lo
	s_delay_alu instid0(VALU_DEP_1) | instskip(NEXT) | instid1(VALU_DEP_1)
	v_dual_lshrrev_b32 v3, 2, v3 :: v_dual_bitop2_b32 v8, 7, v3 bitop3:0x40
	v_cmp_lt_i32_e32 vcc_lo, 5, v8
	v_cndmask_b32_e64 v9, 0, 1, vcc_lo
	v_cmp_eq_u32_e32 vcc_lo, 3, v8
	v_cndmask_b32_e64 v8, 0, 1, vcc_lo
	v_cmp_ne_u32_e32 vcc_lo, 0, v2
	s_delay_alu instid0(VALU_DEP_2) | instskip(SKIP_1) | instid1(VALU_DEP_1)
	v_or_b32_e32 v8, v8, v9
	v_mov_b32_e32 v9, 0x7e00
	v_dual_cndmask_b32 v2, 0x7c00, v9 :: v_dual_add_nc_u32 v3, v3, v8
	v_cmp_gt_i32_e32 vcc_lo, 31, v5
	s_delay_alu instid0(VALU_DEP_2) | instskip(SKIP_1) | instid1(VALU_DEP_2)
	v_cndmask_b32_e32 v3, 0x7c00, v3, vcc_lo
	v_cmp_eq_u32_e32 vcc_lo, 0x40f, v5
	v_dual_cndmask_b32 v2, v3, v2 :: v_dual_lshrrev_b32 v3, 16, v1
	s_delay_alu instid0(VALU_DEP_1)
	v_and_or_b32 v2, 0x8000, v3, v2
	global_store_b16 v[6:7], v2, off
.LBB7_726:
	s_mov_b32 s28, 0
.LBB7_727:
	s_delay_alu instid0(SALU_CYCLE_1)
	s_and_not1_b32 vcc_lo, exec_lo, s28
	s_cbranch_vccnz .LBB7_743
; %bb.728:
	s_cmp_lt_i32 s27, 2
	s_mov_b32 s28, -1
	s_cbranch_scc1 .LBB7_738
; %bb.729:
	s_cmp_lt_i32 s27, 3
	s_cbranch_scc1 .LBB7_735
; %bb.730:
	s_cmp_gt_i32 s27, 3
	s_cbranch_scc0 .LBB7_732
; %bb.731:
	s_wait_xcnt 0x0
	v_trunc_f64_e32 v[2:3], v[0:1]
	s_mov_b32 s28, 0
	s_delay_alu instid0(VALU_DEP_1) | instskip(NEXT) | instid1(VALU_DEP_1)
	v_ldexp_f64 v[8:9], v[2:3], 0xffffffe0
	v_floor_f64_e32 v[8:9], v[8:9]
	s_delay_alu instid0(VALU_DEP_1) | instskip(SKIP_1) | instid1(VALU_DEP_2)
	v_fmamk_f64 v[2:3], v[8:9], 0xc1f00000, v[2:3]
	v_cvt_i32_f64_e32 v9, v[8:9]
	v_cvt_u32_f64_e32 v8, v[2:3]
	global_store_b64 v[6:7], v[8:9], off
.LBB7_732:
	s_and_not1_b32 vcc_lo, exec_lo, s28
	s_cbranch_vccnz .LBB7_734
; %bb.733:
	s_wait_xcnt 0x0
	v_cvt_i32_f64_e32 v2, v[0:1]
	global_store_b32 v[6:7], v2, off
.LBB7_734:
	s_mov_b32 s28, 0
.LBB7_735:
	s_delay_alu instid0(SALU_CYCLE_1)
	s_and_not1_b32 vcc_lo, exec_lo, s28
	s_cbranch_vccnz .LBB7_737
; %bb.736:
	s_wait_xcnt 0x0
	v_cvt_i32_f64_e32 v2, v[0:1]
	global_store_b16 v[6:7], v2, off
.LBB7_737:
	s_mov_b32 s28, 0
.LBB7_738:
	s_delay_alu instid0(SALU_CYCLE_1)
	s_and_not1_b32 vcc_lo, exec_lo, s28
	s_cbranch_vccnz .LBB7_743
; %bb.739:
	s_cmp_gt_i32 s27, 0
	s_mov_b32 s27, -1
	s_cbranch_scc0 .LBB7_741
; %bb.740:
	s_wait_xcnt 0x0
	v_cvt_i32_f64_e32 v2, v[0:1]
	s_mov_b32 s27, 0
	global_store_b8 v[6:7], v2, off
.LBB7_741:
	s_and_not1_b32 vcc_lo, exec_lo, s27
	s_cbranch_vccnz .LBB7_743
; %bb.742:
	s_wait_xcnt 0x0
	v_trunc_f64_e32 v[0:1], v[0:1]
	s_delay_alu instid0(VALU_DEP_1) | instskip(NEXT) | instid1(VALU_DEP_1)
	v_ldexp_f64 v[2:3], v[0:1], 0xffffffe0
	v_floor_f64_e32 v[2:3], v[2:3]
	s_delay_alu instid0(VALU_DEP_1) | instskip(NEXT) | instid1(VALU_DEP_1)
	v_fmamk_f64 v[0:1], v[2:3], 0xc1f00000, v[0:1]
	v_cvt_u32_f64_e32 v0, v[0:1]
	global_store_b8 v[6:7], v0, off
.LBB7_743:
	s_branch .LBB7_820
.LBB7_744:
	s_mov_b32 s27, 0
.LBB7_745:
                                        ; implicit-def: $vgpr4
	s_branch .LBB7_821
.LBB7_746:
	s_mov_b32 s30, -1
	s_mov_b32 s0, s45
	s_branch .LBB7_777
.LBB7_747:
	s_mov_b32 s30, -1
	s_mov_b32 s0, s45
	s_branch .LBB7_760
.LBB7_748:
	s_mov_b32 s30, -1
	s_mov_b32 s0, s45
	s_branch .LBB7_756
.LBB7_749:
	s_mov_b32 s30, -1
	s_mov_b32 s0, s45
.LBB7_750:
	s_and_b32 vcc_lo, exec_lo, s30
	s_cbranch_vccz .LBB7_755
; %bb.751:
	s_cmp_eq_u32 s28, 44
	s_mov_b32 s0, -1
	s_cbranch_scc0 .LBB7_755
; %bb.752:
	s_wait_xcnt 0x0
	v_cvt_f32_f64_e32 v2, v[0:1]
	v_mov_b32_e32 v3, 0xff
	s_mov_b32 s29, exec_lo
	s_delay_alu instid0(VALU_DEP_2) | instskip(NEXT) | instid1(VALU_DEP_1)
	v_bfe_u32 v5, v2, 23, 8
	v_cmpx_ne_u32_e32 0xff, v5
	s_cbranch_execz .LBB7_754
; %bb.753:
	v_and_b32_e32 v3, 0x400000, v2
	v_and_or_b32 v5, 0x3fffff, v2, v5
	v_lshrrev_b32_e32 v2, 23, v2
	s_delay_alu instid0(VALU_DEP_3) | instskip(NEXT) | instid1(VALU_DEP_3)
	v_cmp_ne_u32_e32 vcc_lo, 0, v3
	v_cmp_ne_u32_e64 s0, 0, v5
	s_and_b32 s0, vcc_lo, s0
	s_delay_alu instid0(SALU_CYCLE_1) | instskip(NEXT) | instid1(VALU_DEP_1)
	v_cndmask_b32_e64 v3, 0, 1, s0
	v_add_nc_u32_e32 v3, v2, v3
.LBB7_754:
	s_or_b32 exec_lo, exec_lo, s29
	s_mov_b32 s29, -1
	s_mov_b32 s0, 0
	global_store_b8 v[6:7], v3, off
.LBB7_755:
	s_mov_b32 s30, 0
.LBB7_756:
	s_delay_alu instid0(SALU_CYCLE_1)
	s_and_b32 vcc_lo, exec_lo, s30
	s_cbranch_vccz .LBB7_759
; %bb.757:
	s_cmp_eq_u32 s28, 29
	s_mov_b32 s0, -1
	s_cbranch_scc0 .LBB7_759
; %bb.758:
	s_wait_xcnt 0x0
	v_trunc_f64_e32 v[2:3], v[0:1]
	s_mov_b32 s29, -1
	s_mov_b32 s0, 0
	s_mov_b32 s30, 0
	s_delay_alu instid0(VALU_DEP_1) | instskip(NEXT) | instid1(VALU_DEP_1)
	v_ldexp_f64 v[8:9], v[2:3], 0xffffffe0
	v_floor_f64_e32 v[8:9], v[8:9]
	s_delay_alu instid0(VALU_DEP_1) | instskip(SKIP_1) | instid1(VALU_DEP_2)
	v_fmamk_f64 v[2:3], v[8:9], 0xc1f00000, v[2:3]
	v_cvt_u32_f64_e32 v9, v[8:9]
	v_cvt_u32_f64_e32 v8, v[2:3]
	global_store_b64 v[6:7], v[8:9], off
	s_branch .LBB7_760
.LBB7_759:
	s_mov_b32 s30, 0
.LBB7_760:
	s_delay_alu instid0(SALU_CYCLE_1)
	s_and_b32 vcc_lo, exec_lo, s30
	s_cbranch_vccz .LBB7_776
; %bb.761:
	s_cmp_lt_i32 s28, 27
	s_mov_b32 s29, -1
	s_cbranch_scc1 .LBB7_767
; %bb.762:
	s_wait_xcnt 0x0
	v_cvt_u32_f64_e32 v2, v[0:1]
	s_cmp_gt_i32 s28, 27
	s_cbranch_scc0 .LBB7_764
; %bb.763:
	s_mov_b32 s29, 0
	global_store_b32 v[6:7], v2, off
.LBB7_764:
	s_and_not1_b32 vcc_lo, exec_lo, s29
	s_cbranch_vccnz .LBB7_766
; %bb.765:
	global_store_b16 v[6:7], v2, off
.LBB7_766:
	s_mov_b32 s29, 0
.LBB7_767:
	s_delay_alu instid0(SALU_CYCLE_1)
	s_and_not1_b32 vcc_lo, exec_lo, s29
	s_cbranch_vccnz .LBB7_775
; %bb.768:
	s_wait_xcnt 0x0
	v_cvt_f32_f64_e32 v2, v[0:1]
	v_mov_b32_e32 v5, 0x80
	s_mov_b32 s29, exec_lo
	s_delay_alu instid0(VALU_DEP_2) | instskip(NEXT) | instid1(VALU_DEP_1)
	v_and_b32_e32 v3, 0x7fffffff, v2
	v_cmpx_gt_u32_e32 0x43800000, v3
	s_cbranch_execz .LBB7_774
; %bb.769:
	v_cmp_lt_u32_e32 vcc_lo, 0x3bffffff, v3
	s_mov_b32 s30, 0
                                        ; implicit-def: $vgpr3
	s_and_saveexec_b32 s31, vcc_lo
	s_delay_alu instid0(SALU_CYCLE_1)
	s_xor_b32 s31, exec_lo, s31
	s_cbranch_execz .LBB7_852
; %bb.770:
	v_bfe_u32 v3, v2, 20, 1
	s_mov_b32 s30, exec_lo
	s_delay_alu instid0(VALU_DEP_1) | instskip(NEXT) | instid1(VALU_DEP_1)
	v_add3_u32 v3, v2, v3, 0x487ffff
	v_lshrrev_b32_e32 v3, 20, v3
	s_and_not1_saveexec_b32 s31, s31
	s_cbranch_execnz .LBB7_853
.LBB7_771:
	s_or_b32 exec_lo, exec_lo, s31
	v_mov_b32_e32 v5, 0
	s_and_saveexec_b32 s31, s30
.LBB7_772:
	v_lshrrev_b32_e32 v2, 24, v2
	s_delay_alu instid0(VALU_DEP_1)
	v_and_or_b32 v5, 0x80, v2, v3
.LBB7_773:
	s_or_b32 exec_lo, exec_lo, s31
.LBB7_774:
	s_delay_alu instid0(SALU_CYCLE_1)
	s_or_b32 exec_lo, exec_lo, s29
	global_store_b8 v[6:7], v5, off
.LBB7_775:
	s_mov_b32 s29, -1
.LBB7_776:
	s_mov_b32 s30, 0
.LBB7_777:
	s_delay_alu instid0(SALU_CYCLE_1)
	s_and_b32 vcc_lo, exec_lo, s30
	s_cbranch_vccz .LBB7_818
; %bb.778:
	s_cmp_gt_i32 s28, 22
	s_mov_b32 s30, -1
	s_cbranch_scc0 .LBB7_810
; %bb.779:
	s_cmp_lt_i32 s28, 24
	s_mov_b32 s29, -1
	s_cbranch_scc1 .LBB7_799
; %bb.780:
	s_cmp_gt_i32 s28, 24
	s_cbranch_scc0 .LBB7_788
; %bb.781:
	s_wait_xcnt 0x0
	v_cvt_f32_f64_e32 v2, v[0:1]
	v_mov_b32_e32 v5, 0x80
	s_mov_b32 s29, exec_lo
	s_delay_alu instid0(VALU_DEP_2) | instskip(NEXT) | instid1(VALU_DEP_1)
	v_and_b32_e32 v3, 0x7fffffff, v2
	v_cmpx_gt_u32_e32 0x47800000, v3
	s_cbranch_execz .LBB7_787
; %bb.782:
	v_cmp_lt_u32_e32 vcc_lo, 0x37ffffff, v3
	s_mov_b32 s30, 0
                                        ; implicit-def: $vgpr3
	s_and_saveexec_b32 s31, vcc_lo
	s_delay_alu instid0(SALU_CYCLE_1)
	s_xor_b32 s31, exec_lo, s31
	s_cbranch_execz .LBB7_855
; %bb.783:
	v_bfe_u32 v3, v2, 21, 1
	s_mov_b32 s30, exec_lo
	s_delay_alu instid0(VALU_DEP_1) | instskip(NEXT) | instid1(VALU_DEP_1)
	v_add3_u32 v3, v2, v3, 0x88fffff
	v_lshrrev_b32_e32 v3, 21, v3
	s_and_not1_saveexec_b32 s31, s31
	s_cbranch_execnz .LBB7_856
.LBB7_784:
	s_or_b32 exec_lo, exec_lo, s31
	v_mov_b32_e32 v5, 0
	s_and_saveexec_b32 s31, s30
.LBB7_785:
	v_lshrrev_b32_e32 v2, 24, v2
	s_delay_alu instid0(VALU_DEP_1)
	v_and_or_b32 v5, 0x80, v2, v3
.LBB7_786:
	s_or_b32 exec_lo, exec_lo, s31
.LBB7_787:
	s_delay_alu instid0(SALU_CYCLE_1)
	s_or_b32 exec_lo, exec_lo, s29
	s_mov_b32 s29, 0
	global_store_b8 v[6:7], v5, off
.LBB7_788:
	s_and_b32 vcc_lo, exec_lo, s29
	s_cbranch_vccz .LBB7_798
; %bb.789:
	s_wait_xcnt 0x0
	v_cvt_f32_f64_e32 v2, v[0:1]
	s_mov_b32 s29, exec_lo
                                        ; implicit-def: $vgpr3
	s_delay_alu instid0(VALU_DEP_1) | instskip(NEXT) | instid1(VALU_DEP_1)
	v_and_b32_e32 v5, 0x7fffffff, v2
	v_cmpx_gt_u32_e32 0x43f00000, v5
	s_xor_b32 s29, exec_lo, s29
	s_cbranch_execz .LBB7_795
; %bb.790:
	s_mov_b32 s30, exec_lo
                                        ; implicit-def: $vgpr3
	v_cmpx_lt_u32_e32 0x3c7fffff, v5
	s_xor_b32 s30, exec_lo, s30
; %bb.791:
	v_bfe_u32 v3, v2, 20, 1
	s_delay_alu instid0(VALU_DEP_1) | instskip(NEXT) | instid1(VALU_DEP_1)
	v_add3_u32 v3, v2, v3, 0x407ffff
	v_and_b32_e32 v5, 0xff00000, v3
	v_lshrrev_b32_e32 v3, 20, v3
	s_delay_alu instid0(VALU_DEP_2) | instskip(NEXT) | instid1(VALU_DEP_2)
	v_cmp_ne_u32_e32 vcc_lo, 0x7f00000, v5
	v_cndmask_b32_e32 v3, 0x7e, v3, vcc_lo
; %bb.792:
	s_and_not1_saveexec_b32 s30, s30
; %bb.793:
	v_add_f32_e64 v3, 0x46800000, |v2|
; %bb.794:
	s_or_b32 exec_lo, exec_lo, s30
                                        ; implicit-def: $vgpr5
.LBB7_795:
	s_and_not1_saveexec_b32 s29, s29
; %bb.796:
	v_mov_b32_e32 v3, 0x7f
	v_cmp_lt_u32_e32 vcc_lo, 0x7f800000, v5
	s_delay_alu instid0(VALU_DEP_2)
	v_cndmask_b32_e32 v3, 0x7e, v3, vcc_lo
; %bb.797:
	s_or_b32 exec_lo, exec_lo, s29
	v_lshrrev_b32_e32 v2, 24, v2
	s_delay_alu instid0(VALU_DEP_1)
	v_and_or_b32 v2, 0x80, v2, v3
	global_store_b8 v[6:7], v2, off
.LBB7_798:
	s_mov_b32 s29, 0
.LBB7_799:
	s_delay_alu instid0(SALU_CYCLE_1)
	s_and_not1_b32 vcc_lo, exec_lo, s29
	s_cbranch_vccnz .LBB7_809
; %bb.800:
	s_wait_xcnt 0x0
	v_cvt_f32_f64_e32 v2, v[0:1]
	s_mov_b32 s29, exec_lo
                                        ; implicit-def: $vgpr3
	s_delay_alu instid0(VALU_DEP_1) | instskip(NEXT) | instid1(VALU_DEP_1)
	v_and_b32_e32 v5, 0x7fffffff, v2
	v_cmpx_gt_u32_e32 0x47800000, v5
	s_xor_b32 s29, exec_lo, s29
	s_cbranch_execz .LBB7_806
; %bb.801:
	s_mov_b32 s30, exec_lo
                                        ; implicit-def: $vgpr3
	v_cmpx_lt_u32_e32 0x387fffff, v5
	s_xor_b32 s30, exec_lo, s30
; %bb.802:
	v_bfe_u32 v3, v2, 21, 1
	s_delay_alu instid0(VALU_DEP_1) | instskip(NEXT) | instid1(VALU_DEP_1)
	v_add3_u32 v3, v2, v3, 0x80fffff
	v_lshrrev_b32_e32 v3, 21, v3
; %bb.803:
	s_and_not1_saveexec_b32 s30, s30
; %bb.804:
	v_add_f32_e64 v3, 0x43000000, |v2|
; %bb.805:
	s_or_b32 exec_lo, exec_lo, s30
                                        ; implicit-def: $vgpr5
.LBB7_806:
	s_and_not1_saveexec_b32 s29, s29
; %bb.807:
	v_mov_b32_e32 v3, 0x7f
	v_cmp_lt_u32_e32 vcc_lo, 0x7f800000, v5
	s_delay_alu instid0(VALU_DEP_2)
	v_cndmask_b32_e32 v3, 0x7c, v3, vcc_lo
; %bb.808:
	s_or_b32 exec_lo, exec_lo, s29
	v_lshrrev_b32_e32 v2, 24, v2
	s_delay_alu instid0(VALU_DEP_1)
	v_and_or_b32 v2, 0x80, v2, v3
	global_store_b8 v[6:7], v2, off
.LBB7_809:
	s_mov_b32 s30, 0
	s_mov_b32 s29, -1
.LBB7_810:
	s_and_not1_b32 vcc_lo, exec_lo, s30
	s_cbranch_vccnz .LBB7_818
; %bb.811:
	s_cmp_gt_i32 s28, 14
	s_mov_b32 s30, -1
	s_cbranch_scc0 .LBB7_815
; %bb.812:
	s_cmp_eq_u32 s28, 15
	s_mov_b32 s0, -1
	s_cbranch_scc0 .LBB7_814
; %bb.813:
	s_wait_xcnt 0x0
	v_cvt_f32_f64_e32 v2, v[0:1]
	s_mov_b32 s29, -1
	s_mov_b32 s0, 0
	s_delay_alu instid0(VALU_DEP_1) | instskip(SKIP_1) | instid1(VALU_DEP_2)
	v_bfe_u32 v3, v2, 16, 1
	v_cmp_o_f32_e32 vcc_lo, v2, v2
	v_add3_u32 v3, v2, v3, 0x7fff
	s_delay_alu instid0(VALU_DEP_1) | instskip(NEXT) | instid1(VALU_DEP_1)
	v_lshrrev_b32_e32 v3, 16, v3
	v_cndmask_b32_e32 v2, 0x7fc0, v3, vcc_lo
	global_store_b16 v[6:7], v2, off
.LBB7_814:
	s_mov_b32 s30, 0
.LBB7_815:
	s_delay_alu instid0(SALU_CYCLE_1)
	s_and_b32 vcc_lo, exec_lo, s30
	s_cbranch_vccz .LBB7_818
; %bb.816:
	s_cmp_eq_u32 s28, 11
	s_mov_b32 s0, -1
	s_cbranch_scc0 .LBB7_818
; %bb.817:
	v_cmp_neq_f64_e32 vcc_lo, 0, v[0:1]
	s_mov_b32 s29, -1
	s_mov_b32 s0, 0
	s_wait_xcnt 0x0
	v_cndmask_b32_e64 v2, 0, 1, vcc_lo
	global_store_b8 v[6:7], v2, off
.LBB7_818:
.LBB7_819:
	s_and_not1_b32 vcc_lo, exec_lo, s29
	s_cbranch_vccnz .LBB7_744
.LBB7_820:
	v_add_nc_u32_e32 v4, 0x80, v4
	s_mov_b32 s27, -1
.LBB7_821:
	s_and_not1_b32 s28, s45, exec_lo
	s_and_b32 s0, s0, exec_lo
	s_and_not1_b32 s29, s44, exec_lo
	s_and_b32 s26, s26, exec_lo
	s_or_b32 s30, s28, s0
	s_or_b32 s0, s29, s26
	s_or_not1_b32 s29, s27, exec_lo
.LBB7_822:
	s_wait_xcnt 0x0
	s_or_b32 exec_lo, exec_lo, s47
	s_mov_b32 s27, 0
	s_mov_b32 s26, 0
	;; [unrolled: 1-line block ×3, first 2 shown]
                                        ; implicit-def: $vgpr0_vgpr1
                                        ; implicit-def: $vgpr2
                                        ; implicit-def: $vgpr6_vgpr7
	s_and_saveexec_b32 s31, s29
	s_cbranch_execz .LBB7_924
; %bb.823:
	v_cmp_gt_i32_e32 vcc_lo, s38, v4
	s_mov_b32 s29, s0
                                        ; implicit-def: $vgpr0_vgpr1
                                        ; implicit-def: $vgpr2
                                        ; implicit-def: $vgpr6_vgpr7
	s_and_saveexec_b32 s38, vcc_lo
	s_cbranch_execz .LBB7_923
; %bb.824:
	s_and_not1_b32 vcc_lo, exec_lo, s35
	s_cbranch_vccnz .LBB7_830
; %bb.825:
	s_and_not1_b32 vcc_lo, exec_lo, s40
	s_cbranch_vccnz .LBB7_831
; %bb.826:
	s_add_co_i32 s39, s39, 1
	s_cmp_eq_u32 s33, 2
	s_cbranch_scc1 .LBB7_832
; %bb.827:
	v_dual_mov_b32 v2, 0 :: v_dual_mov_b32 v0, 0
	v_mov_b32_e32 v1, v4
	s_and_b32 s26, s39, 28
	s_mov_b64 s[28:29], s[2:3]
.LBB7_828:                              ; =>This Inner Loop Header: Depth=1
	s_clause 0x1
	s_load_b256 s[48:55], s[28:29], 0x4
	s_load_b128 s[64:67], s[28:29], 0x24
	s_load_b256 s[56:63], s[24:25], 0x0
	s_add_co_i32 s27, s27, 4
	s_wait_xcnt 0x0
	s_add_nc_u64 s[28:29], s[28:29], 48
	s_cmp_eq_u32 s26, s27
	s_add_nc_u64 s[24:25], s[24:25], 32
	s_wait_kmcnt 0x0
	v_mul_hi_u32 v3, s49, v1
	s_delay_alu instid0(VALU_DEP_1) | instskip(NEXT) | instid1(VALU_DEP_1)
	v_add_nc_u32_e32 v3, v1, v3
	v_lshrrev_b32_e32 v3, s50, v3
	s_delay_alu instid0(VALU_DEP_1) | instskip(NEXT) | instid1(VALU_DEP_1)
	v_mul_hi_u32 v5, s52, v3
	v_add_nc_u32_e32 v5, v3, v5
	s_delay_alu instid0(VALU_DEP_1) | instskip(NEXT) | instid1(VALU_DEP_1)
	v_lshrrev_b32_e32 v5, s53, v5
	v_mul_hi_u32 v6, s55, v5
	s_delay_alu instid0(VALU_DEP_1) | instskip(SKIP_1) | instid1(VALU_DEP_1)
	v_add_nc_u32_e32 v6, v5, v6
	v_mul_lo_u32 v7, v3, s48
	v_sub_nc_u32_e32 v1, v1, v7
	v_mul_lo_u32 v7, v5, s51
	s_delay_alu instid0(VALU_DEP_4) | instskip(NEXT) | instid1(VALU_DEP_3)
	v_lshrrev_b32_e32 v6, s64, v6
	v_mad_u32 v0, v1, s57, v0
	v_mad_u32 v1, v1, s56, v2
	s_delay_alu instid0(VALU_DEP_4) | instskip(SKIP_3) | instid1(VALU_DEP_3)
	v_sub_nc_u32_e32 v2, v3, v7
	s_wait_loadcnt 0x0
	v_mul_hi_u32 v8, s66, v6
	v_mul_lo_u32 v3, v6, s54
	v_mad_u32 v0, v2, s59, v0
	v_mad_u32 v2, v2, s58, v1
	s_delay_alu instid0(VALU_DEP_3) | instskip(NEXT) | instid1(VALU_DEP_1)
	v_dual_add_nc_u32 v7, v6, v8 :: v_dual_sub_nc_u32 v3, v5, v3
	v_lshrrev_b32_e32 v1, s67, v7
	s_delay_alu instid0(VALU_DEP_2) | instskip(NEXT) | instid1(VALU_DEP_4)
	v_mad_u32 v0, v3, s61, v0
	v_mad_u32 v2, v3, s60, v2
	s_delay_alu instid0(VALU_DEP_3) | instskip(NEXT) | instid1(VALU_DEP_1)
	v_mul_lo_u32 v5, v1, s65
	v_sub_nc_u32_e32 v3, v6, v5
	s_delay_alu instid0(VALU_DEP_1) | instskip(NEXT) | instid1(VALU_DEP_4)
	v_mad_u32 v0, v3, s63, v0
	v_mad_u32 v2, v3, s62, v2
	s_cbranch_scc0 .LBB7_828
; %bb.829:
	s_delay_alu instid0(VALU_DEP_2)
	v_mov_b32_e32 v3, v0
	s_branch .LBB7_833
.LBB7_830:
	s_mov_b32 s24, -1
                                        ; implicit-def: $vgpr0
                                        ; implicit-def: $vgpr2
	s_branch .LBB7_838
.LBB7_831:
	v_dual_mov_b32 v0, 0 :: v_dual_mov_b32 v2, 0
	s_branch .LBB7_837
.LBB7_832:
	v_mov_b64_e32 v[2:3], 0
	v_mov_b32_e32 v1, v4
                                        ; implicit-def: $vgpr0
.LBB7_833:
	s_and_b32 s28, s39, 3
	s_mov_b32 s27, 0
	s_cmp_eq_u32 s28, 0
	s_cbranch_scc1 .LBB7_837
; %bb.834:
	s_lshl_b32 s24, s26, 3
	s_mov_b32 s25, s27
	s_mul_u64 s[26:27], s[26:27], 12
	s_add_nc_u64 s[24:25], s[2:3], s[24:25]
	s_add_nc_u64 s[26:27], s[2:3], s[26:27]
	;; [unrolled: 1-line block ×3, first 2 shown]
.LBB7_835:                              ; =>This Inner Loop Header: Depth=1
	s_load_b96 s[48:50], s[26:27], 0x4
	s_add_co_i32 s28, s28, -1
	s_wait_xcnt 0x0
	s_add_nc_u64 s[26:27], s[26:27], 12
	s_cmp_lg_u32 s28, 0
	s_wait_kmcnt 0x0
	v_mul_hi_u32 v0, s49, v1
	s_delay_alu instid0(VALU_DEP_1) | instskip(NEXT) | instid1(VALU_DEP_1)
	v_add_nc_u32_e32 v0, v1, v0
	v_lshrrev_b32_e32 v0, s50, v0
	s_load_b64 s[50:51], s[24:25], 0x0
	s_wait_xcnt 0x0
	s_add_nc_u64 s[24:25], s[24:25], 8
	s_delay_alu instid0(VALU_DEP_1) | instskip(NEXT) | instid1(VALU_DEP_1)
	v_mul_lo_u32 v5, v0, s48
	v_sub_nc_u32_e32 v1, v1, v5
	s_wait_kmcnt 0x0
	s_delay_alu instid0(VALU_DEP_1)
	v_mad_u32 v3, v1, s51, v3
	v_mad_u32 v2, v1, s50, v2
	v_mov_b32_e32 v1, v0
	s_cbranch_scc1 .LBB7_835
; %bb.836:
	s_delay_alu instid0(VALU_DEP_3)
	v_mov_b32_e32 v0, v3
.LBB7_837:
	s_mov_b32 s24, 0
.LBB7_838:
	s_delay_alu instid0(SALU_CYCLE_1)
	s_and_not1_b32 vcc_lo, exec_lo, s24
	s_cbranch_vccnz .LBB7_841
; %bb.839:
	v_mov_b32_e32 v5, 0
	s_and_not1_b32 vcc_lo, exec_lo, s37
	s_delay_alu instid0(VALU_DEP_1) | instskip(NEXT) | instid1(VALU_DEP_1)
	v_mul_u64_e32 v[0:1], s[20:21], v[4:5]
	v_add_nc_u32_e32 v0, v4, v1
	s_delay_alu instid0(VALU_DEP_1) | instskip(NEXT) | instid1(VALU_DEP_1)
	v_lshrrev_b32_e32 v6, s10, v0
	v_mul_lo_u32 v0, v6, s8
	s_delay_alu instid0(VALU_DEP_1) | instskip(NEXT) | instid1(VALU_DEP_1)
	v_sub_nc_u32_e32 v1, v4, v0
	v_mul_lo_u32 v0, v1, s13
	v_mul_lo_u32 v2, v1, s12
	s_cbranch_vccnz .LBB7_841
; %bb.840:
	v_mov_b32_e32 v7, v5
	s_delay_alu instid0(VALU_DEP_1) | instskip(NEXT) | instid1(VALU_DEP_1)
	v_mul_u64_e32 v[4:5], s[22:23], v[6:7]
	v_add_nc_u32_e32 v1, v6, v5
	s_delay_alu instid0(VALU_DEP_1) | instskip(NEXT) | instid1(VALU_DEP_1)
	v_lshrrev_b32_e32 v1, s1, v1
	v_mul_lo_u32 v1, v1, s11
	s_delay_alu instid0(VALU_DEP_1) | instskip(NEXT) | instid1(VALU_DEP_1)
	v_sub_nc_u32_e32 v1, v6, v1
	v_mad_u32 v2, v1, s14, v2
	v_mad_u32 v0, v1, s15, v0
.LBB7_841:
	v_mov_b32_e32 v1, 0
	s_and_b32 s1, 0xffff, s9
	s_delay_alu instid0(SALU_CYCLE_1) | instskip(NEXT) | instid1(VALU_DEP_1)
	s_cmp_lt_i32 s1, 11
	v_add_nc_u64_e32 v[0:1], s[6:7], v[0:1]
	s_cbranch_scc1 .LBB7_848
; %bb.842:
	s_cmp_gt_i32 s1, 25
	s_mov_b32 s7, 0
	s_cbranch_scc0 .LBB7_849
; %bb.843:
	s_cmp_gt_i32 s1, 28
	s_cbranch_scc0 .LBB7_850
; %bb.844:
	s_cmp_gt_i32 s1, 43
	;; [unrolled: 3-line block ×3, first 2 shown]
	s_cbranch_scc0 .LBB7_854
; %bb.846:
	s_cmp_eq_u32 s1, 46
	s_mov_b32 s10, 0
	s_cbranch_scc0 .LBB7_857
; %bb.847:
	global_load_b32 v3, v[0:1], off
	s_mov_b32 s6, 0
	s_mov_b32 s8, -1
	s_wait_loadcnt 0x0
	v_lshlrev_b32_e32 v3, 16, v3
	s_delay_alu instid0(VALU_DEP_1)
	v_cvt_f64_f32_e32 v[6:7], v3
	s_branch .LBB7_859
.LBB7_848:
	s_mov_b32 s1, -1
	s_mov_b32 s8, 0
	s_mov_b32 s7, 0
	;; [unrolled: 1-line block ×3, first 2 shown]
                                        ; implicit-def: $vgpr6_vgpr7
	s_branch .LBB7_922
.LBB7_849:
	s_mov_b32 s10, -1
	s_mov_b32 s8, 0
	s_mov_b32 s6, s0
                                        ; implicit-def: $vgpr6_vgpr7
	s_branch .LBB7_888
.LBB7_850:
	s_mov_b32 s10, -1
	s_mov_b32 s8, 0
	s_mov_b32 s6, s0
                                        ; implicit-def: $vgpr6_vgpr7
	s_branch .LBB7_869
.LBB7_851:
	s_mov_b32 s10, -1
	s_mov_b32 s8, 0
	s_mov_b32 s6, s0
                                        ; implicit-def: $vgpr6_vgpr7
	s_branch .LBB7_864
.LBB7_852:
	s_and_not1_saveexec_b32 s31, s31
	s_cbranch_execz .LBB7_771
.LBB7_853:
	v_add_f32_e64 v3, 0x46000000, |v2|
	s_and_not1_b32 s30, s30, exec_lo
	s_delay_alu instid0(VALU_DEP_1) | instskip(NEXT) | instid1(VALU_DEP_1)
	v_and_b32_e32 v3, 0xff, v3
	v_cmp_ne_u32_e32 vcc_lo, 0, v3
	s_and_b32 s48, vcc_lo, exec_lo
	s_delay_alu instid0(SALU_CYCLE_1)
	s_or_b32 s30, s30, s48
	s_or_b32 exec_lo, exec_lo, s31
	v_mov_b32_e32 v5, 0
	s_and_saveexec_b32 s31, s30
	s_cbranch_execnz .LBB7_772
	s_branch .LBB7_773
.LBB7_854:
	s_mov_b32 s10, -1
	s_mov_b32 s8, 0
	s_mov_b32 s6, s0
	s_branch .LBB7_858
.LBB7_855:
	s_and_not1_saveexec_b32 s31, s31
	s_cbranch_execz .LBB7_784
.LBB7_856:
	v_add_f32_e64 v3, 0x42800000, |v2|
	s_and_not1_b32 s30, s30, exec_lo
	s_delay_alu instid0(VALU_DEP_1) | instskip(NEXT) | instid1(VALU_DEP_1)
	v_and_b32_e32 v3, 0xff, v3
	v_cmp_ne_u32_e32 vcc_lo, 0, v3
	s_and_b32 s48, vcc_lo, exec_lo
	s_delay_alu instid0(SALU_CYCLE_1)
	s_or_b32 s30, s30, s48
	s_or_b32 exec_lo, exec_lo, s31
	v_mov_b32_e32 v5, 0
	s_and_saveexec_b32 s31, s30
	s_cbranch_execnz .LBB7_785
	s_branch .LBB7_786
.LBB7_857:
	s_mov_b32 s6, -1
	s_mov_b32 s8, 0
.LBB7_858:
                                        ; implicit-def: $vgpr6_vgpr7
.LBB7_859:
	s_and_b32 vcc_lo, exec_lo, s10
	s_cbranch_vccz .LBB7_863
; %bb.860:
	s_cmp_eq_u32 s1, 44
	s_cbranch_scc0 .LBB7_862
; %bb.861:
	global_load_u8 v3, v[0:1], off
	s_mov_b32 s6, 0
	s_mov_b32 s8, -1
	s_wait_loadcnt 0x0
	v_cmp_ne_u32_e32 vcc_lo, 0xff, v3
	v_lshlrev_b32_e32 v4, 23, v3
	s_delay_alu instid0(VALU_DEP_1) | instskip(NEXT) | instid1(VALU_DEP_1)
	v_cvt_f64_f32_e32 v[4:5], v4
	v_cndmask_b32_e32 v4, 0x20000000, v4, vcc_lo
	s_delay_alu instid0(VALU_DEP_2) | instskip(SKIP_1) | instid1(VALU_DEP_2)
	v_cndmask_b32_e32 v5, 0x7ff80000, v5, vcc_lo
	v_cmp_ne_u32_e32 vcc_lo, 0, v3
	v_cndmask_b32_e32 v7, 0x38000000, v5, vcc_lo
	s_delay_alu instid0(VALU_DEP_4)
	v_cndmask_b32_e32 v6, 0, v4, vcc_lo
	s_branch .LBB7_863
.LBB7_862:
	s_mov_b32 s6, -1
                                        ; implicit-def: $vgpr6_vgpr7
.LBB7_863:
	s_mov_b32 s10, 0
.LBB7_864:
	s_delay_alu instid0(SALU_CYCLE_1)
	s_and_b32 vcc_lo, exec_lo, s10
	s_cbranch_vccz .LBB7_868
; %bb.865:
	s_cmp_eq_u32 s1, 29
	s_cbranch_scc0 .LBB7_867
; %bb.866:
	global_load_b64 v[4:5], v[0:1], off
	s_mov_b32 s6, 0
	s_mov_b32 s8, -1
	s_mov_b32 s10, 0
	s_wait_loadcnt 0x0
	v_cvt_f64_u32_e32 v[6:7], v5
	v_cvt_f64_u32_e32 v[4:5], v4
	s_delay_alu instid0(VALU_DEP_2) | instskip(NEXT) | instid1(VALU_DEP_1)
	v_ldexp_f64 v[6:7], v[6:7], 32
	v_add_f64_e32 v[6:7], v[6:7], v[4:5]
	s_branch .LBB7_869
.LBB7_867:
	s_mov_b32 s6, -1
                                        ; implicit-def: $vgpr6_vgpr7
.LBB7_868:
	s_mov_b32 s10, 0
.LBB7_869:
	s_delay_alu instid0(SALU_CYCLE_1)
	s_and_b32 vcc_lo, exec_lo, s10
	s_cbranch_vccz .LBB7_887
; %bb.870:
	s_cmp_lt_i32 s1, 27
	s_cbranch_scc1 .LBB7_873
; %bb.871:
	s_cmp_gt_i32 s1, 27
	s_cbranch_scc0 .LBB7_874
; %bb.872:
	global_load_b32 v3, v[0:1], off
	s_mov_b32 s8, 0
	s_wait_loadcnt 0x0
	v_cvt_f64_u32_e32 v[6:7], v3
	s_branch .LBB7_875
.LBB7_873:
	s_mov_b32 s8, -1
                                        ; implicit-def: $vgpr6_vgpr7
	s_branch .LBB7_878
.LBB7_874:
	s_mov_b32 s8, -1
                                        ; implicit-def: $vgpr6_vgpr7
.LBB7_875:
	s_delay_alu instid0(SALU_CYCLE_1)
	s_and_not1_b32 vcc_lo, exec_lo, s8
	s_cbranch_vccnz .LBB7_877
; %bb.876:
	global_load_u16 v3, v[0:1], off
	s_wait_loadcnt 0x0
	v_cvt_f64_u32_e32 v[6:7], v3
.LBB7_877:
	s_mov_b32 s8, 0
.LBB7_878:
	s_delay_alu instid0(SALU_CYCLE_1)
	s_and_not1_b32 vcc_lo, exec_lo, s8
	s_cbranch_vccnz .LBB7_886
; %bb.879:
	global_load_u8 v3, v[0:1], off
	s_mov_b32 s8, 0
	s_mov_b32 s10, exec_lo
	s_wait_loadcnt 0x0
	v_cmpx_lt_i16_e32 0x7f, v3
	s_xor_b32 s10, exec_lo, s10
	s_cbranch_execz .LBB7_900
; %bb.880:
	s_mov_b32 s8, -1
	s_mov_b32 s11, exec_lo
	v_cmpx_eq_u16_e32 0x80, v3
; %bb.881:
	s_xor_b32 s8, exec_lo, -1
; %bb.882:
	s_or_b32 exec_lo, exec_lo, s11
	s_delay_alu instid0(SALU_CYCLE_1)
	s_and_b32 s8, s8, exec_lo
	s_or_saveexec_b32 s10, s10
	v_mov_b64_e32 v[6:7], 0x7ff8000020000000
	s_xor_b32 exec_lo, exec_lo, s10
	s_cbranch_execnz .LBB7_901
.LBB7_883:
	s_or_b32 exec_lo, exec_lo, s10
	s_and_saveexec_b32 s10, s8
	s_cbranch_execz .LBB7_885
.LBB7_884:
	v_and_b32_e32 v4, 0xffff, v3
	s_delay_alu instid0(VALU_DEP_1) | instskip(SKIP_1) | instid1(VALU_DEP_2)
	v_and_b32_e32 v5, 7, v4
	v_bfe_u32 v8, v4, 3, 4
	v_clz_i32_u32_e32 v6, v5
	s_delay_alu instid0(VALU_DEP_2) | instskip(NEXT) | instid1(VALU_DEP_2)
	v_cmp_eq_u32_e32 vcc_lo, 0, v8
	v_min_u32_e32 v6, 32, v6
	s_delay_alu instid0(VALU_DEP_1) | instskip(NEXT) | instid1(VALU_DEP_1)
	v_subrev_nc_u32_e32 v7, 28, v6
	v_dual_lshlrev_b32 v4, v7, v4 :: v_dual_sub_nc_u32 v6, 29, v6
	s_delay_alu instid0(VALU_DEP_1) | instskip(NEXT) | instid1(VALU_DEP_1)
	v_dual_lshlrev_b32 v3, 24, v3 :: v_dual_bitop2_b32 v4, 7, v4 bitop3:0x40
	v_dual_cndmask_b32 v6, v8, v6, vcc_lo :: v_dual_cndmask_b32 v4, v5, v4, vcc_lo
	s_delay_alu instid0(VALU_DEP_2) | instskip(NEXT) | instid1(VALU_DEP_2)
	v_and_b32_e32 v3, 0x80000000, v3
	v_lshl_add_u32 v5, v6, 23, 0x3b800000
	s_delay_alu instid0(VALU_DEP_3) | instskip(NEXT) | instid1(VALU_DEP_1)
	v_lshlrev_b32_e32 v4, 20, v4
	v_or3_b32 v3, v3, v5, v4
	s_delay_alu instid0(VALU_DEP_1)
	v_cvt_f64_f32_e32 v[6:7], v3
.LBB7_885:
	s_or_b32 exec_lo, exec_lo, s10
.LBB7_886:
	s_mov_b32 s8, -1
.LBB7_887:
	s_mov_b32 s10, 0
.LBB7_888:
	s_delay_alu instid0(SALU_CYCLE_1)
	s_and_b32 vcc_lo, exec_lo, s10
	s_cbranch_vccz .LBB7_921
; %bb.889:
	s_cmp_gt_i32 s1, 22
	s_cbranch_scc0 .LBB7_899
; %bb.890:
	s_cmp_lt_i32 s1, 24
	s_cbranch_scc1 .LBB7_902
; %bb.891:
	s_cmp_gt_i32 s1, 24
	s_cbranch_scc0 .LBB7_903
; %bb.892:
	global_load_u8 v3, v[0:1], off
	s_mov_b32 s8, exec_lo
	s_wait_loadcnt 0x0
	v_cmpx_lt_i16_e32 0x7f, v3
	s_xor_b32 s8, exec_lo, s8
	s_cbranch_execz .LBB7_915
; %bb.893:
	s_mov_b32 s7, -1
	s_mov_b32 s10, exec_lo
	v_cmpx_eq_u16_e32 0x80, v3
; %bb.894:
	s_xor_b32 s7, exec_lo, -1
; %bb.895:
	s_or_b32 exec_lo, exec_lo, s10
	s_delay_alu instid0(SALU_CYCLE_1)
	s_and_b32 s7, s7, exec_lo
	s_or_saveexec_b32 s8, s8
	v_mov_b64_e32 v[6:7], 0x7ff8000020000000
	s_xor_b32 exec_lo, exec_lo, s8
	s_cbranch_execnz .LBB7_916
.LBB7_896:
	s_or_b32 exec_lo, exec_lo, s8
	s_and_saveexec_b32 s8, s7
	s_cbranch_execz .LBB7_898
.LBB7_897:
	v_and_b32_e32 v4, 0xffff, v3
	s_delay_alu instid0(VALU_DEP_1) | instskip(SKIP_1) | instid1(VALU_DEP_2)
	v_and_b32_e32 v5, 3, v4
	v_bfe_u32 v8, v4, 2, 5
	v_clz_i32_u32_e32 v6, v5
	s_delay_alu instid0(VALU_DEP_2) | instskip(NEXT) | instid1(VALU_DEP_2)
	v_cmp_eq_u32_e32 vcc_lo, 0, v8
	v_min_u32_e32 v6, 32, v6
	s_delay_alu instid0(VALU_DEP_1) | instskip(NEXT) | instid1(VALU_DEP_1)
	v_subrev_nc_u32_e32 v7, 29, v6
	v_dual_lshlrev_b32 v4, v7, v4 :: v_dual_sub_nc_u32 v6, 30, v6
	s_delay_alu instid0(VALU_DEP_1) | instskip(NEXT) | instid1(VALU_DEP_1)
	v_dual_lshlrev_b32 v3, 24, v3 :: v_dual_bitop2_b32 v4, 3, v4 bitop3:0x40
	v_dual_cndmask_b32 v6, v8, v6, vcc_lo :: v_dual_cndmask_b32 v4, v5, v4, vcc_lo
	s_delay_alu instid0(VALU_DEP_2) | instskip(NEXT) | instid1(VALU_DEP_2)
	v_and_b32_e32 v3, 0x80000000, v3
	v_lshl_add_u32 v5, v6, 23, 0x37800000
	s_delay_alu instid0(VALU_DEP_3) | instskip(NEXT) | instid1(VALU_DEP_1)
	v_lshlrev_b32_e32 v4, 21, v4
	v_or3_b32 v3, v3, v5, v4
	s_delay_alu instid0(VALU_DEP_1)
	v_cvt_f64_f32_e32 v[6:7], v3
.LBB7_898:
	s_or_b32 exec_lo, exec_lo, s8
	s_mov_b32 s7, 0
	s_branch .LBB7_904
.LBB7_899:
	s_mov_b32 s7, -1
                                        ; implicit-def: $vgpr6_vgpr7
	s_branch .LBB7_910
.LBB7_900:
	s_or_saveexec_b32 s10, s10
	v_mov_b64_e32 v[6:7], 0x7ff8000020000000
	s_xor_b32 exec_lo, exec_lo, s10
	s_cbranch_execz .LBB7_883
.LBB7_901:
	v_cmp_ne_u16_e32 vcc_lo, 0, v3
	v_mov_b64_e32 v[6:7], 0
	s_and_not1_b32 s8, s8, exec_lo
	s_and_b32 s11, vcc_lo, exec_lo
	s_delay_alu instid0(SALU_CYCLE_1)
	s_or_b32 s8, s8, s11
	s_or_b32 exec_lo, exec_lo, s10
	s_and_saveexec_b32 s10, s8
	s_cbranch_execnz .LBB7_884
	s_branch .LBB7_885
.LBB7_902:
	s_mov_b32 s7, -1
                                        ; implicit-def: $vgpr6_vgpr7
	s_branch .LBB7_907
.LBB7_903:
	s_mov_b32 s7, -1
                                        ; implicit-def: $vgpr6_vgpr7
.LBB7_904:
	s_delay_alu instid0(SALU_CYCLE_1)
	s_and_b32 vcc_lo, exec_lo, s7
	s_cbranch_vccz .LBB7_906
; %bb.905:
	global_load_u8 v3, v[0:1], off
	s_wait_loadcnt 0x0
	v_lshlrev_b32_e32 v3, 24, v3
	s_delay_alu instid0(VALU_DEP_1) | instskip(NEXT) | instid1(VALU_DEP_1)
	v_and_b32_e32 v4, 0x7f000000, v3
	v_clz_i32_u32_e32 v5, v4
	v_cmp_ne_u32_e32 vcc_lo, 0, v4
	v_add_nc_u32_e32 v7, 0x1000000, v4
	s_delay_alu instid0(VALU_DEP_3) | instskip(NEXT) | instid1(VALU_DEP_1)
	v_min_u32_e32 v5, 32, v5
	v_sub_nc_u32_e64 v5, v5, 4 clamp
	s_delay_alu instid0(VALU_DEP_1) | instskip(NEXT) | instid1(VALU_DEP_1)
	v_dual_lshlrev_b32 v6, v5, v4 :: v_dual_lshlrev_b32 v5, 23, v5
	v_lshrrev_b32_e32 v6, 4, v6
	s_delay_alu instid0(VALU_DEP_1) | instskip(NEXT) | instid1(VALU_DEP_1)
	v_dual_sub_nc_u32 v5, v6, v5 :: v_dual_ashrrev_i32 v6, 8, v7
	v_add_nc_u32_e32 v5, 0x3c000000, v5
	s_delay_alu instid0(VALU_DEP_1) | instskip(NEXT) | instid1(VALU_DEP_1)
	v_and_or_b32 v5, 0x7f800000, v6, v5
	v_cndmask_b32_e32 v4, 0, v5, vcc_lo
	s_delay_alu instid0(VALU_DEP_1) | instskip(NEXT) | instid1(VALU_DEP_1)
	v_and_or_b32 v3, 0x80000000, v3, v4
	v_cvt_f64_f32_e32 v[6:7], v3
.LBB7_906:
	s_mov_b32 s7, 0
.LBB7_907:
	s_delay_alu instid0(SALU_CYCLE_1)
	s_and_not1_b32 vcc_lo, exec_lo, s7
	s_cbranch_vccnz .LBB7_909
; %bb.908:
	global_load_u8 v3, v[0:1], off
	s_wait_loadcnt 0x0
	v_lshlrev_b32_e32 v4, 25, v3
	v_lshlrev_b16 v3, 8, v3
	s_delay_alu instid0(VALU_DEP_1) | instskip(SKIP_1) | instid1(VALU_DEP_2)
	v_and_or_b32 v6, 0x7f00, v3, 0.5
	v_bfe_i32 v3, v3, 0, 16
	v_dual_add_f32 v6, -0.5, v6 :: v_dual_lshrrev_b32 v5, 4, v4
	v_cmp_gt_u32_e32 vcc_lo, 0x8000000, v4
	s_delay_alu instid0(VALU_DEP_2) | instskip(NEXT) | instid1(VALU_DEP_1)
	v_or_b32_e32 v5, 0x70000000, v5
	v_mul_f32_e32 v5, 0x7800000, v5
	s_delay_alu instid0(VALU_DEP_1) | instskip(NEXT) | instid1(VALU_DEP_1)
	v_cndmask_b32_e32 v4, v5, v6, vcc_lo
	v_and_or_b32 v3, 0x80000000, v3, v4
	s_delay_alu instid0(VALU_DEP_1)
	v_cvt_f64_f32_e32 v[6:7], v3
.LBB7_909:
	s_mov_b32 s7, 0
	s_mov_b32 s8, -1
.LBB7_910:
	s_and_not1_b32 vcc_lo, exec_lo, s7
	s_mov_b32 s7, 0
	s_cbranch_vccnz .LBB7_921
; %bb.911:
	s_cmp_gt_i32 s1, 14
	s_cbranch_scc0 .LBB7_914
; %bb.912:
	s_cmp_eq_u32 s1, 15
	s_cbranch_scc0 .LBB7_917
; %bb.913:
	global_load_u16 v3, v[0:1], off
	s_mov_b32 s6, 0
	s_mov_b32 s8, -1
	s_wait_loadcnt 0x0
	v_lshlrev_b32_e32 v3, 16, v3
	s_delay_alu instid0(VALU_DEP_1)
	v_cvt_f64_f32_e32 v[6:7], v3
	s_branch .LBB7_919
.LBB7_914:
	s_mov_b32 s7, -1
	s_branch .LBB7_918
.LBB7_915:
	s_or_saveexec_b32 s8, s8
	v_mov_b64_e32 v[6:7], 0x7ff8000020000000
	s_xor_b32 exec_lo, exec_lo, s8
	s_cbranch_execz .LBB7_896
.LBB7_916:
	v_cmp_ne_u16_e32 vcc_lo, 0, v3
	v_mov_b64_e32 v[6:7], 0
	s_and_not1_b32 s7, s7, exec_lo
	s_and_b32 s10, vcc_lo, exec_lo
	s_delay_alu instid0(SALU_CYCLE_1)
	s_or_b32 s7, s7, s10
	s_or_b32 exec_lo, exec_lo, s8
	s_and_saveexec_b32 s8, s7
	s_cbranch_execnz .LBB7_897
	s_branch .LBB7_898
.LBB7_917:
	s_mov_b32 s6, -1
.LBB7_918:
                                        ; implicit-def: $vgpr6_vgpr7
.LBB7_919:
	s_and_b32 vcc_lo, exec_lo, s7
	s_mov_b32 s7, 0
	s_cbranch_vccz .LBB7_921
; %bb.920:
	s_cmp_lg_u32 s1, 11
	s_mov_b32 s7, -1
	s_cselect_b32 s1, -1, 0
	s_and_not1_b32 s6, s6, exec_lo
	s_and_b32 s1, s1, exec_lo
	s_delay_alu instid0(SALU_CYCLE_1)
	s_or_b32 s6, s6, s1
.LBB7_921:
	s_mov_b32 s1, 0
.LBB7_922:
	s_delay_alu instid0(SALU_CYCLE_1)
	s_and_b32 s26, s1, exec_lo
	s_and_not1_b32 s1, s0, exec_lo
	s_and_b32 s6, s6, exec_lo
	s_and_b32 s28, s8, exec_lo
	;; [unrolled: 1-line block ×3, first 2 shown]
	s_or_b32 s29, s1, s6
.LBB7_923:
	s_wait_xcnt 0x0
	s_or_b32 exec_lo, exec_lo, s38
	s_delay_alu instid0(SALU_CYCLE_1)
	s_and_not1_b32 s0, s0, exec_lo
	s_and_b32 s1, s29, exec_lo
	s_and_b32 s28, s28, exec_lo
	;; [unrolled: 1-line block ×4, first 2 shown]
	s_or_b32 s0, s0, s1
.LBB7_924:
	s_or_b32 exec_lo, exec_lo, s31
	s_delay_alu instid0(SALU_CYCLE_1)
	s_and_not1_b32 s1, s45, exec_lo
	s_and_b32 s6, s30, exec_lo
	s_and_b32 s0, s0, exec_lo
	s_or_b32 s45, s1, s6
	s_and_not1_b32 s1, s44, exec_lo
	s_and_b32 s28, s28, exec_lo
	s_and_b32 s26, s26, exec_lo
	;; [unrolled: 1-line block ×3, first 2 shown]
	s_or_b32 s44, s1, s0
.LBB7_925:
	s_or_b32 exec_lo, exec_lo, s46
	s_delay_alu instid0(SALU_CYCLE_1)
	s_and_not1_b32 s0, s41, exec_lo
	s_and_b32 s1, s45, exec_lo
	s_and_b32 s6, s44, exec_lo
	s_or_b32 s41, s0, s1
	s_and_not1_b32 s1, s42, exec_lo
	s_and_b32 s0, s28, exec_lo
	s_and_b32 s26, s26, exec_lo
	;; [unrolled: 1-line block ×3, first 2 shown]
	s_or_b32 s42, s1, s6
	s_or_b32 exec_lo, exec_lo, s43
	s_mov_b32 s1, 0
	s_and_saveexec_b32 s6, s42
	s_cbranch_execz .LBB7_276
.LBB7_926:
	s_mov_b32 s1, exec_lo
	s_and_not1_b32 s21, s21, exec_lo
	s_trap 2
	s_or_b32 exec_lo, exec_lo, s6
	s_and_saveexec_b32 s6, s21
	s_delay_alu instid0(SALU_CYCLE_1)
	s_xor_b32 s6, exec_lo, s6
	s_cbranch_execnz .LBB7_277
.LBB7_927:
	s_or_b32 exec_lo, exec_lo, s6
	s_and_saveexec_b32 s6, s26
	s_cbranch_execz .LBB7_973
.LBB7_928:
	s_sext_i32_i16 s7, s9
	s_delay_alu instid0(SALU_CYCLE_1)
	s_cmp_lt_i32 s7, 5
	s_cbranch_scc1 .LBB7_933
; %bb.929:
	s_cmp_lt_i32 s7, 8
	s_cbranch_scc1 .LBB7_934
; %bb.930:
	;; [unrolled: 3-line block ×3, first 2 shown]
	s_cmp_gt_i32 s7, 9
	s_cbranch_scc0 .LBB7_936
; %bb.932:
	global_load_b64 v[6:7], v[0:1], off
	s_mov_b32 s7, 0
	s_branch .LBB7_937
.LBB7_933:
                                        ; implicit-def: $vgpr6_vgpr7
	s_branch .LBB7_954
.LBB7_934:
                                        ; implicit-def: $vgpr6_vgpr7
	s_branch .LBB7_943
.LBB7_935:
	s_mov_b32 s7, -1
                                        ; implicit-def: $vgpr6_vgpr7
	s_branch .LBB7_940
.LBB7_936:
	s_mov_b32 s7, -1
                                        ; implicit-def: $vgpr6_vgpr7
.LBB7_937:
	s_delay_alu instid0(SALU_CYCLE_1)
	s_and_not1_b32 vcc_lo, exec_lo, s7
	s_cbranch_vccnz .LBB7_939
; %bb.938:
	global_load_b32 v3, v[0:1], off
	s_wait_loadcnt 0x0
	v_cvt_f64_f32_e32 v[6:7], v3
.LBB7_939:
	s_mov_b32 s7, 0
.LBB7_940:
	s_delay_alu instid0(SALU_CYCLE_1)
	s_and_not1_b32 vcc_lo, exec_lo, s7
	s_cbranch_vccnz .LBB7_942
; %bb.941:
	global_load_b32 v3, v[0:1], off
	s_wait_loadcnt 0x0
	v_cvt_f32_f16_e32 v3, v3
	s_delay_alu instid0(VALU_DEP_1)
	v_cvt_f64_f32_e32 v[6:7], v3
.LBB7_942:
	s_cbranch_execnz .LBB7_953
.LBB7_943:
	s_sext_i32_i16 s7, s9
	s_delay_alu instid0(SALU_CYCLE_1)
	s_cmp_lt_i32 s7, 6
	s_cbranch_scc1 .LBB7_946
; %bb.944:
	s_cmp_gt_i32 s7, 6
	s_cbranch_scc0 .LBB7_947
; %bb.945:
	s_wait_loadcnt 0x0
	global_load_b64 v[6:7], v[0:1], off
	s_mov_b32 s7, 0
	s_branch .LBB7_948
.LBB7_946:
	s_mov_b32 s7, -1
                                        ; implicit-def: $vgpr6_vgpr7
	s_branch .LBB7_951
.LBB7_947:
	s_mov_b32 s7, -1
                                        ; implicit-def: $vgpr6_vgpr7
.LBB7_948:
	s_delay_alu instid0(SALU_CYCLE_1)
	s_and_not1_b32 vcc_lo, exec_lo, s7
	s_cbranch_vccnz .LBB7_950
; %bb.949:
	global_load_b32 v3, v[0:1], off
	s_wait_loadcnt 0x0
	v_cvt_f64_f32_e32 v[6:7], v3
.LBB7_950:
	s_mov_b32 s7, 0
.LBB7_951:
	s_delay_alu instid0(SALU_CYCLE_1)
	s_and_not1_b32 vcc_lo, exec_lo, s7
	s_cbranch_vccnz .LBB7_953
; %bb.952:
	global_load_u16 v3, v[0:1], off
	s_wait_loadcnt 0x0
	v_cvt_f32_f16_e32 v3, v3
	s_delay_alu instid0(VALU_DEP_1)
	v_cvt_f64_f32_e32 v[6:7], v3
.LBB7_953:
	s_cbranch_execnz .LBB7_972
.LBB7_954:
	s_sext_i32_i16 s7, s9
	s_delay_alu instid0(SALU_CYCLE_1)
	s_cmp_lt_i32 s7, 2
	s_cbranch_scc1 .LBB7_958
; %bb.955:
	s_cmp_lt_i32 s7, 3
	s_cbranch_scc1 .LBB7_959
; %bb.956:
	s_cmp_gt_i32 s7, 3
	s_cbranch_scc0 .LBB7_960
; %bb.957:
	global_load_b64 v[4:5], v[0:1], off
	s_mov_b32 s7, 0
	s_wait_loadcnt 0x0
	v_cvt_f64_i32_e32 v[6:7], v5
	v_cvt_f64_u32_e32 v[4:5], v4
	s_delay_alu instid0(VALU_DEP_2) | instskip(NEXT) | instid1(VALU_DEP_1)
	v_ldexp_f64 v[6:7], v[6:7], 32
	v_add_f64_e32 v[6:7], v[6:7], v[4:5]
	s_branch .LBB7_961
.LBB7_958:
                                        ; implicit-def: $vgpr6_vgpr7
	s_branch .LBB7_967
.LBB7_959:
	s_mov_b32 s7, -1
                                        ; implicit-def: $vgpr6_vgpr7
	s_branch .LBB7_964
.LBB7_960:
	s_mov_b32 s7, -1
                                        ; implicit-def: $vgpr6_vgpr7
.LBB7_961:
	s_delay_alu instid0(SALU_CYCLE_1)
	s_and_not1_b32 vcc_lo, exec_lo, s7
	s_cbranch_vccnz .LBB7_963
; %bb.962:
	global_load_b32 v3, v[0:1], off
	s_wait_loadcnt 0x0
	v_cvt_f64_i32_e32 v[6:7], v3
.LBB7_963:
	s_mov_b32 s7, 0
.LBB7_964:
	s_delay_alu instid0(SALU_CYCLE_1)
	s_and_not1_b32 vcc_lo, exec_lo, s7
	s_cbranch_vccnz .LBB7_966
; %bb.965:
	global_load_i16 v3, v[0:1], off
	s_wait_loadcnt 0x0
	v_cvt_f64_i32_e32 v[6:7], v3
.LBB7_966:
	s_cbranch_execnz .LBB7_972
.LBB7_967:
	s_sext_i32_i16 s7, s9
	s_delay_alu instid0(SALU_CYCLE_1)
	s_cmp_gt_i32 s7, 0
	s_mov_b32 s7, 0
	s_cbranch_scc0 .LBB7_969
; %bb.968:
	global_load_i8 v3, v[0:1], off
	s_wait_loadcnt 0x0
	v_cvt_f64_i32_e32 v[6:7], v3
	s_branch .LBB7_970
.LBB7_969:
	s_mov_b32 s7, -1
                                        ; implicit-def: $vgpr6_vgpr7
.LBB7_970:
	s_delay_alu instid0(SALU_CYCLE_1)
	s_and_not1_b32 vcc_lo, exec_lo, s7
	s_cbranch_vccnz .LBB7_972
; %bb.971:
	global_load_u8 v0, v[0:1], off
	s_wait_loadcnt 0x0
	v_cvt_f64_u32_e32 v[6:7], v0
.LBB7_972:
	s_or_b32 s0, s0, exec_lo
.LBB7_973:
	s_wait_xcnt 0x0
	s_or_b32 exec_lo, exec_lo, s6
	s_mov_b32 s9, 0
	s_mov_b32 s8, 0
                                        ; implicit-def: $sgpr6
                                        ; implicit-def: $vgpr4_vgpr5
                                        ; implicit-def: $vgpr0_vgpr1
	s_and_saveexec_b32 s7, s0
	s_cbranch_execz .LBB7_1048
; %bb.974:
	s_wait_loadcnt 0x0
	s_delay_alu instid0(VALU_DEP_1) | instskip(SKIP_3) | instid1(SALU_CYCLE_1)
	v_cmp_nge_f64_e64 s0, v[6:7], -s[16:17]
	v_cmp_nge_f64_e32 vcc_lo, s[16:17], v[6:7]
	s_and_b32 s6, s18, 0xff
	s_or_b32 vcc_lo, s0, vcc_lo
	v_dual_mov_b32 v3, 0 :: v_dual_cndmask_b32 v1, 0, v7, vcc_lo
	v_cndmask_b32_e32 v0, 0, v6, vcc_lo
	s_cmp_lt_i32 s6, 11
	s_mov_b32 s0, s41
	s_delay_alu instid0(VALU_DEP_2)
	v_add_nc_u64_e32 v[4:5], s[4:5], v[2:3]
	s_mov_b32 s5, -1
	s_cbranch_scc1 .LBB7_1052
; %bb.975:
	s_and_b32 s4, 0xffff, s6
	s_mov_b32 s0, s41
	s_cmp_gt_i32 s4, 25
	s_cbranch_scc0 .LBB7_1008
; %bb.976:
	s_cmp_gt_i32 s4, 28
	s_mov_b32 s0, s41
	s_cbranch_scc0 .LBB7_992
; %bb.977:
	s_cmp_gt_i32 s4, 43
	s_mov_b32 s0, s41
	;; [unrolled: 4-line block ×3, first 2 shown]
	s_cbranch_scc0 .LBB7_982
; %bb.979:
	s_cmp_eq_u32 s4, 46
	s_mov_b32 s0, -1
	s_cbranch_scc0 .LBB7_981
; %bb.980:
	v_cvt_f32_f64_e32 v2, v[0:1]
	s_mov_b32 s0, 0
	s_delay_alu instid0(VALU_DEP_1) | instskip(SKIP_1) | instid1(VALU_DEP_2)
	v_bfe_u32 v3, v2, 16, 1
	v_cmp_o_f32_e32 vcc_lo, v2, v2
	v_add3_u32 v3, v2, v3, 0x7fff
	s_delay_alu instid0(VALU_DEP_1) | instskip(NEXT) | instid1(VALU_DEP_1)
	v_lshrrev_b32_e32 v3, 16, v3
	v_cndmask_b32_e32 v2, 0x7fc0, v3, vcc_lo
	global_store_b32 v[4:5], v2, off
.LBB7_981:
	s_mov_b32 s5, 0
.LBB7_982:
	s_delay_alu instid0(SALU_CYCLE_1)
	s_and_b32 vcc_lo, exec_lo, s5
	s_cbranch_vccz .LBB7_987
; %bb.983:
	s_cmp_eq_u32 s4, 44
	s_mov_b32 s0, -1
	s_cbranch_scc0 .LBB7_987
; %bb.984:
	s_wait_xcnt 0x0
	v_cvt_f32_f64_e32 v2, v[0:1]
	v_mov_b32_e32 v3, 0xff
	s_mov_b32 s5, exec_lo
	s_delay_alu instid0(VALU_DEP_2) | instskip(NEXT) | instid1(VALU_DEP_1)
	v_bfe_u32 v6, v2, 23, 8
	v_cmpx_ne_u32_e32 0xff, v6
	s_cbranch_execz .LBB7_986
; %bb.985:
	v_and_b32_e32 v3, 0x400000, v2
	v_and_or_b32 v6, 0x3fffff, v2, v6
	v_lshrrev_b32_e32 v2, 23, v2
	s_delay_alu instid0(VALU_DEP_3) | instskip(NEXT) | instid1(VALU_DEP_3)
	v_cmp_ne_u32_e32 vcc_lo, 0, v3
	v_cmp_ne_u32_e64 s0, 0, v6
	s_and_b32 s0, vcc_lo, s0
	s_delay_alu instid0(SALU_CYCLE_1) | instskip(NEXT) | instid1(VALU_DEP_1)
	v_cndmask_b32_e64 v3, 0, 1, s0
	v_add_nc_u32_e32 v3, v2, v3
.LBB7_986:
	s_or_b32 exec_lo, exec_lo, s5
	s_mov_b32 s0, 0
	global_store_b8 v[4:5], v3, off
.LBB7_987:
	s_mov_b32 s5, 0
.LBB7_988:
	s_delay_alu instid0(SALU_CYCLE_1)
	s_and_b32 vcc_lo, exec_lo, s5
	s_cbranch_vccz .LBB7_991
; %bb.989:
	s_cmp_eq_u32 s4, 29
	s_mov_b32 s0, -1
	s_cbranch_scc0 .LBB7_991
; %bb.990:
	s_wait_xcnt 0x0
	v_trunc_f64_e32 v[2:3], v[0:1]
	s_mov_b32 s0, 0
	s_delay_alu instid0(VALU_DEP_1) | instskip(NEXT) | instid1(VALU_DEP_1)
	v_ldexp_f64 v[6:7], v[2:3], 0xffffffe0
	v_floor_f64_e32 v[6:7], v[6:7]
	s_delay_alu instid0(VALU_DEP_1) | instskip(SKIP_1) | instid1(VALU_DEP_2)
	v_fmamk_f64 v[2:3], v[6:7], 0xc1f00000, v[2:3]
	v_cvt_u32_f64_e32 v7, v[6:7]
	v_cvt_u32_f64_e32 v6, v[2:3]
	global_store_b64 v[4:5], v[6:7], off
.LBB7_991:
	s_mov_b32 s5, 0
.LBB7_992:
	s_delay_alu instid0(SALU_CYCLE_1)
	s_and_b32 vcc_lo, exec_lo, s5
	s_cbranch_vccz .LBB7_1007
; %bb.993:
	s_cmp_lt_i32 s4, 27
	s_mov_b32 s5, -1
	s_cbranch_scc1 .LBB7_999
; %bb.994:
	s_cmp_gt_i32 s4, 27
	s_cbranch_scc0 .LBB7_996
; %bb.995:
	s_wait_xcnt 0x0
	v_cvt_u32_f64_e32 v2, v[0:1]
	s_mov_b32 s5, 0
	global_store_b32 v[4:5], v2, off
.LBB7_996:
	s_and_not1_b32 vcc_lo, exec_lo, s5
	s_cbranch_vccnz .LBB7_998
; %bb.997:
	s_wait_xcnt 0x0
	v_cvt_u32_f64_e32 v2, v[0:1]
	global_store_b16 v[4:5], v2, off
.LBB7_998:
	s_mov_b32 s5, 0
.LBB7_999:
	s_delay_alu instid0(SALU_CYCLE_1)
	s_and_not1_b32 vcc_lo, exec_lo, s5
	s_cbranch_vccnz .LBB7_1007
; %bb.1000:
	s_wait_xcnt 0x0
	v_cvt_f32_f64_e32 v2, v[0:1]
	v_mov_b32_e32 v6, 0x80
	s_mov_b32 s5, exec_lo
	s_delay_alu instid0(VALU_DEP_2) | instskip(NEXT) | instid1(VALU_DEP_1)
	v_and_b32_e32 v3, 0x7fffffff, v2
	v_cmpx_gt_u32_e32 0x43800000, v3
	s_cbranch_execz .LBB7_1006
; %bb.1001:
	v_cmp_lt_u32_e32 vcc_lo, 0x3bffffff, v3
                                        ; implicit-def: $vgpr3
	s_and_saveexec_b32 s9, vcc_lo
	s_delay_alu instid0(SALU_CYCLE_1)
	s_xor_b32 s9, exec_lo, s9
	s_cbranch_execz .LBB7_1167
; %bb.1002:
	v_bfe_u32 v3, v2, 20, 1
	s_mov_b32 s8, exec_lo
	s_delay_alu instid0(VALU_DEP_1) | instskip(NEXT) | instid1(VALU_DEP_1)
	v_add3_u32 v3, v2, v3, 0x487ffff
	v_lshrrev_b32_e32 v3, 20, v3
	s_and_not1_saveexec_b32 s9, s9
	s_cbranch_execnz .LBB7_1168
.LBB7_1003:
	s_or_b32 exec_lo, exec_lo, s9
	v_mov_b32_e32 v6, 0
	s_and_saveexec_b32 s9, s8
.LBB7_1004:
	v_lshrrev_b32_e32 v2, 24, v2
	s_delay_alu instid0(VALU_DEP_1)
	v_and_or_b32 v6, 0x80, v2, v3
.LBB7_1005:
	s_or_b32 exec_lo, exec_lo, s9
.LBB7_1006:
	s_delay_alu instid0(SALU_CYCLE_1)
	s_or_b32 exec_lo, exec_lo, s5
	global_store_b8 v[4:5], v6, off
.LBB7_1007:
	s_mov_b32 s5, 0
.LBB7_1008:
	s_delay_alu instid0(SALU_CYCLE_1)
	s_and_b32 vcc_lo, exec_lo, s5
	s_mov_b32 s5, 0
	s_cbranch_vccz .LBB7_1051
; %bb.1009:
	s_cmp_gt_i32 s4, 22
	s_mov_b32 s8, -1
	s_cbranch_scc0 .LBB7_1041
; %bb.1010:
	s_cmp_lt_i32 s4, 24
	s_cbranch_scc1 .LBB7_1030
; %bb.1011:
	s_cmp_gt_i32 s4, 24
	s_cbranch_scc0 .LBB7_1019
; %bb.1012:
	s_wait_xcnt 0x0
	v_cvt_f32_f64_e32 v2, v[0:1]
	v_mov_b32_e32 v6, 0x80
	s_mov_b32 s8, exec_lo
	s_delay_alu instid0(VALU_DEP_2) | instskip(NEXT) | instid1(VALU_DEP_1)
	v_and_b32_e32 v3, 0x7fffffff, v2
	v_cmpx_gt_u32_e32 0x47800000, v3
	s_cbranch_execz .LBB7_1018
; %bb.1013:
	v_cmp_lt_u32_e32 vcc_lo, 0x37ffffff, v3
	s_mov_b32 s9, 0
                                        ; implicit-def: $vgpr3
	s_and_saveexec_b32 s10, vcc_lo
	s_delay_alu instid0(SALU_CYCLE_1)
	s_xor_b32 s10, exec_lo, s10
	s_cbranch_execz .LBB7_1293
; %bb.1014:
	v_bfe_u32 v3, v2, 21, 1
	s_mov_b32 s9, exec_lo
	s_delay_alu instid0(VALU_DEP_1) | instskip(NEXT) | instid1(VALU_DEP_1)
	v_add3_u32 v3, v2, v3, 0x88fffff
	v_lshrrev_b32_e32 v3, 21, v3
	s_and_not1_saveexec_b32 s10, s10
	s_cbranch_execnz .LBB7_1294
.LBB7_1015:
	s_or_b32 exec_lo, exec_lo, s10
	v_mov_b32_e32 v6, 0
	s_and_saveexec_b32 s10, s9
.LBB7_1016:
	v_lshrrev_b32_e32 v2, 24, v2
	s_delay_alu instid0(VALU_DEP_1)
	v_and_or_b32 v6, 0x80, v2, v3
.LBB7_1017:
	s_or_b32 exec_lo, exec_lo, s10
.LBB7_1018:
	s_delay_alu instid0(SALU_CYCLE_1)
	s_or_b32 exec_lo, exec_lo, s8
	s_mov_b32 s8, 0
	global_store_b8 v[4:5], v6, off
.LBB7_1019:
	s_and_b32 vcc_lo, exec_lo, s8
	s_cbranch_vccz .LBB7_1029
; %bb.1020:
	s_wait_xcnt 0x0
	v_cvt_f32_f64_e32 v2, v[0:1]
	s_mov_b32 s8, exec_lo
                                        ; implicit-def: $vgpr3
	s_delay_alu instid0(VALU_DEP_1) | instskip(NEXT) | instid1(VALU_DEP_1)
	v_and_b32_e32 v6, 0x7fffffff, v2
	v_cmpx_gt_u32_e32 0x43f00000, v6
	s_xor_b32 s8, exec_lo, s8
	s_cbranch_execz .LBB7_1026
; %bb.1021:
	s_mov_b32 s9, exec_lo
                                        ; implicit-def: $vgpr3
	v_cmpx_lt_u32_e32 0x3c7fffff, v6
	s_xor_b32 s9, exec_lo, s9
; %bb.1022:
	v_bfe_u32 v3, v2, 20, 1
	s_delay_alu instid0(VALU_DEP_1) | instskip(NEXT) | instid1(VALU_DEP_1)
	v_add3_u32 v3, v2, v3, 0x407ffff
	v_and_b32_e32 v6, 0xff00000, v3
	v_lshrrev_b32_e32 v3, 20, v3
	s_delay_alu instid0(VALU_DEP_2) | instskip(NEXT) | instid1(VALU_DEP_2)
	v_cmp_ne_u32_e32 vcc_lo, 0x7f00000, v6
	v_cndmask_b32_e32 v3, 0x7e, v3, vcc_lo
; %bb.1023:
	s_and_not1_saveexec_b32 s9, s9
; %bb.1024:
	v_add_f32_e64 v3, 0x46800000, |v2|
; %bb.1025:
	s_or_b32 exec_lo, exec_lo, s9
                                        ; implicit-def: $vgpr6
.LBB7_1026:
	s_and_not1_saveexec_b32 s8, s8
; %bb.1027:
	v_mov_b32_e32 v3, 0x7f
	v_cmp_lt_u32_e32 vcc_lo, 0x7f800000, v6
	s_delay_alu instid0(VALU_DEP_2)
	v_cndmask_b32_e32 v3, 0x7e, v3, vcc_lo
; %bb.1028:
	s_or_b32 exec_lo, exec_lo, s8
	v_lshrrev_b32_e32 v2, 24, v2
	s_delay_alu instid0(VALU_DEP_1)
	v_and_or_b32 v2, 0x80, v2, v3
	global_store_b8 v[4:5], v2, off
.LBB7_1029:
	s_mov_b32 s8, 0
.LBB7_1030:
	s_delay_alu instid0(SALU_CYCLE_1)
	s_and_not1_b32 vcc_lo, exec_lo, s8
	s_cbranch_vccnz .LBB7_1040
; %bb.1031:
	s_wait_xcnt 0x0
	v_cvt_f32_f64_e32 v2, v[0:1]
	s_mov_b32 s8, exec_lo
                                        ; implicit-def: $vgpr3
	s_delay_alu instid0(VALU_DEP_1) | instskip(NEXT) | instid1(VALU_DEP_1)
	v_and_b32_e32 v6, 0x7fffffff, v2
	v_cmpx_gt_u32_e32 0x47800000, v6
	s_xor_b32 s8, exec_lo, s8
	s_cbranch_execz .LBB7_1037
; %bb.1032:
	s_mov_b32 s9, exec_lo
                                        ; implicit-def: $vgpr3
	v_cmpx_lt_u32_e32 0x387fffff, v6
	s_xor_b32 s9, exec_lo, s9
; %bb.1033:
	v_bfe_u32 v3, v2, 21, 1
	s_delay_alu instid0(VALU_DEP_1) | instskip(NEXT) | instid1(VALU_DEP_1)
	v_add3_u32 v3, v2, v3, 0x80fffff
	v_lshrrev_b32_e32 v3, 21, v3
; %bb.1034:
	s_and_not1_saveexec_b32 s9, s9
; %bb.1035:
	v_add_f32_e64 v3, 0x43000000, |v2|
; %bb.1036:
	s_or_b32 exec_lo, exec_lo, s9
                                        ; implicit-def: $vgpr6
.LBB7_1037:
	s_and_not1_saveexec_b32 s8, s8
; %bb.1038:
	v_mov_b32_e32 v3, 0x7f
	v_cmp_lt_u32_e32 vcc_lo, 0x7f800000, v6
	s_delay_alu instid0(VALU_DEP_2)
	v_cndmask_b32_e32 v3, 0x7c, v3, vcc_lo
; %bb.1039:
	s_or_b32 exec_lo, exec_lo, s8
	v_lshrrev_b32_e32 v2, 24, v2
	s_delay_alu instid0(VALU_DEP_1)
	v_and_or_b32 v2, 0x80, v2, v3
	global_store_b8 v[4:5], v2, off
.LBB7_1040:
	s_mov_b32 s8, 0
.LBB7_1041:
	s_delay_alu instid0(SALU_CYCLE_1)
	s_and_not1_b32 vcc_lo, exec_lo, s8
	s_mov_b32 s9, 0
	s_cbranch_vccnz .LBB7_1052
; %bb.1042:
	s_cmp_gt_i32 s4, 14
	s_mov_b32 s8, -1
	s_cbranch_scc0 .LBB7_1046
; %bb.1043:
	s_cmp_eq_u32 s4, 15
	s_mov_b32 s0, -1
	s_cbranch_scc0 .LBB7_1045
; %bb.1044:
	s_wait_xcnt 0x0
	v_cvt_f32_f64_e32 v2, v[0:1]
	s_mov_b32 s0, 0
	s_delay_alu instid0(VALU_DEP_1) | instskip(SKIP_1) | instid1(VALU_DEP_2)
	v_bfe_u32 v3, v2, 16, 1
	v_cmp_o_f32_e32 vcc_lo, v2, v2
	v_add3_u32 v3, v2, v3, 0x7fff
	s_delay_alu instid0(VALU_DEP_1) | instskip(NEXT) | instid1(VALU_DEP_1)
	v_lshrrev_b32_e32 v3, 16, v3
	v_cndmask_b32_e32 v2, 0x7fc0, v3, vcc_lo
	global_store_b16 v[4:5], v2, off
.LBB7_1045:
	s_mov_b32 s8, 0
.LBB7_1046:
	s_delay_alu instid0(SALU_CYCLE_1)
	s_and_b32 vcc_lo, exec_lo, s8
	s_cbranch_vccz .LBB7_1052
; %bb.1047:
	s_cmp_lg_u32 s4, 11
	s_mov_b32 s9, -1
	s_cselect_b32 s4, -1, 0
	s_and_not1_b32 s0, s0, exec_lo
	s_and_b32 s4, s4, exec_lo
	s_delay_alu instid0(SALU_CYCLE_1)
	s_or_b32 s0, s0, s4
	s_branch .LBB7_1052
.LBB7_1048:
	s_or_b32 exec_lo, exec_lo, s7
	s_and_saveexec_b32 s0, s41
	s_cbranch_execnz .LBB7_1053
.LBB7_1049:
	s_or_b32 exec_lo, exec_lo, s0
	s_and_saveexec_b32 s0, s9
	s_delay_alu instid0(SALU_CYCLE_1)
	s_xor_b32 s0, exec_lo, s0
	s_cbranch_execz .LBB7_1054
.LBB7_1050:
	v_cmp_neq_f64_e32 vcc_lo, 0, v[0:1]
	v_cndmask_b32_e64 v2, 0, 1, vcc_lo
	global_store_b8 v[4:5], v2, off
	s_wait_xcnt 0x0
	s_or_b32 exec_lo, exec_lo, s0
	s_and_saveexec_b32 s0, s8
	s_delay_alu instid0(SALU_CYCLE_1)
	s_xor_b32 s0, exec_lo, s0
	s_cbranch_execz .LBB7_1092
	s_branch .LBB7_1055
.LBB7_1051:
	s_mov_b32 s9, 0
.LBB7_1052:
	s_and_not1_b32 s4, s41, exec_lo
	s_and_b32 s0, s0, exec_lo
	s_and_b32 s8, s5, exec_lo
	;; [unrolled: 1-line block ×3, first 2 shown]
	s_or_b32 s41, s4, s0
	s_wait_xcnt 0x0
	s_or_b32 exec_lo, exec_lo, s7
	s_and_saveexec_b32 s0, s41
	s_cbranch_execz .LBB7_1049
.LBB7_1053:
	s_or_b32 s1, s1, exec_lo
	s_and_not1_b32 s9, s9, exec_lo
	s_trap 2
	s_or_b32 exec_lo, exec_lo, s0
	s_and_saveexec_b32 s0, s9
	s_delay_alu instid0(SALU_CYCLE_1)
	s_xor_b32 s0, exec_lo, s0
	s_cbranch_execnz .LBB7_1050
.LBB7_1054:
	s_or_b32 exec_lo, exec_lo, s0
	s_and_saveexec_b32 s0, s8
	s_delay_alu instid0(SALU_CYCLE_1)
	s_xor_b32 s0, exec_lo, s0
	s_cbranch_execz .LBB7_1092
.LBB7_1055:
	s_sext_i32_i16 s5, s6
	s_mov_b32 s4, -1
	s_cmp_lt_i32 s5, 5
	s_cbranch_scc1 .LBB7_1076
; %bb.1056:
	s_cmp_lt_i32 s5, 8
	s_cbranch_scc1 .LBB7_1066
; %bb.1057:
	;; [unrolled: 3-line block ×3, first 2 shown]
	s_cmp_gt_i32 s5, 9
	s_cbranch_scc0 .LBB7_1060
; %bb.1059:
	v_mov_b32_e32 v2, 0
	s_mov_b32 s4, 0
	s_delay_alu instid0(VALU_DEP_1)
	v_mov_b32_e32 v3, v2
	global_store_b128 v[4:5], v[0:3], off
.LBB7_1060:
	s_and_not1_b32 vcc_lo, exec_lo, s4
	s_cbranch_vccnz .LBB7_1062
; %bb.1061:
	s_wait_xcnt 0x0
	v_cvt_f32_f64_e32 v2, v[0:1]
	v_mov_b32_e32 v3, 0
	global_store_b64 v[4:5], v[2:3], off
.LBB7_1062:
	s_mov_b32 s4, 0
.LBB7_1063:
	s_delay_alu instid0(SALU_CYCLE_1)
	s_and_not1_b32 vcc_lo, exec_lo, s4
	s_cbranch_vccnz .LBB7_1065
; %bb.1064:
	s_wait_xcnt 0x0
	v_and_or_b32 v2, 0x1ff, v1, v0
	v_lshrrev_b32_e32 v3, 8, v1
	s_wait_loadcnt 0x0
	v_bfe_u32 v6, v1, 20, 11
	s_delay_alu instid0(VALU_DEP_3) | instskip(NEXT) | instid1(VALU_DEP_2)
	v_cmp_ne_u32_e32 vcc_lo, 0, v2
	v_sub_nc_u32_e32 v7, 0x3f1, v6
	v_cndmask_b32_e64 v2, 0, 1, vcc_lo
	s_delay_alu instid0(VALU_DEP_1) | instskip(NEXT) | instid1(VALU_DEP_3)
	v_and_or_b32 v2, 0xffe, v3, v2
	v_med3_i32 v3, v7, 0, 13
	s_delay_alu instid0(VALU_DEP_2) | instskip(NEXT) | instid1(VALU_DEP_1)
	v_or_b32_e32 v7, 0x1000, v2
	v_lshrrev_b32_e32 v8, v3, v7
	s_delay_alu instid0(VALU_DEP_1) | instskip(NEXT) | instid1(VALU_DEP_1)
	v_lshlrev_b32_e32 v3, v3, v8
	v_cmp_ne_u32_e32 vcc_lo, v3, v7
	v_cndmask_b32_e64 v3, 0, 1, vcc_lo
	s_delay_alu instid0(VALU_DEP_1) | instskip(SKIP_1) | instid1(VALU_DEP_1)
	v_or_b32_e32 v3, v8, v3
	v_add_nc_u32_e32 v6, 0xfffffc10, v6
	v_lshl_or_b32 v7, v6, 12, v2
	v_cmp_gt_i32_e32 vcc_lo, 1, v6
	s_delay_alu instid0(VALU_DEP_2) | instskip(NEXT) | instid1(VALU_DEP_1)
	v_cndmask_b32_e32 v3, v7, v3, vcc_lo
	v_dual_lshrrev_b32 v3, 2, v3 :: v_dual_bitop2_b32 v7, 7, v3 bitop3:0x40
	s_delay_alu instid0(VALU_DEP_1) | instskip(SKIP_4) | instid1(VALU_DEP_2)
	v_cmp_lt_i32_e32 vcc_lo, 5, v7
	v_cndmask_b32_e64 v8, 0, 1, vcc_lo
	v_cmp_eq_u32_e32 vcc_lo, 3, v7
	v_cndmask_b32_e64 v7, 0, 1, vcc_lo
	v_cmp_ne_u32_e32 vcc_lo, 0, v2
	v_or_b32_e32 v7, v7, v8
	s_delay_alu instid0(VALU_DEP_1) | instskip(NEXT) | instid1(VALU_DEP_1)
	v_dual_mov_b32 v8, 0x7e00 :: v_dual_add_nc_u32 v3, v3, v7
	v_cndmask_b32_e32 v2, 0x7c00, v8, vcc_lo
	v_cmp_gt_i32_e32 vcc_lo, 31, v6
	v_lshrrev_b32_e32 v7, 16, v1
	s_delay_alu instid0(VALU_DEP_4) | instskip(SKIP_1) | instid1(VALU_DEP_2)
	v_cndmask_b32_e32 v3, 0x7c00, v3, vcc_lo
	v_cmp_eq_u32_e32 vcc_lo, 0x40f, v6
	v_cndmask_b32_e32 v2, v3, v2, vcc_lo
	s_delay_alu instid0(VALU_DEP_4) | instskip(NEXT) | instid1(VALU_DEP_1)
	v_and_b32_e32 v3, 0x8000, v7
	v_bitop3_b32 v2, v3, 0xffff, v2 bitop3:0xc8
	global_store_b32 v[4:5], v2, off
.LBB7_1065:
	s_mov_b32 s4, 0
.LBB7_1066:
	s_delay_alu instid0(SALU_CYCLE_1)
	s_and_not1_b32 vcc_lo, exec_lo, s4
	s_cbranch_vccnz .LBB7_1075
; %bb.1067:
	s_sext_i32_i16 s5, s6
	s_mov_b32 s4, -1
	s_cmp_lt_i32 s5, 6
	s_cbranch_scc1 .LBB7_1073
; %bb.1068:
	s_cmp_gt_i32 s5, 6
	s_cbranch_scc0 .LBB7_1070
; %bb.1069:
	s_mov_b32 s4, 0
	global_store_b64 v[4:5], v[0:1], off
.LBB7_1070:
	s_and_not1_b32 vcc_lo, exec_lo, s4
	s_cbranch_vccnz .LBB7_1072
; %bb.1071:
	s_wait_xcnt 0x0
	v_cvt_f32_f64_e32 v2, v[0:1]
	global_store_b32 v[4:5], v2, off
.LBB7_1072:
	s_mov_b32 s4, 0
.LBB7_1073:
	s_delay_alu instid0(SALU_CYCLE_1)
	s_and_not1_b32 vcc_lo, exec_lo, s4
	s_cbranch_vccnz .LBB7_1075
; %bb.1074:
	s_wait_xcnt 0x0
	v_and_or_b32 v2, 0x1ff, v1, v0
	v_lshrrev_b32_e32 v3, 8, v1
	s_wait_loadcnt 0x0
	v_bfe_u32 v6, v1, 20, 11
	s_delay_alu instid0(VALU_DEP_3) | instskip(NEXT) | instid1(VALU_DEP_2)
	v_cmp_ne_u32_e32 vcc_lo, 0, v2
	v_sub_nc_u32_e32 v7, 0x3f1, v6
	v_cndmask_b32_e64 v2, 0, 1, vcc_lo
	s_delay_alu instid0(VALU_DEP_1) | instskip(NEXT) | instid1(VALU_DEP_3)
	v_and_or_b32 v2, 0xffe, v3, v2
	v_med3_i32 v3, v7, 0, 13
	s_delay_alu instid0(VALU_DEP_2) | instskip(NEXT) | instid1(VALU_DEP_1)
	v_or_b32_e32 v7, 0x1000, v2
	v_lshrrev_b32_e32 v8, v3, v7
	s_delay_alu instid0(VALU_DEP_1) | instskip(NEXT) | instid1(VALU_DEP_1)
	v_lshlrev_b32_e32 v3, v3, v8
	v_cmp_ne_u32_e32 vcc_lo, v3, v7
	v_cndmask_b32_e64 v3, 0, 1, vcc_lo
	s_delay_alu instid0(VALU_DEP_1) | instskip(SKIP_1) | instid1(VALU_DEP_1)
	v_or_b32_e32 v3, v8, v3
	v_add_nc_u32_e32 v6, 0xfffffc10, v6
	v_lshl_or_b32 v7, v6, 12, v2
	v_cmp_gt_i32_e32 vcc_lo, 1, v6
	s_delay_alu instid0(VALU_DEP_2) | instskip(NEXT) | instid1(VALU_DEP_1)
	v_cndmask_b32_e32 v3, v7, v3, vcc_lo
	v_dual_lshrrev_b32 v3, 2, v3 :: v_dual_bitop2_b32 v7, 7, v3 bitop3:0x40
	s_delay_alu instid0(VALU_DEP_1) | instskip(SKIP_4) | instid1(VALU_DEP_2)
	v_cmp_lt_i32_e32 vcc_lo, 5, v7
	v_cndmask_b32_e64 v8, 0, 1, vcc_lo
	v_cmp_eq_u32_e32 vcc_lo, 3, v7
	v_cndmask_b32_e64 v7, 0, 1, vcc_lo
	v_cmp_ne_u32_e32 vcc_lo, 0, v2
	v_or_b32_e32 v7, v7, v8
	s_delay_alu instid0(VALU_DEP_1) | instskip(NEXT) | instid1(VALU_DEP_1)
	v_dual_mov_b32 v8, 0x7e00 :: v_dual_add_nc_u32 v3, v3, v7
	v_cndmask_b32_e32 v2, 0x7c00, v8, vcc_lo
	v_cmp_gt_i32_e32 vcc_lo, 31, v6
	s_delay_alu instid0(VALU_DEP_3) | instskip(SKIP_1) | instid1(VALU_DEP_2)
	v_cndmask_b32_e32 v3, 0x7c00, v3, vcc_lo
	v_cmp_eq_u32_e32 vcc_lo, 0x40f, v6
	v_dual_cndmask_b32 v2, v3, v2 :: v_dual_lshrrev_b32 v3, 16, v1
	s_delay_alu instid0(VALU_DEP_1)
	v_and_or_b32 v2, 0x8000, v3, v2
	global_store_b16 v[4:5], v2, off
.LBB7_1075:
	s_mov_b32 s4, 0
.LBB7_1076:
	s_delay_alu instid0(SALU_CYCLE_1)
	s_and_not1_b32 vcc_lo, exec_lo, s4
	s_cbranch_vccnz .LBB7_1092
; %bb.1077:
	s_sext_i32_i16 s5, s6
	s_mov_b32 s4, -1
	s_cmp_lt_i32 s5, 2
	s_cbranch_scc1 .LBB7_1087
; %bb.1078:
	s_cmp_lt_i32 s5, 3
	s_cbranch_scc1 .LBB7_1084
; %bb.1079:
	s_cmp_gt_i32 s5, 3
	s_cbranch_scc0 .LBB7_1081
; %bb.1080:
	s_wait_xcnt 0x0
	v_trunc_f64_e32 v[2:3], v[0:1]
	s_mov_b32 s4, 0
	s_wait_loadcnt 0x0
	s_delay_alu instid0(VALU_DEP_1) | instskip(NEXT) | instid1(VALU_DEP_1)
	v_ldexp_f64 v[6:7], v[2:3], 0xffffffe0
	v_floor_f64_e32 v[6:7], v[6:7]
	s_delay_alu instid0(VALU_DEP_1) | instskip(SKIP_1) | instid1(VALU_DEP_2)
	v_fmamk_f64 v[2:3], v[6:7], 0xc1f00000, v[2:3]
	v_cvt_i32_f64_e32 v7, v[6:7]
	v_cvt_u32_f64_e32 v6, v[2:3]
	global_store_b64 v[4:5], v[6:7], off
.LBB7_1081:
	s_and_not1_b32 vcc_lo, exec_lo, s4
	s_cbranch_vccnz .LBB7_1083
; %bb.1082:
	s_wait_xcnt 0x0
	v_cvt_i32_f64_e32 v2, v[0:1]
	global_store_b32 v[4:5], v2, off
.LBB7_1083:
	s_mov_b32 s4, 0
.LBB7_1084:
	s_delay_alu instid0(SALU_CYCLE_1)
	s_and_not1_b32 vcc_lo, exec_lo, s4
	s_cbranch_vccnz .LBB7_1086
; %bb.1085:
	s_wait_xcnt 0x0
	v_cvt_i32_f64_e32 v2, v[0:1]
	global_store_b16 v[4:5], v2, off
.LBB7_1086:
	s_mov_b32 s4, 0
.LBB7_1087:
	s_delay_alu instid0(SALU_CYCLE_1)
	s_and_not1_b32 vcc_lo, exec_lo, s4
	s_cbranch_vccnz .LBB7_1092
; %bb.1088:
	s_sext_i32_i16 s4, s6
	s_delay_alu instid0(SALU_CYCLE_1)
	s_cmp_gt_i32 s4, 0
	s_mov_b32 s4, -1
	s_cbranch_scc0 .LBB7_1090
; %bb.1089:
	s_wait_xcnt 0x0
	v_cvt_i32_f64_e32 v2, v[0:1]
	s_mov_b32 s4, 0
	global_store_b8 v[4:5], v2, off
.LBB7_1090:
	s_and_not1_b32 vcc_lo, exec_lo, s4
	s_cbranch_vccnz .LBB7_1092
; %bb.1091:
	s_wait_xcnt 0x0
	v_trunc_f64_e32 v[0:1], v[0:1]
	s_delay_alu instid0(VALU_DEP_1) | instskip(NEXT) | instid1(VALU_DEP_1)
	v_ldexp_f64 v[2:3], v[0:1], 0xffffffe0
	v_floor_f64_e32 v[2:3], v[2:3]
	s_delay_alu instid0(VALU_DEP_1) | instskip(NEXT) | instid1(VALU_DEP_1)
	v_fmamk_f64 v[0:1], v[2:3], 0xc1f00000, v[0:1]
	v_cvt_u32_f64_e32 v0, v[0:1]
	global_store_b8 v[4:5], v0, off
.LBB7_1092:
	s_wait_xcnt 0x0
	s_or_b32 exec_lo, exec_lo, s0
	s_delay_alu instid0(SALU_CYCLE_1)
	s_and_b32 s11, s1, exec_lo
                                        ; implicit-def: $vgpr3
                                        ; implicit-def: $vgpr4
.LBB7_1093:
	s_or_saveexec_b32 s12, s36
	s_mov_b32 s0, 0
                                        ; implicit-def: $vgpr6_vgpr7
                                        ; implicit-def: $sgpr6
                                        ; implicit-def: $vgpr0_vgpr1
	s_xor_b32 exec_lo, exec_lo, s12
	s_cbranch_execz .LBB7_2102
; %bb.1094:
	v_cndmask_b32_e64 v5, 0, 1, s35
	s_and_not1_b32 vcc_lo, exec_lo, s35
	s_cbranch_vccnz .LBB7_1100
; %bb.1095:
	s_cmp_lg_u32 s19, 0
	s_mov_b32 s8, 0
	s_cbranch_scc0 .LBB7_1101
; %bb.1096:
	s_min_u32 s1, s33, 15
	s_delay_alu instid0(SALU_CYCLE_1)
	s_add_co_i32 s1, s1, 1
	s_cmp_eq_u32 s33, 2
	s_cbranch_scc1 .LBB7_1102
; %bb.1097:
	v_dual_mov_b32 v0, 0 :: v_dual_mov_b32 v2, 0
	s_wait_loadcnt 0x0
	v_mov_b32_e32 v6, v4
	s_and_b32 s0, s1, 28
	s_add_nc_u64 s[4:5], s[2:3], 0xc4
	s_mov_b32 s9, 0
	s_mov_b64 s[6:7], s[2:3]
.LBB7_1098:                             ; =>This Inner Loop Header: Depth=1
	s_clause 0x1
	s_load_b256 s[20:27], s[6:7], 0x4
	s_load_b128 s[28:31], s[6:7], 0x24
	s_load_b256 s[36:43], s[4:5], 0x0
	s_add_co_i32 s9, s9, 4
	s_wait_xcnt 0x0
	s_add_nc_u64 s[6:7], s[6:7], 48
	s_cmp_lg_u32 s0, s9
	s_add_nc_u64 s[4:5], s[4:5], 32
	s_wait_kmcnt 0x0
	v_mul_hi_u32 v1, s21, v6
	s_delay_alu instid0(VALU_DEP_1) | instskip(NEXT) | instid1(VALU_DEP_1)
	v_add_nc_u32_e32 v1, v6, v1
	v_lshrrev_b32_e32 v1, s22, v1
	s_delay_alu instid0(VALU_DEP_1) | instskip(NEXT) | instid1(VALU_DEP_1)
	v_mul_hi_u32 v7, s24, v1
	v_add_nc_u32_e32 v7, v1, v7
	s_delay_alu instid0(VALU_DEP_1) | instskip(NEXT) | instid1(VALU_DEP_1)
	v_lshrrev_b32_e32 v7, s25, v7
	v_mul_hi_u32 v8, s27, v7
	s_delay_alu instid0(VALU_DEP_1) | instskip(SKIP_1) | instid1(VALU_DEP_1)
	v_add_nc_u32_e32 v8, v7, v8
	v_mul_lo_u32 v9, v1, s20
	v_sub_nc_u32_e32 v6, v6, v9
	v_mul_lo_u32 v9, v7, s23
	s_delay_alu instid0(VALU_DEP_4) | instskip(NEXT) | instid1(VALU_DEP_3)
	v_lshrrev_b32_e32 v8, s28, v8
	v_mad_u32 v2, v6, s37, v2
	v_mad_u32 v0, v6, s36, v0
	s_delay_alu instid0(VALU_DEP_4) | instskip(NEXT) | instid1(VALU_DEP_4)
	v_sub_nc_u32_e32 v1, v1, v9
	v_mul_hi_u32 v10, s30, v8
	v_mul_lo_u32 v9, v8, s26
	s_delay_alu instid0(VALU_DEP_3) | instskip(SKIP_1) | instid1(VALU_DEP_3)
	v_mad_u32 v2, v1, s39, v2
	v_mad_u32 v0, v1, s38, v0
	v_dual_add_nc_u32 v6, v8, v10 :: v_dual_sub_nc_u32 v1, v7, v9
	s_delay_alu instid0(VALU_DEP_1) | instskip(NEXT) | instid1(VALU_DEP_2)
	v_lshrrev_b32_e32 v6, s31, v6
	v_mad_u32 v2, v1, s41, v2
	s_delay_alu instid0(VALU_DEP_4) | instskip(NEXT) | instid1(VALU_DEP_3)
	v_mad_u32 v0, v1, s40, v0
	v_mul_lo_u32 v7, v6, s29
	s_delay_alu instid0(VALU_DEP_1) | instskip(NEXT) | instid1(VALU_DEP_1)
	v_sub_nc_u32_e32 v1, v8, v7
	v_mad_u32 v2, v1, s43, v2
	s_delay_alu instid0(VALU_DEP_4)
	v_mad_u32 v0, v1, s42, v0
	s_cbranch_scc1 .LBB7_1098
; %bb.1099:
	s_delay_alu instid0(VALU_DEP_2)
	v_mov_b32_e32 v1, v2
	s_and_b32 s6, s1, 3
	s_mov_b32 s1, 0
	s_cmp_eq_u32 s6, 0
	s_cbranch_scc0 .LBB7_1103
	s_branch .LBB7_1106
.LBB7_1100:
	s_mov_b32 s8, -1
                                        ; implicit-def: $vgpr2
                                        ; implicit-def: $vgpr0
	s_branch .LBB7_1106
.LBB7_1101:
	v_dual_mov_b32 v2, 0 :: v_dual_mov_b32 v0, 0
	s_branch .LBB7_1106
.LBB7_1102:
	v_mov_b64_e32 v[0:1], 0
	s_wait_loadcnt 0x0
	v_mov_b32_e32 v6, v4
                                        ; implicit-def: $vgpr2
	s_and_b32 s6, s1, 3
	s_mov_b32 s1, 0
	s_cmp_eq_u32 s6, 0
	s_cbranch_scc1 .LBB7_1106
.LBB7_1103:
	s_lshl_b32 s4, s0, 3
	s_mov_b32 s5, s1
	s_mul_u64 s[14:15], s[0:1], 12
	s_add_nc_u64 s[4:5], s[2:3], s[4:5]
	s_delay_alu instid0(SALU_CYCLE_1)
	s_add_nc_u64 s[0:1], s[4:5], 0xc4
	s_add_nc_u64 s[4:5], s[2:3], s[14:15]
.LBB7_1104:                             ; =>This Inner Loop Header: Depth=1
	s_load_b96 s[16:18], s[4:5], 0x4
	s_load_b64 s[14:15], s[0:1], 0x0
	s_add_co_i32 s6, s6, -1
	s_wait_xcnt 0x0
	s_add_nc_u64 s[4:5], s[4:5], 12
	s_cmp_lg_u32 s6, 0
	s_add_nc_u64 s[0:1], s[0:1], 8
	s_wait_kmcnt 0x0
	v_mul_hi_u32 v2, s17, v6
	s_delay_alu instid0(VALU_DEP_1) | instskip(NEXT) | instid1(VALU_DEP_1)
	v_add_nc_u32_e32 v2, v6, v2
	v_lshrrev_b32_e32 v2, s18, v2
	s_delay_alu instid0(VALU_DEP_1) | instskip(NEXT) | instid1(VALU_DEP_1)
	v_mul_lo_u32 v7, v2, s16
	v_sub_nc_u32_e32 v6, v6, v7
	s_delay_alu instid0(VALU_DEP_1)
	v_mad_u32 v1, v6, s15, v1
	v_mad_u32 v0, v6, s14, v0
	v_mov_b32_e32 v6, v2
	s_cbranch_scc1 .LBB7_1104
; %bb.1105:
	s_delay_alu instid0(VALU_DEP_3)
	v_mov_b32_e32 v2, v1
.LBB7_1106:
	s_and_not1_b32 vcc_lo, exec_lo, s8
	s_cbranch_vccnz .LBB7_1109
; %bb.1107:
	s_clause 0x1
	s_load_b96 s[4:6], s[2:3], 0x4
	s_load_b64 s[0:1], s[2:3], 0xc4
	s_cmp_lt_u32 s19, 2
	s_wait_kmcnt 0x0
	v_mul_hi_u32 v0, s5, v4
	s_delay_alu instid0(VALU_DEP_1) | instskip(NEXT) | instid1(VALU_DEP_1)
	v_add_nc_u32_e32 v0, v4, v0
	v_lshrrev_b32_e32 v1, s6, v0
	s_delay_alu instid0(VALU_DEP_1) | instskip(NEXT) | instid1(VALU_DEP_1)
	v_mul_lo_u32 v0, v1, s4
	v_sub_nc_u32_e32 v0, v4, v0
	s_delay_alu instid0(VALU_DEP_1)
	v_mul_lo_u32 v2, v0, s1
	v_mul_lo_u32 v0, v0, s0
	s_cbranch_scc1 .LBB7_1109
; %bb.1108:
	s_clause 0x1
	s_load_b96 s[4:6], s[2:3], 0x10
	s_load_b64 s[0:1], s[2:3], 0xcc
	s_wait_loadcnt 0x0
	s_wait_kmcnt 0x0
	v_mul_hi_u32 v6, s5, v1
	s_delay_alu instid0(VALU_DEP_1) | instskip(NEXT) | instid1(VALU_DEP_1)
	v_add_nc_u32_e32 v6, v1, v6
	v_lshrrev_b32_e32 v6, s6, v6
	s_delay_alu instid0(VALU_DEP_1) | instskip(NEXT) | instid1(VALU_DEP_1)
	v_mul_lo_u32 v6, v6, s4
	v_sub_nc_u32_e32 v1, v1, v6
	s_delay_alu instid0(VALU_DEP_1)
	v_mad_u32 v0, v1, s0, v0
	v_mad_u32 v2, v1, s1, v2
.LBB7_1109:
	v_cmp_ne_u32_e32 vcc_lo, 1, v5
	v_add_nc_u32_e32 v1, 0x80, v4
	s_cbranch_vccnz .LBB7_1115
; %bb.1110:
	s_cmp_lg_u32 s19, 0
	s_mov_b32 s8, 0
	s_cbranch_scc0 .LBB7_1116
; %bb.1111:
	s_min_u32 s1, s33, 15
	s_delay_alu instid0(SALU_CYCLE_1)
	s_add_co_i32 s1, s1, 1
	s_cmp_eq_u32 s33, 2
	s_cbranch_scc1 .LBB7_1117
; %bb.1112:
	s_wait_loadcnt 0x0
	v_dual_mov_b32 v8, 0 :: v_dual_mov_b32 v14, 0
	v_mov_b32_e32 v6, v1
	s_and_b32 s0, s1, 28
	s_add_nc_u64 s[4:5], s[2:3], 0xc4
	s_mov_b32 s9, 0
	s_mov_b64 s[6:7], s[2:3]
.LBB7_1113:                             ; =>This Inner Loop Header: Depth=1
	s_clause 0x1
	s_load_b256 s[20:27], s[6:7], 0x4
	s_load_b128 s[28:31], s[6:7], 0x24
	s_load_b256 s[36:43], s[4:5], 0x0
	s_add_co_i32 s9, s9, 4
	s_wait_xcnt 0x0
	s_add_nc_u64 s[6:7], s[6:7], 48
	s_cmp_lg_u32 s0, s9
	s_add_nc_u64 s[4:5], s[4:5], 32
	s_wait_kmcnt 0x0
	v_mul_hi_u32 v7, s21, v6
	s_delay_alu instid0(VALU_DEP_1) | instskip(NEXT) | instid1(VALU_DEP_1)
	v_add_nc_u32_e32 v7, v6, v7
	v_lshrrev_b32_e32 v7, s22, v7
	s_delay_alu instid0(VALU_DEP_1) | instskip(NEXT) | instid1(VALU_DEP_1)
	v_mul_hi_u32 v9, s24, v7
	v_add_nc_u32_e32 v9, v7, v9
	s_delay_alu instid0(VALU_DEP_1) | instskip(NEXT) | instid1(VALU_DEP_1)
	v_lshrrev_b32_e32 v9, s25, v9
	v_mul_hi_u32 v10, s27, v9
	s_delay_alu instid0(VALU_DEP_1) | instskip(SKIP_1) | instid1(VALU_DEP_1)
	v_add_nc_u32_e32 v10, v9, v10
	v_mul_lo_u32 v11, v7, s20
	v_sub_nc_u32_e32 v6, v6, v11
	v_mul_lo_u32 v11, v9, s23
	s_delay_alu instid0(VALU_DEP_4) | instskip(NEXT) | instid1(VALU_DEP_3)
	v_lshrrev_b32_e32 v10, s28, v10
	v_mad_u32 v13, v6, s37, v14
	v_mad_u32 v6, v6, s36, v8
	s_delay_alu instid0(VALU_DEP_4) | instskip(NEXT) | instid1(VALU_DEP_4)
	v_sub_nc_u32_e32 v7, v7, v11
	v_mul_hi_u32 v12, s30, v10
	v_mul_lo_u32 v8, v10, s26
	s_delay_alu instid0(VALU_DEP_2) | instskip(NEXT) | instid1(VALU_DEP_4)
	v_add_nc_u32_e32 v11, v10, v12
	v_mad_u32 v12, v7, s39, v13
	v_mad_u32 v7, v7, s38, v6
	s_delay_alu instid0(VALU_DEP_3) | instskip(NEXT) | instid1(VALU_DEP_1)
	v_dual_sub_nc_u32 v8, v9, v8 :: v_dual_lshrrev_b32 v6, s31, v11
	v_mul_lo_u32 v9, v6, s29
	s_delay_alu instid0(VALU_DEP_2) | instskip(NEXT) | instid1(VALU_DEP_4)
	v_mad_u32 v11, v8, s41, v12
	v_mad_u32 v7, v8, s40, v7
	s_delay_alu instid0(VALU_DEP_3) | instskip(NEXT) | instid1(VALU_DEP_1)
	v_sub_nc_u32_e32 v8, v10, v9
	v_mad_u32 v14, v8, s43, v11
	s_delay_alu instid0(VALU_DEP_3)
	v_mad_u32 v8, v8, s42, v7
	s_cbranch_scc1 .LBB7_1113
; %bb.1114:
	s_delay_alu instid0(VALU_DEP_2)
	v_mov_b32_e32 v9, v14
	s_and_b32 s6, s1, 3
	s_mov_b32 s1, 0
	s_cmp_eq_u32 s6, 0
	s_cbranch_scc0 .LBB7_1118
	s_branch .LBB7_1121
.LBB7_1115:
	s_mov_b32 s8, -1
                                        ; implicit-def: $vgpr14
                                        ; implicit-def: $vgpr8
	s_branch .LBB7_1121
.LBB7_1116:
	s_wait_loadcnt 0x0
	v_dual_mov_b32 v14, 0 :: v_dual_mov_b32 v8, 0
	s_branch .LBB7_1121
.LBB7_1117:
	s_wait_loadcnt 0x0
	v_mov_b64_e32 v[8:9], 0
	v_mov_b32_e32 v6, v1
	s_mov_b32 s0, 0
                                        ; implicit-def: $vgpr14
	s_and_b32 s6, s1, 3
	s_mov_b32 s1, 0
	s_cmp_eq_u32 s6, 0
	s_cbranch_scc1 .LBB7_1121
.LBB7_1118:
	s_lshl_b32 s4, s0, 3
	s_mov_b32 s5, s1
	s_mul_u64 s[14:15], s[0:1], 12
	s_add_nc_u64 s[4:5], s[2:3], s[4:5]
	s_delay_alu instid0(SALU_CYCLE_1)
	s_add_nc_u64 s[0:1], s[4:5], 0xc4
	s_add_nc_u64 s[4:5], s[2:3], s[14:15]
.LBB7_1119:                             ; =>This Inner Loop Header: Depth=1
	s_load_b96 s[16:18], s[4:5], 0x4
	s_load_b64 s[14:15], s[0:1], 0x0
	s_add_co_i32 s6, s6, -1
	s_wait_xcnt 0x0
	s_add_nc_u64 s[4:5], s[4:5], 12
	s_cmp_lg_u32 s6, 0
	s_add_nc_u64 s[0:1], s[0:1], 8
	s_wait_kmcnt 0x0
	v_mul_hi_u32 v7, s17, v6
	s_delay_alu instid0(VALU_DEP_1) | instskip(NEXT) | instid1(VALU_DEP_1)
	v_add_nc_u32_e32 v7, v6, v7
	v_lshrrev_b32_e32 v7, s18, v7
	s_delay_alu instid0(VALU_DEP_1) | instskip(NEXT) | instid1(VALU_DEP_1)
	v_mul_lo_u32 v10, v7, s16
	v_sub_nc_u32_e32 v6, v6, v10
	s_delay_alu instid0(VALU_DEP_1)
	v_mad_u32 v9, v6, s15, v9
	v_mad_u32 v8, v6, s14, v8
	v_mov_b32_e32 v6, v7
	s_cbranch_scc1 .LBB7_1119
; %bb.1120:
	s_delay_alu instid0(VALU_DEP_3)
	v_mov_b32_e32 v14, v9
.LBB7_1121:
	s_and_not1_b32 vcc_lo, exec_lo, s8
	s_cbranch_vccnz .LBB7_1124
; %bb.1122:
	s_clause 0x1
	s_load_b96 s[4:6], s[2:3], 0x4
	s_load_b64 s[0:1], s[2:3], 0xc4
	s_cmp_lt_u32 s19, 2
	s_wait_loadcnt 0x0
	s_wait_kmcnt 0x0
	v_mul_hi_u32 v6, s5, v1
	s_delay_alu instid0(VALU_DEP_1) | instskip(NEXT) | instid1(VALU_DEP_1)
	v_add_nc_u32_e32 v6, v1, v6
	v_lshrrev_b32_e32 v6, s6, v6
	s_delay_alu instid0(VALU_DEP_1) | instskip(NEXT) | instid1(VALU_DEP_1)
	v_mul_lo_u32 v7, v6, s4
	v_sub_nc_u32_e32 v1, v1, v7
	s_delay_alu instid0(VALU_DEP_1)
	v_mul_lo_u32 v14, v1, s1
	v_mul_lo_u32 v8, v1, s0
	s_cbranch_scc1 .LBB7_1124
; %bb.1123:
	s_clause 0x1
	s_load_b96 s[4:6], s[2:3], 0x10
	s_load_b64 s[0:1], s[2:3], 0xcc
	s_wait_kmcnt 0x0
	v_mul_hi_u32 v1, s5, v6
	s_delay_alu instid0(VALU_DEP_1) | instskip(NEXT) | instid1(VALU_DEP_1)
	v_add_nc_u32_e32 v1, v6, v1
	v_lshrrev_b32_e32 v1, s6, v1
	s_delay_alu instid0(VALU_DEP_1) | instskip(NEXT) | instid1(VALU_DEP_1)
	v_mul_lo_u32 v1, v1, s4
	v_sub_nc_u32_e32 v1, v6, v1
	s_delay_alu instid0(VALU_DEP_1)
	v_mad_u32 v8, v1, s0, v8
	v_mad_u32 v14, v1, s1, v14
.LBB7_1124:
	v_cmp_ne_u32_e32 vcc_lo, 1, v5
	v_add_nc_u32_e32 v1, 0x100, v4
	s_cbranch_vccnz .LBB7_1130
; %bb.1125:
	s_cmp_lg_u32 s19, 0
	s_mov_b32 s8, 0
	s_cbranch_scc0 .LBB7_1131
; %bb.1126:
	s_min_u32 s1, s33, 15
	s_delay_alu instid0(SALU_CYCLE_1)
	s_add_co_i32 s1, s1, 1
	s_cmp_eq_u32 s33, 2
	s_cbranch_scc1 .LBB7_1132
; %bb.1127:
	s_wait_loadcnt 0x0
	v_dual_mov_b32 v6, 0 :: v_dual_mov_b32 v12, 0
	v_mov_b32_e32 v4, v1
	s_and_b32 s0, s1, 28
	s_add_nc_u64 s[4:5], s[2:3], 0xc4
	s_mov_b32 s9, 0
	s_mov_b64 s[6:7], s[2:3]
.LBB7_1128:                             ; =>This Inner Loop Header: Depth=1
	s_clause 0x1
	s_load_b256 s[20:27], s[6:7], 0x4
	s_load_b128 s[28:31], s[6:7], 0x24
	s_load_b256 s[36:43], s[4:5], 0x0
	s_add_co_i32 s9, s9, 4
	s_wait_xcnt 0x0
	s_add_nc_u64 s[6:7], s[6:7], 48
	s_cmp_lg_u32 s0, s9
	s_add_nc_u64 s[4:5], s[4:5], 32
	s_wait_kmcnt 0x0
	v_mul_hi_u32 v7, s21, v4
	s_delay_alu instid0(VALU_DEP_1) | instskip(NEXT) | instid1(VALU_DEP_1)
	v_add_nc_u32_e32 v7, v4, v7
	v_lshrrev_b32_e32 v7, s22, v7
	s_delay_alu instid0(VALU_DEP_1) | instskip(NEXT) | instid1(VALU_DEP_1)
	v_mul_hi_u32 v9, s24, v7
	v_add_nc_u32_e32 v9, v7, v9
	s_delay_alu instid0(VALU_DEP_1) | instskip(NEXT) | instid1(VALU_DEP_1)
	v_lshrrev_b32_e32 v9, s25, v9
	v_mul_hi_u32 v10, s27, v9
	s_delay_alu instid0(VALU_DEP_1) | instskip(SKIP_1) | instid1(VALU_DEP_1)
	v_add_nc_u32_e32 v10, v9, v10
	v_mul_lo_u32 v11, v7, s20
	v_sub_nc_u32_e32 v4, v4, v11
	v_mul_lo_u32 v11, v9, s23
	s_delay_alu instid0(VALU_DEP_4) | instskip(NEXT) | instid1(VALU_DEP_3)
	v_lshrrev_b32_e32 v10, s28, v10
	v_mad_u32 v12, v4, s37, v12
	v_mad_u32 v4, v4, s36, v6
	s_delay_alu instid0(VALU_DEP_4) | instskip(NEXT) | instid1(VALU_DEP_4)
	v_sub_nc_u32_e32 v6, v7, v11
	v_mul_hi_u32 v13, s30, v10
	v_mul_lo_u32 v7, v10, s26
	s_delay_alu instid0(VALU_DEP_3) | instskip(SKIP_1) | instid1(VALU_DEP_3)
	v_mad_u32 v12, v6, s39, v12
	v_mad_u32 v6, v6, s38, v4
	v_dual_add_nc_u32 v11, v10, v13 :: v_dual_sub_nc_u32 v7, v9, v7
	s_delay_alu instid0(VALU_DEP_1) | instskip(NEXT) | instid1(VALU_DEP_2)
	v_lshrrev_b32_e32 v4, s31, v11
	v_mad_u32 v11, v7, s41, v12
	s_delay_alu instid0(VALU_DEP_4) | instskip(NEXT) | instid1(VALU_DEP_3)
	v_mad_u32 v6, v7, s40, v6
	v_mul_lo_u32 v9, v4, s29
	s_delay_alu instid0(VALU_DEP_1) | instskip(NEXT) | instid1(VALU_DEP_1)
	v_sub_nc_u32_e32 v7, v10, v9
	v_mad_u32 v12, v7, s43, v11
	s_delay_alu instid0(VALU_DEP_4)
	v_mad_u32 v6, v7, s42, v6
	s_cbranch_scc1 .LBB7_1128
; %bb.1129:
	s_delay_alu instid0(VALU_DEP_2)
	v_mov_b32_e32 v7, v12
	s_and_b32 s6, s1, 3
	s_mov_b32 s1, 0
	s_cmp_eq_u32 s6, 0
	s_cbranch_scc0 .LBB7_1133
	s_branch .LBB7_1136
.LBB7_1130:
	s_mov_b32 s8, -1
                                        ; implicit-def: $vgpr12
                                        ; implicit-def: $vgpr6
	s_branch .LBB7_1136
.LBB7_1131:
	s_wait_loadcnt 0x0
	v_dual_mov_b32 v12, 0 :: v_dual_mov_b32 v6, 0
	s_branch .LBB7_1136
.LBB7_1132:
	s_wait_loadcnt 0x0
	v_mov_b64_e32 v[6:7], 0
	v_mov_b32_e32 v4, v1
	s_mov_b32 s0, 0
                                        ; implicit-def: $vgpr12
	s_and_b32 s6, s1, 3
	s_mov_b32 s1, 0
	s_cmp_eq_u32 s6, 0
	s_cbranch_scc1 .LBB7_1136
.LBB7_1133:
	s_lshl_b32 s4, s0, 3
	s_mov_b32 s5, s1
	s_mul_u64 s[14:15], s[0:1], 12
	s_add_nc_u64 s[4:5], s[2:3], s[4:5]
	s_delay_alu instid0(SALU_CYCLE_1)
	s_add_nc_u64 s[0:1], s[4:5], 0xc4
	s_add_nc_u64 s[4:5], s[2:3], s[14:15]
.LBB7_1134:                             ; =>This Inner Loop Header: Depth=1
	s_load_b96 s[16:18], s[4:5], 0x4
	s_load_b64 s[14:15], s[0:1], 0x0
	s_add_co_i32 s6, s6, -1
	s_wait_xcnt 0x0
	s_add_nc_u64 s[4:5], s[4:5], 12
	s_cmp_lg_u32 s6, 0
	s_add_nc_u64 s[0:1], s[0:1], 8
	s_wait_kmcnt 0x0
	v_mul_hi_u32 v9, s17, v4
	s_delay_alu instid0(VALU_DEP_1) | instskip(NEXT) | instid1(VALU_DEP_1)
	v_add_nc_u32_e32 v9, v4, v9
	v_lshrrev_b32_e32 v9, s18, v9
	s_delay_alu instid0(VALU_DEP_1) | instskip(NEXT) | instid1(VALU_DEP_1)
	v_mul_lo_u32 v10, v9, s16
	v_sub_nc_u32_e32 v4, v4, v10
	s_delay_alu instid0(VALU_DEP_1)
	v_mad_u32 v7, v4, s15, v7
	v_mad_u32 v6, v4, s14, v6
	v_mov_b32_e32 v4, v9
	s_cbranch_scc1 .LBB7_1134
; %bb.1135:
	s_delay_alu instid0(VALU_DEP_3)
	v_mov_b32_e32 v12, v7
.LBB7_1136:
	s_and_not1_b32 vcc_lo, exec_lo, s8
	s_cbranch_vccnz .LBB7_1139
; %bb.1137:
	s_clause 0x1
	s_load_b96 s[4:6], s[2:3], 0x4
	s_load_b64 s[0:1], s[2:3], 0xc4
	s_cmp_lt_u32 s19, 2
	s_wait_kmcnt 0x0
	v_mul_hi_u32 v4, s5, v1
	s_delay_alu instid0(VALU_DEP_1) | instskip(NEXT) | instid1(VALU_DEP_1)
	v_add_nc_u32_e32 v4, v1, v4
	v_lshrrev_b32_e32 v4, s6, v4
	s_wait_loadcnt 0x0
	s_delay_alu instid0(VALU_DEP_1) | instskip(NEXT) | instid1(VALU_DEP_1)
	v_mul_lo_u32 v6, v4, s4
	v_sub_nc_u32_e32 v1, v1, v6
	s_delay_alu instid0(VALU_DEP_1)
	v_mul_lo_u32 v12, v1, s1
	v_mul_lo_u32 v6, v1, s0
	s_cbranch_scc1 .LBB7_1139
; %bb.1138:
	s_clause 0x1
	s_load_b96 s[4:6], s[2:3], 0x10
	s_load_b64 s[0:1], s[2:3], 0xcc
	s_wait_kmcnt 0x0
	v_mul_hi_u32 v1, s5, v4
	s_delay_alu instid0(VALU_DEP_1) | instskip(NEXT) | instid1(VALU_DEP_1)
	v_add_nc_u32_e32 v1, v4, v1
	v_lshrrev_b32_e32 v1, s6, v1
	s_delay_alu instid0(VALU_DEP_1) | instskip(NEXT) | instid1(VALU_DEP_1)
	v_mul_lo_u32 v1, v1, s4
	v_sub_nc_u32_e32 v1, v4, v1
	s_delay_alu instid0(VALU_DEP_1)
	v_mad_u32 v6, v1, s0, v6
	v_mad_u32 v12, v1, s1, v12
.LBB7_1139:
	v_cmp_ne_u32_e32 vcc_lo, 1, v5
	s_cbranch_vccnz .LBB7_1145
; %bb.1140:
	s_cmp_lg_u32 s19, 0
	s_mov_b32 s8, 0
	s_cbranch_scc0 .LBB7_1146
; %bb.1141:
	s_min_u32 s1, s33, 15
	s_delay_alu instid0(SALU_CYCLE_1)
	s_add_co_i32 s1, s1, 1
	s_cmp_eq_u32 s33, 2
	s_cbranch_scc1 .LBB7_1147
; %bb.1142:
	v_dual_mov_b32 v4, 0 :: v_dual_mov_b32 v10, 0
	v_mov_b32_e32 v1, v3
	s_and_b32 s0, s1, 28
	s_add_nc_u64 s[4:5], s[2:3], 0xc4
	s_mov_b32 s9, 0
	s_mov_b64 s[6:7], s[2:3]
.LBB7_1143:                             ; =>This Inner Loop Header: Depth=1
	s_clause 0x1
	s_load_b256 s[20:27], s[6:7], 0x4
	s_load_b128 s[28:31], s[6:7], 0x24
	s_load_b256 s[36:43], s[4:5], 0x0
	s_add_co_i32 s9, s9, 4
	s_wait_xcnt 0x0
	s_add_nc_u64 s[6:7], s[6:7], 48
	s_cmp_lg_u32 s0, s9
	s_add_nc_u64 s[4:5], s[4:5], 32
	s_wait_kmcnt 0x0
	v_mul_hi_u32 v5, s21, v1
	s_delay_alu instid0(VALU_DEP_1) | instskip(NEXT) | instid1(VALU_DEP_1)
	v_add_nc_u32_e32 v5, v1, v5
	v_lshrrev_b32_e32 v5, s22, v5
	s_delay_alu instid0(VALU_DEP_1) | instskip(NEXT) | instid1(VALU_DEP_1)
	v_mul_lo_u32 v11, v5, s20
	v_sub_nc_u32_e32 v1, v1, v11
	s_wait_loadcnt 0x0
	v_mul_hi_u32 v7, s24, v5
	s_delay_alu instid0(VALU_DEP_2) | instskip(SKIP_1) | instid1(VALU_DEP_3)
	v_mad_u32 v10, v1, s37, v10
	v_mad_u32 v1, v1, s36, v4
	v_add_nc_u32_e32 v7, v5, v7
	s_delay_alu instid0(VALU_DEP_1) | instskip(NEXT) | instid1(VALU_DEP_1)
	v_lshrrev_b32_e32 v7, s25, v7
	v_mul_hi_u32 v9, s27, v7
	v_mul_lo_u32 v11, v7, s23
	s_delay_alu instid0(VALU_DEP_1) | instskip(NEXT) | instid1(VALU_DEP_1)
	v_dual_add_nc_u32 v9, v7, v9 :: v_dual_sub_nc_u32 v4, v5, v11
	v_lshrrev_b32_e32 v9, s28, v9
	s_delay_alu instid0(VALU_DEP_2) | instskip(SKIP_1) | instid1(VALU_DEP_3)
	v_mad_u32 v10, v4, s39, v10
	v_mad_u32 v4, v4, s38, v1
	v_mul_hi_u32 v13, s30, v9
	v_mul_lo_u32 v5, v9, s26
	s_delay_alu instid0(VALU_DEP_2) | instskip(NEXT) | instid1(VALU_DEP_1)
	v_add_nc_u32_e32 v11, v9, v13
	v_dual_sub_nc_u32 v5, v7, v5 :: v_dual_lshrrev_b32 v1, s31, v11
	s_delay_alu instid0(VALU_DEP_1) | instskip(SKIP_1) | instid1(VALU_DEP_3)
	v_mad_u32 v10, v5, s41, v10
	v_mad_u32 v4, v5, s40, v4
	v_mul_lo_u32 v7, v1, s29
	s_delay_alu instid0(VALU_DEP_1) | instskip(NEXT) | instid1(VALU_DEP_1)
	v_sub_nc_u32_e32 v5, v9, v7
	v_mad_u32 v10, v5, s43, v10
	s_delay_alu instid0(VALU_DEP_4)
	v_mad_u32 v4, v5, s42, v4
	s_cbranch_scc1 .LBB7_1143
; %bb.1144:
	s_delay_alu instid0(VALU_DEP_2)
	v_mov_b32_e32 v5, v10
	s_and_b32 s6, s1, 3
	s_mov_b32 s1, 0
	s_cmp_eq_u32 s6, 0
	s_cbranch_scc0 .LBB7_1148
	s_branch .LBB7_1151
.LBB7_1145:
	s_mov_b32 s8, -1
                                        ; implicit-def: $vgpr10
                                        ; implicit-def: $vgpr4
	s_branch .LBB7_1151
.LBB7_1146:
	v_dual_mov_b32 v10, 0 :: v_dual_mov_b32 v4, 0
	s_branch .LBB7_1151
.LBB7_1147:
	v_mov_b64_e32 v[4:5], 0
	v_mov_b32_e32 v1, v3
	s_mov_b32 s0, 0
                                        ; implicit-def: $vgpr10
	s_and_b32 s6, s1, 3
	s_mov_b32 s1, 0
	s_cmp_eq_u32 s6, 0
	s_cbranch_scc1 .LBB7_1151
.LBB7_1148:
	s_lshl_b32 s4, s0, 3
	s_mov_b32 s5, s1
	s_mul_u64 s[14:15], s[0:1], 12
	s_add_nc_u64 s[4:5], s[2:3], s[4:5]
	s_delay_alu instid0(SALU_CYCLE_1)
	s_add_nc_u64 s[0:1], s[4:5], 0xc4
	s_add_nc_u64 s[4:5], s[2:3], s[14:15]
.LBB7_1149:                             ; =>This Inner Loop Header: Depth=1
	s_load_b96 s[16:18], s[4:5], 0x4
	s_load_b64 s[14:15], s[0:1], 0x0
	s_add_co_i32 s6, s6, -1
	s_wait_xcnt 0x0
	s_add_nc_u64 s[4:5], s[4:5], 12
	s_cmp_lg_u32 s6, 0
	s_add_nc_u64 s[0:1], s[0:1], 8
	s_wait_loadcnt 0x0
	s_wait_kmcnt 0x0
	v_mul_hi_u32 v7, s17, v1
	s_delay_alu instid0(VALU_DEP_1) | instskip(NEXT) | instid1(VALU_DEP_1)
	v_add_nc_u32_e32 v7, v1, v7
	v_lshrrev_b32_e32 v7, s18, v7
	s_delay_alu instid0(VALU_DEP_1) | instskip(NEXT) | instid1(VALU_DEP_1)
	v_mul_lo_u32 v9, v7, s16
	v_sub_nc_u32_e32 v1, v1, v9
	s_delay_alu instid0(VALU_DEP_1)
	v_mad_u32 v5, v1, s15, v5
	v_mad_u32 v4, v1, s14, v4
	v_mov_b32_e32 v1, v7
	s_cbranch_scc1 .LBB7_1149
; %bb.1150:
	s_delay_alu instid0(VALU_DEP_3)
	v_mov_b32_e32 v10, v5
.LBB7_1151:
	s_and_not1_b32 vcc_lo, exec_lo, s8
	s_cbranch_vccnz .LBB7_1154
; %bb.1152:
	s_clause 0x1
	s_load_b96 s[4:6], s[2:3], 0x4
	s_load_b64 s[0:1], s[2:3], 0xc4
	s_cmp_lt_u32 s19, 2
	s_wait_kmcnt 0x0
	v_mul_hi_u32 v1, s5, v3
	s_delay_alu instid0(VALU_DEP_1) | instskip(NEXT) | instid1(VALU_DEP_1)
	v_add_nc_u32_e32 v1, v3, v1
	v_lshrrev_b32_e32 v1, s6, v1
	s_delay_alu instid0(VALU_DEP_1) | instskip(NEXT) | instid1(VALU_DEP_1)
	v_mul_lo_u32 v4, v1, s4
	v_sub_nc_u32_e32 v3, v3, v4
	s_delay_alu instid0(VALU_DEP_1)
	v_mul_lo_u32 v10, v3, s1
	v_mul_lo_u32 v4, v3, s0
	s_cbranch_scc1 .LBB7_1154
; %bb.1153:
	s_clause 0x1
	s_load_b96 s[4:6], s[2:3], 0x10
	s_load_b64 s[0:1], s[2:3], 0xcc
	s_wait_kmcnt 0x0
	v_mul_hi_u32 v3, s5, v1
	s_delay_alu instid0(VALU_DEP_1) | instskip(NEXT) | instid1(VALU_DEP_1)
	v_add_nc_u32_e32 v3, v1, v3
	v_lshrrev_b32_e32 v3, s6, v3
	s_delay_alu instid0(VALU_DEP_1) | instskip(NEXT) | instid1(VALU_DEP_1)
	v_mul_lo_u32 v3, v3, s4
	v_sub_nc_u32_e32 v1, v1, v3
	s_delay_alu instid0(VALU_DEP_1)
	v_mad_u32 v4, v1, s0, v4
	v_mad_u32 v10, v1, s1, v10
.LBB7_1154:
	v_mov_b32_e32 v3, 0
	s_load_b128 s[4:7], s[2:3], 0x148
	global_load_u8 v1, v3, s[2:3] offset:353
	s_wait_kmcnt 0x0
	v_add_nc_u64_e32 v[16:17], s[6:7], v[2:3]
	s_wait_loadcnt 0x0
	v_and_b32_e32 v5, 0xffff, v1
	v_readfirstlane_b32 s0, v1
	s_delay_alu instid0(VALU_DEP_2)
	v_cmp_gt_i32_e32 vcc_lo, 11, v5
	s_cbranch_vccnz .LBB7_1161
; %bb.1155:
	s_and_b32 s1, 0xffff, s0
	s_mov_b32 s9, 0
	s_cmp_gt_i32 s1, 25
	s_cbranch_scc0 .LBB7_1163
; %bb.1156:
	s_cmp_gt_i32 s1, 28
	s_cbranch_scc0 .LBB7_1164
; %bb.1157:
	;; [unrolled: 3-line block ×4, first 2 shown]
	s_cmp_eq_u32 s1, 46
	s_mov_b32 s13, 0
	s_cbranch_scc0 .LBB7_1169
; %bb.1160:
	global_load_b32 v1, v[16:17], off
	s_mov_b32 s8, 0
	s_mov_b32 s10, -1
	s_wait_loadcnt 0x0
	v_lshlrev_b32_e32 v1, 16, v1
	s_wait_xcnt 0x1
	s_delay_alu instid0(VALU_DEP_1)
	v_cvt_f64_f32_e32 v[2:3], v1
	s_branch .LBB7_1171
.LBB7_1161:
	s_mov_b32 s10, 0
	s_mov_b32 s1, s11
                                        ; implicit-def: $vgpr2_vgpr3
	s_cbranch_execnz .LBB7_1234
.LBB7_1162:
	s_and_not1_b32 vcc_lo, exec_lo, s10
	s_cbranch_vccz .LBB7_1279
	s_branch .LBB7_2100
.LBB7_1163:
	s_mov_b32 s10, 0
	s_mov_b32 s8, 0
                                        ; implicit-def: $vgpr2_vgpr3
	s_cbranch_execnz .LBB7_1199
	s_branch .LBB7_1230
.LBB7_1164:
	s_mov_b32 s13, -1
	s_mov_b32 s10, 0
	s_mov_b32 s8, 0
                                        ; implicit-def: $vgpr2_vgpr3
	s_branch .LBB7_1180
.LBB7_1165:
	s_mov_b32 s10, 0
	s_mov_b32 s8, 0
                                        ; implicit-def: $vgpr2_vgpr3
	s_cbranch_execnz .LBB7_1176
	s_branch .LBB7_1179
.LBB7_1166:
	s_mov_b32 s13, -1
	s_mov_b32 s10, 0
	s_mov_b32 s8, 0
	s_branch .LBB7_1170
.LBB7_1167:
	s_and_not1_saveexec_b32 s9, s9
	s_cbranch_execz .LBB7_1003
.LBB7_1168:
	v_add_f32_e64 v3, 0x46000000, |v2|
	s_and_not1_b32 s8, s8, exec_lo
	s_delay_alu instid0(VALU_DEP_1) | instskip(NEXT) | instid1(VALU_DEP_1)
	v_and_b32_e32 v3, 0xff, v3
	v_cmp_ne_u32_e32 vcc_lo, 0, v3
	s_and_b32 s10, vcc_lo, exec_lo
	s_delay_alu instid0(SALU_CYCLE_1)
	s_or_b32 s8, s8, s10
	s_or_b32 exec_lo, exec_lo, s9
	v_mov_b32_e32 v6, 0
	s_and_saveexec_b32 s9, s8
	s_cbranch_execnz .LBB7_1004
	s_branch .LBB7_1005
.LBB7_1169:
	s_mov_b32 s8, -1
	s_mov_b32 s10, 0
.LBB7_1170:
                                        ; implicit-def: $vgpr2_vgpr3
.LBB7_1171:
	s_and_b32 vcc_lo, exec_lo, s13
	s_cbranch_vccz .LBB7_1174
; %bb.1172:
	s_cmp_eq_u32 s1, 44
	s_cbranch_scc0 .LBB7_1175
; %bb.1173:
	global_load_u8 v1, v[16:17], off
	s_mov_b32 s8, 0
	s_mov_b32 s10, -1
	s_wait_loadcnt 0x0
	v_cmp_ne_u32_e32 vcc_lo, 0xff, v1
	v_lshlrev_b32_e32 v2, 23, v1
	s_wait_xcnt 0x1
	s_delay_alu instid0(VALU_DEP_1) | instskip(NEXT) | instid1(VALU_DEP_1)
	v_cvt_f64_f32_e32 v[2:3], v2
	v_cndmask_b32_e32 v2, 0x20000000, v2, vcc_lo
	s_delay_alu instid0(VALU_DEP_2) | instskip(SKIP_1) | instid1(VALU_DEP_2)
	v_cndmask_b32_e32 v3, 0x7ff80000, v3, vcc_lo
	v_cmp_ne_u32_e32 vcc_lo, 0, v1
	v_cndmask_b32_e32 v3, 0x38000000, v3, vcc_lo
	s_delay_alu instid0(VALU_DEP_4)
	v_cndmask_b32_e32 v2, 0, v2, vcc_lo
.LBB7_1174:
	s_branch .LBB7_1179
.LBB7_1175:
	s_mov_b32 s8, -1
                                        ; implicit-def: $vgpr2_vgpr3
	s_branch .LBB7_1179
.LBB7_1176:
	s_cmp_eq_u32 s1, 29
	s_cbranch_scc0 .LBB7_1178
; %bb.1177:
	global_load_b64 v[2:3], v[16:17], off
	s_mov_b32 s8, 0
	s_mov_b32 s10, -1
	s_mov_b32 s13, 0
	s_wait_loadcnt 0x0
	v_cvt_f64_u32_e32 v[18:19], v3
	v_cvt_f64_u32_e32 v[2:3], v2
	s_delay_alu instid0(VALU_DEP_2) | instskip(NEXT) | instid1(VALU_DEP_1)
	v_ldexp_f64 v[18:19], v[18:19], 32
	v_add_f64_e32 v[2:3], v[18:19], v[2:3]
	s_branch .LBB7_1180
.LBB7_1178:
	s_mov_b32 s8, -1
                                        ; implicit-def: $vgpr2_vgpr3
.LBB7_1179:
	s_mov_b32 s13, 0
.LBB7_1180:
	s_delay_alu instid0(SALU_CYCLE_1)
	s_and_b32 vcc_lo, exec_lo, s13
	s_cbranch_vccz .LBB7_1198
; %bb.1181:
	s_cmp_lt_i32 s1, 27
	s_cbranch_scc1 .LBB7_1184
; %bb.1182:
	s_cmp_gt_i32 s1, 27
	s_cbranch_scc0 .LBB7_1185
; %bb.1183:
	global_load_b32 v1, v[16:17], off
	s_mov_b32 s10, 0
	s_wait_loadcnt 0x0
	s_wait_xcnt 0x1
	v_cvt_f64_u32_e32 v[2:3], v1
	s_branch .LBB7_1186
.LBB7_1184:
	s_mov_b32 s10, -1
                                        ; implicit-def: $vgpr2_vgpr3
	s_branch .LBB7_1189
.LBB7_1185:
	s_mov_b32 s10, -1
                                        ; implicit-def: $vgpr2_vgpr3
.LBB7_1186:
	s_delay_alu instid0(SALU_CYCLE_1)
	s_and_not1_b32 vcc_lo, exec_lo, s10
	s_cbranch_vccnz .LBB7_1188
; %bb.1187:
	global_load_u16 v1, v[16:17], off
	s_wait_loadcnt 0x0
	s_wait_xcnt 0x1
	v_cvt_f64_u32_e32 v[2:3], v1
.LBB7_1188:
	s_mov_b32 s10, 0
.LBB7_1189:
	s_delay_alu instid0(SALU_CYCLE_1)
	s_and_not1_b32 vcc_lo, exec_lo, s10
	s_cbranch_vccnz .LBB7_1197
; %bb.1190:
	global_load_u8 v1, v[16:17], off
	s_mov_b32 s10, 0
	s_mov_b32 s13, exec_lo
	s_wait_loadcnt 0x0
	v_cmpx_lt_i16_e32 0x7f, v1
	s_xor_b32 s13, exec_lo, s13
	s_cbranch_execz .LBB7_1210
; %bb.1191:
	s_mov_b32 s10, -1
	s_mov_b32 s14, exec_lo
	v_cmpx_eq_u16_e32 0x80, v1
; %bb.1192:
	s_xor_b32 s10, exec_lo, -1
; %bb.1193:
	s_or_b32 exec_lo, exec_lo, s14
	s_delay_alu instid0(SALU_CYCLE_1)
	s_and_b32 s10, s10, exec_lo
	s_or_saveexec_b32 s13, s13
	v_mov_b64_e32 v[2:3], 0x7ff8000020000000
	s_xor_b32 exec_lo, exec_lo, s13
	s_cbranch_execnz .LBB7_1211
.LBB7_1194:
	s_or_b32 exec_lo, exec_lo, s13
	s_and_saveexec_b32 s13, s10
	s_cbranch_execz .LBB7_1196
.LBB7_1195:
	v_and_b32_e32 v2, 0xffff, v1
	s_delay_alu instid0(VALU_DEP_1) | instskip(SKIP_1) | instid1(VALU_DEP_2)
	v_and_b32_e32 v3, 7, v2
	v_bfe_u32 v9, v2, 3, 4
	v_clz_i32_u32_e32 v5, v3
	s_delay_alu instid0(VALU_DEP_2) | instskip(NEXT) | instid1(VALU_DEP_2)
	v_cmp_eq_u32_e32 vcc_lo, 0, v9
	v_min_u32_e32 v5, 32, v5
	s_delay_alu instid0(VALU_DEP_1) | instskip(NEXT) | instid1(VALU_DEP_1)
	v_subrev_nc_u32_e32 v7, 28, v5
	v_dual_lshlrev_b32 v2, v7, v2 :: v_dual_sub_nc_u32 v5, 29, v5
	s_delay_alu instid0(VALU_DEP_1) | instskip(NEXT) | instid1(VALU_DEP_1)
	v_dual_lshlrev_b32 v1, 24, v1 :: v_dual_bitop2_b32 v2, 7, v2 bitop3:0x40
	v_dual_cndmask_b32 v2, v3, v2 :: v_dual_cndmask_b32 v5, v9, v5
	s_delay_alu instid0(VALU_DEP_2) | instskip(NEXT) | instid1(VALU_DEP_2)
	v_and_b32_e32 v1, 0x80000000, v1
	v_lshlrev_b32_e32 v2, 20, v2
	s_delay_alu instid0(VALU_DEP_3) | instskip(NEXT) | instid1(VALU_DEP_1)
	v_lshl_add_u32 v3, v5, 23, 0x3b800000
	v_or3_b32 v1, v1, v3, v2
	s_delay_alu instid0(VALU_DEP_1)
	v_cvt_f64_f32_e32 v[2:3], v1
.LBB7_1196:
	s_or_b32 exec_lo, exec_lo, s13
.LBB7_1197:
	s_mov_b32 s10, -1
.LBB7_1198:
	s_branch .LBB7_1230
.LBB7_1199:
	s_cmp_gt_i32 s1, 22
	s_cbranch_scc0 .LBB7_1209
; %bb.1200:
	s_cmp_lt_i32 s1, 24
	s_cbranch_scc1 .LBB7_1212
; %bb.1201:
	s_cmp_gt_i32 s1, 24
	s_cbranch_scc0 .LBB7_1213
; %bb.1202:
	global_load_u8 v1, v[16:17], off
	s_mov_b32 s10, exec_lo
	s_wait_loadcnt 0x0
	v_cmpx_lt_i16_e32 0x7f, v1
	s_xor_b32 s10, exec_lo, s10
	s_cbranch_execz .LBB7_1224
; %bb.1203:
	s_mov_b32 s9, -1
	s_mov_b32 s13, exec_lo
	v_cmpx_eq_u16_e32 0x80, v1
; %bb.1204:
	s_xor_b32 s9, exec_lo, -1
; %bb.1205:
	s_or_b32 exec_lo, exec_lo, s13
	s_delay_alu instid0(SALU_CYCLE_1)
	s_and_b32 s9, s9, exec_lo
	s_or_saveexec_b32 s10, s10
	v_mov_b64_e32 v[2:3], 0x7ff8000020000000
	s_xor_b32 exec_lo, exec_lo, s10
	s_cbranch_execnz .LBB7_1225
.LBB7_1206:
	s_or_b32 exec_lo, exec_lo, s10
	s_and_saveexec_b32 s10, s9
	s_cbranch_execz .LBB7_1208
.LBB7_1207:
	v_and_b32_e32 v2, 0xffff, v1
	s_delay_alu instid0(VALU_DEP_1) | instskip(SKIP_1) | instid1(VALU_DEP_2)
	v_and_b32_e32 v3, 3, v2
	v_bfe_u32 v9, v2, 2, 5
	v_clz_i32_u32_e32 v5, v3
	s_delay_alu instid0(VALU_DEP_2) | instskip(NEXT) | instid1(VALU_DEP_2)
	v_cmp_eq_u32_e32 vcc_lo, 0, v9
	v_min_u32_e32 v5, 32, v5
	s_delay_alu instid0(VALU_DEP_1) | instskip(NEXT) | instid1(VALU_DEP_1)
	v_subrev_nc_u32_e32 v7, 29, v5
	v_dual_lshlrev_b32 v2, v7, v2 :: v_dual_sub_nc_u32 v5, 30, v5
	s_delay_alu instid0(VALU_DEP_1) | instskip(NEXT) | instid1(VALU_DEP_1)
	v_dual_lshlrev_b32 v1, 24, v1 :: v_dual_bitop2_b32 v2, 3, v2 bitop3:0x40
	v_dual_cndmask_b32 v2, v3, v2 :: v_dual_cndmask_b32 v5, v9, v5
	s_delay_alu instid0(VALU_DEP_2) | instskip(NEXT) | instid1(VALU_DEP_2)
	v_and_b32_e32 v1, 0x80000000, v1
	v_lshlrev_b32_e32 v2, 21, v2
	s_delay_alu instid0(VALU_DEP_3) | instskip(NEXT) | instid1(VALU_DEP_1)
	v_lshl_add_u32 v3, v5, 23, 0x37800000
	v_or3_b32 v1, v1, v3, v2
	s_delay_alu instid0(VALU_DEP_1)
	v_cvt_f64_f32_e32 v[2:3], v1
.LBB7_1208:
	s_or_b32 exec_lo, exec_lo, s10
	s_mov_b32 s9, 0
	s_branch .LBB7_1214
.LBB7_1209:
                                        ; implicit-def: $vgpr2_vgpr3
	s_mov_b32 s9, 0
	s_branch .LBB7_1220
.LBB7_1210:
	s_or_saveexec_b32 s13, s13
	v_mov_b64_e32 v[2:3], 0x7ff8000020000000
	s_xor_b32 exec_lo, exec_lo, s13
	s_cbranch_execz .LBB7_1194
.LBB7_1211:
	v_cmp_ne_u16_e32 vcc_lo, 0, v1
	v_mov_b64_e32 v[2:3], 0
	s_and_not1_b32 s10, s10, exec_lo
	s_and_b32 s14, vcc_lo, exec_lo
	s_delay_alu instid0(SALU_CYCLE_1)
	s_or_b32 s10, s10, s14
	s_or_b32 exec_lo, exec_lo, s13
	s_and_saveexec_b32 s13, s10
	s_cbranch_execnz .LBB7_1195
	s_branch .LBB7_1196
.LBB7_1212:
	s_mov_b32 s9, -1
                                        ; implicit-def: $vgpr2_vgpr3
	s_branch .LBB7_1217
.LBB7_1213:
	s_mov_b32 s9, -1
                                        ; implicit-def: $vgpr2_vgpr3
.LBB7_1214:
	s_delay_alu instid0(SALU_CYCLE_1)
	s_and_b32 vcc_lo, exec_lo, s9
	s_cbranch_vccz .LBB7_1216
; %bb.1215:
	global_load_u8 v1, v[16:17], off
	s_wait_loadcnt 0x0
	v_lshlrev_b32_e32 v1, 24, v1
	s_delay_alu instid0(VALU_DEP_1) | instskip(SKIP_1) | instid1(VALU_DEP_1)
	v_and_b32_e32 v2, 0x7f000000, v1
	s_wait_xcnt 0x1
	v_clz_i32_u32_e32 v3, v2
	v_cmp_ne_u32_e32 vcc_lo, 0, v2
	v_add_nc_u32_e32 v7, 0x1000000, v2
	s_delay_alu instid0(VALU_DEP_3) | instskip(NEXT) | instid1(VALU_DEP_1)
	v_min_u32_e32 v3, 32, v3
	v_sub_nc_u32_e64 v3, v3, 4 clamp
	s_delay_alu instid0(VALU_DEP_1) | instskip(NEXT) | instid1(VALU_DEP_1)
	v_dual_lshlrev_b32 v5, v3, v2 :: v_dual_lshlrev_b32 v3, 23, v3
	v_lshrrev_b32_e32 v5, 4, v5
	s_delay_alu instid0(VALU_DEP_1) | instskip(SKIP_1) | instid1(VALU_DEP_2)
	v_sub_nc_u32_e32 v3, v5, v3
	v_ashrrev_i32_e32 v5, 8, v7
	v_add_nc_u32_e32 v3, 0x3c000000, v3
	s_delay_alu instid0(VALU_DEP_1) | instskip(NEXT) | instid1(VALU_DEP_1)
	v_and_or_b32 v3, 0x7f800000, v5, v3
	v_cndmask_b32_e32 v2, 0, v3, vcc_lo
	s_delay_alu instid0(VALU_DEP_1) | instskip(NEXT) | instid1(VALU_DEP_1)
	v_and_or_b32 v1, 0x80000000, v1, v2
	v_cvt_f64_f32_e32 v[2:3], v1
.LBB7_1216:
	s_mov_b32 s9, 0
.LBB7_1217:
	s_delay_alu instid0(SALU_CYCLE_1)
	s_and_not1_b32 vcc_lo, exec_lo, s9
	s_cbranch_vccnz .LBB7_1219
; %bb.1218:
	global_load_u8 v1, v[16:17], off
	s_wait_loadcnt 0x0
	v_lshlrev_b32_e32 v2, 25, v1
	v_lshlrev_b16 v1, 8, v1
	s_delay_alu instid0(VALU_DEP_1) | instskip(SKIP_1) | instid1(VALU_DEP_3)
	v_and_or_b32 v5, 0x7f00, v1, 0.5
	s_wait_xcnt 0x1
	v_lshrrev_b32_e32 v3, 4, v2
	v_bfe_i32 v1, v1, 0, 16
	s_delay_alu instid0(VALU_DEP_3) | instskip(NEXT) | instid1(VALU_DEP_3)
	v_add_f32_e32 v5, -0.5, v5
	v_or_b32_e32 v3, 0x70000000, v3
	s_delay_alu instid0(VALU_DEP_1) | instskip(SKIP_1) | instid1(VALU_DEP_2)
	v_mul_f32_e32 v3, 0x7800000, v3
	v_cmp_gt_u32_e32 vcc_lo, 0x8000000, v2
	v_cndmask_b32_e32 v2, v3, v5, vcc_lo
	s_delay_alu instid0(VALU_DEP_1) | instskip(NEXT) | instid1(VALU_DEP_1)
	v_and_or_b32 v1, 0x80000000, v1, v2
	v_cvt_f64_f32_e32 v[2:3], v1
.LBB7_1219:
	s_mov_b32 s10, -1
	s_mov_b32 s9, 0
	s_cbranch_execnz .LBB7_1230
.LBB7_1220:
	s_cmp_gt_i32 s1, 14
	s_cbranch_scc0 .LBB7_1223
; %bb.1221:
	s_cmp_eq_u32 s1, 15
	s_cbranch_scc0 .LBB7_1226
; %bb.1222:
	global_load_u16 v1, v[16:17], off
	s_mov_b32 s8, 0
	s_mov_b32 s10, -1
	s_wait_loadcnt 0x0
	v_lshlrev_b32_e32 v1, 16, v1
	s_wait_xcnt 0x1
	s_delay_alu instid0(VALU_DEP_1)
	v_cvt_f64_f32_e32 v[2:3], v1
	s_branch .LBB7_1228
.LBB7_1223:
	s_mov_b32 s9, -1
	s_branch .LBB7_1227
.LBB7_1224:
	s_or_saveexec_b32 s10, s10
	v_mov_b64_e32 v[2:3], 0x7ff8000020000000
	s_xor_b32 exec_lo, exec_lo, s10
	s_cbranch_execz .LBB7_1206
.LBB7_1225:
	v_cmp_ne_u16_e32 vcc_lo, 0, v1
	v_mov_b64_e32 v[2:3], 0
	s_and_not1_b32 s9, s9, exec_lo
	s_and_b32 s13, vcc_lo, exec_lo
	s_delay_alu instid0(SALU_CYCLE_1)
	s_or_b32 s9, s9, s13
	s_or_b32 exec_lo, exec_lo, s10
	s_and_saveexec_b32 s10, s9
	s_cbranch_execnz .LBB7_1207
	s_branch .LBB7_1208
.LBB7_1226:
	s_mov_b32 s8, -1
.LBB7_1227:
                                        ; implicit-def: $vgpr2_vgpr3
.LBB7_1228:
	s_and_b32 vcc_lo, exec_lo, s9
	s_mov_b32 s9, 0
	s_cbranch_vccz .LBB7_1230
; %bb.1229:
	s_cmp_lg_u32 s1, 11
	s_mov_b32 s9, -1
	s_cselect_b32 s8, -1, 0
.LBB7_1230:
	s_delay_alu instid0(SALU_CYCLE_1)
	s_and_b32 vcc_lo, exec_lo, s8
	s_mov_b32 s1, s11
	s_cbranch_vccnz .LBB7_1291
; %bb.1231:
	s_and_not1_b32 vcc_lo, exec_lo, s9
	s_cbranch_vccnz .LBB7_1233
.LBB7_1232:
	global_load_u8 v1, v[16:17], off
	v_mov_b32_e32 v2, 0
	s_mov_b32 s10, -1
	s_wait_loadcnt 0x0
	v_cmp_ne_u16_e32 vcc_lo, 0, v1
	s_wait_xcnt 0x1
	v_cndmask_b32_e64 v3, 0, 0x3ff00000, vcc_lo
.LBB7_1233:
	s_branch .LBB7_1162
.LBB7_1234:
	s_and_b32 s8, 0xffff, s0
	s_delay_alu instid0(SALU_CYCLE_1)
	s_cmp_lt_i32 s8, 5
	s_cbranch_scc1 .LBB7_1239
; %bb.1235:
	s_cmp_lt_i32 s8, 8
	s_cbranch_scc1 .LBB7_1240
; %bb.1236:
	;; [unrolled: 3-line block ×3, first 2 shown]
	s_cmp_gt_i32 s8, 9
	s_cbranch_scc0 .LBB7_1242
; %bb.1238:
	global_load_b64 v[2:3], v[16:17], off
	s_mov_b32 s9, 0
	s_branch .LBB7_1243
.LBB7_1239:
                                        ; implicit-def: $vgpr2_vgpr3
	s_branch .LBB7_1260
.LBB7_1240:
                                        ; implicit-def: $vgpr2_vgpr3
	s_branch .LBB7_1249
.LBB7_1241:
	s_mov_b32 s9, -1
                                        ; implicit-def: $vgpr2_vgpr3
	s_branch .LBB7_1246
.LBB7_1242:
	s_mov_b32 s9, -1
                                        ; implicit-def: $vgpr2_vgpr3
.LBB7_1243:
	s_delay_alu instid0(SALU_CYCLE_1)
	s_and_not1_b32 vcc_lo, exec_lo, s9
	s_cbranch_vccnz .LBB7_1245
; %bb.1244:
	global_load_b32 v1, v[16:17], off
	s_wait_loadcnt 0x0
	s_wait_xcnt 0x1
	v_cvt_f64_f32_e32 v[2:3], v1
.LBB7_1245:
	s_mov_b32 s9, 0
.LBB7_1246:
	s_delay_alu instid0(SALU_CYCLE_1)
	s_and_not1_b32 vcc_lo, exec_lo, s9
	s_cbranch_vccnz .LBB7_1248
; %bb.1247:
	global_load_b32 v1, v[16:17], off
	s_wait_loadcnt 0x0
	v_cvt_f32_f16_e32 v1, v1
	s_wait_xcnt 0x1
	s_delay_alu instid0(VALU_DEP_1)
	v_cvt_f64_f32_e32 v[2:3], v1
.LBB7_1248:
	s_cbranch_execnz .LBB7_1259
.LBB7_1249:
	s_cmp_lt_i32 s8, 6
	s_cbranch_scc1 .LBB7_1252
; %bb.1250:
	s_cmp_gt_i32 s8, 6
	s_cbranch_scc0 .LBB7_1253
; %bb.1251:
	s_wait_loadcnt 0x0
	global_load_b64 v[2:3], v[16:17], off
	s_mov_b32 s9, 0
	s_branch .LBB7_1254
.LBB7_1252:
	s_mov_b32 s9, -1
                                        ; implicit-def: $vgpr2_vgpr3
	s_branch .LBB7_1257
.LBB7_1253:
	s_mov_b32 s9, -1
                                        ; implicit-def: $vgpr2_vgpr3
.LBB7_1254:
	s_delay_alu instid0(SALU_CYCLE_1)
	s_and_not1_b32 vcc_lo, exec_lo, s9
	s_cbranch_vccnz .LBB7_1256
; %bb.1255:
	global_load_b32 v1, v[16:17], off
	s_wait_loadcnt 0x0
	s_wait_xcnt 0x1
	v_cvt_f64_f32_e32 v[2:3], v1
.LBB7_1256:
	s_mov_b32 s9, 0
.LBB7_1257:
	s_delay_alu instid0(SALU_CYCLE_1)
	s_and_not1_b32 vcc_lo, exec_lo, s9
	s_cbranch_vccnz .LBB7_1259
; %bb.1258:
	global_load_u16 v1, v[16:17], off
	s_wait_loadcnt 0x0
	v_cvt_f32_f16_e32 v1, v1
	s_wait_xcnt 0x1
	s_delay_alu instid0(VALU_DEP_1)
	v_cvt_f64_f32_e32 v[2:3], v1
.LBB7_1259:
	s_cbranch_execnz .LBB7_1278
.LBB7_1260:
	s_cmp_lt_i32 s8, 2
	s_cbranch_scc1 .LBB7_1264
; %bb.1261:
	s_cmp_lt_i32 s8, 3
	s_cbranch_scc1 .LBB7_1265
; %bb.1262:
	s_cmp_gt_i32 s8, 3
	s_cbranch_scc0 .LBB7_1266
; %bb.1263:
	s_wait_loadcnt 0x0
	global_load_b64 v[2:3], v[16:17], off
	s_mov_b32 s9, 0
	s_wait_loadcnt 0x0
	v_cvt_f64_i32_e32 v[18:19], v3
	v_cvt_f64_u32_e32 v[2:3], v2
	s_delay_alu instid0(VALU_DEP_2) | instskip(NEXT) | instid1(VALU_DEP_1)
	v_ldexp_f64 v[18:19], v[18:19], 32
	v_add_f64_e32 v[2:3], v[18:19], v[2:3]
	s_branch .LBB7_1267
.LBB7_1264:
                                        ; implicit-def: $vgpr2_vgpr3
	s_branch .LBB7_1273
.LBB7_1265:
	s_mov_b32 s9, -1
                                        ; implicit-def: $vgpr2_vgpr3
	s_branch .LBB7_1270
.LBB7_1266:
	s_mov_b32 s9, -1
                                        ; implicit-def: $vgpr2_vgpr3
.LBB7_1267:
	s_delay_alu instid0(SALU_CYCLE_1)
	s_and_not1_b32 vcc_lo, exec_lo, s9
	s_cbranch_vccnz .LBB7_1269
; %bb.1268:
	global_load_b32 v1, v[16:17], off
	s_wait_loadcnt 0x0
	s_wait_xcnt 0x1
	v_cvt_f64_i32_e32 v[2:3], v1
.LBB7_1269:
	s_mov_b32 s9, 0
.LBB7_1270:
	s_delay_alu instid0(SALU_CYCLE_1)
	s_and_not1_b32 vcc_lo, exec_lo, s9
	s_cbranch_vccnz .LBB7_1272
; %bb.1271:
	global_load_i16 v1, v[16:17], off
	s_wait_loadcnt 0x0
	s_wait_xcnt 0x1
	v_cvt_f64_i32_e32 v[2:3], v1
.LBB7_1272:
	s_cbranch_execnz .LBB7_1278
.LBB7_1273:
	s_cmp_gt_i32 s8, 0
	s_mov_b32 s8, 0
	s_cbranch_scc0 .LBB7_1275
; %bb.1274:
	global_load_i8 v1, v[16:17], off
	s_wait_loadcnt 0x0
	s_wait_xcnt 0x1
	v_cvt_f64_i32_e32 v[2:3], v1
	s_branch .LBB7_1276
.LBB7_1275:
	s_mov_b32 s8, -1
                                        ; implicit-def: $vgpr2_vgpr3
.LBB7_1276:
	s_delay_alu instid0(SALU_CYCLE_1)
	s_and_not1_b32 vcc_lo, exec_lo, s8
	s_cbranch_vccnz .LBB7_1278
; %bb.1277:
	global_load_u8 v1, v[16:17], off
	s_wait_loadcnt 0x0
	s_wait_xcnt 0x1
	v_cvt_f64_u32_e32 v[2:3], v1
.LBB7_1278:
.LBB7_1279:
	v_mov_b32_e32 v15, 0
	s_and_b32 s0, 0xffff, s0
	s_delay_alu instid0(SALU_CYCLE_1) | instskip(SKIP_1) | instid1(VALU_DEP_1)
	s_cmp_lt_i32 s0, 11
	s_wait_xcnt 0x0
	v_add_nc_u64_e32 v[16:17], s[6:7], v[14:15]
	s_cbranch_scc1 .LBB7_1286
; %bb.1280:
	s_cmp_gt_i32 s0, 25
	s_mov_b32 s9, 0
	s_cbranch_scc0 .LBB7_1288
; %bb.1281:
	s_cmp_gt_i32 s0, 28
	s_cbranch_scc0 .LBB7_1289
; %bb.1282:
	s_cmp_gt_i32 s0, 43
	;; [unrolled: 3-line block ×3, first 2 shown]
	s_cbranch_scc0 .LBB7_1292
; %bb.1284:
	s_cmp_eq_u32 s0, 46
	s_mov_b32 s13, 0
	s_cbranch_scc0 .LBB7_1295
; %bb.1285:
	global_load_b32 v1, v[16:17], off
	s_mov_b32 s8, 0
	s_mov_b32 s10, -1
	s_wait_loadcnt 0x0
	v_lshlrev_b32_e32 v1, 16, v1
	s_delay_alu instid0(VALU_DEP_1)
	v_cvt_f64_f32_e32 v[14:15], v1
	s_branch .LBB7_1297
.LBB7_1286:
	s_mov_b32 s10, 0
                                        ; implicit-def: $vgpr14_vgpr15
	s_cbranch_execnz .LBB7_1362
.LBB7_1287:
	s_and_not1_b32 vcc_lo, exec_lo, s10
	s_cbranch_vccz .LBB7_1409
	s_branch .LBB7_2100
.LBB7_1288:
	s_mov_b32 s10, 0
	s_mov_b32 s8, 0
                                        ; implicit-def: $vgpr14_vgpr15
	s_cbranch_execnz .LBB7_1326
	s_branch .LBB7_1358
.LBB7_1289:
	s_mov_b32 s13, -1
	s_mov_b32 s10, 0
	s_mov_b32 s8, 0
                                        ; implicit-def: $vgpr14_vgpr15
	s_branch .LBB7_1307
.LBB7_1290:
	s_mov_b32 s13, -1
	s_mov_b32 s10, 0
	s_mov_b32 s8, 0
                                        ; implicit-def: $vgpr14_vgpr15
	s_branch .LBB7_1302
.LBB7_1291:
	s_or_b32 s1, s11, exec_lo
	s_trap 2
	s_cbranch_execz .LBB7_1232
	s_branch .LBB7_1233
.LBB7_1292:
	s_mov_b32 s13, -1
	s_mov_b32 s10, 0
	s_mov_b32 s8, 0
	s_branch .LBB7_1296
.LBB7_1293:
	s_and_not1_saveexec_b32 s10, s10
	s_cbranch_execz .LBB7_1015
.LBB7_1294:
	v_add_f32_e64 v3, 0x42800000, |v2|
	s_and_not1_b32 s9, s9, exec_lo
	s_delay_alu instid0(VALU_DEP_1) | instskip(NEXT) | instid1(VALU_DEP_1)
	v_and_b32_e32 v3, 0xff, v3
	v_cmp_ne_u32_e32 vcc_lo, 0, v3
	s_and_b32 s11, vcc_lo, exec_lo
	s_delay_alu instid0(SALU_CYCLE_1)
	s_or_b32 s9, s9, s11
	s_or_b32 exec_lo, exec_lo, s10
	v_mov_b32_e32 v6, 0
	s_and_saveexec_b32 s10, s9
	s_cbranch_execnz .LBB7_1016
	s_branch .LBB7_1017
.LBB7_1295:
	s_mov_b32 s8, -1
	s_mov_b32 s10, 0
.LBB7_1296:
                                        ; implicit-def: $vgpr14_vgpr15
.LBB7_1297:
	s_and_b32 vcc_lo, exec_lo, s13
	s_cbranch_vccz .LBB7_1301
; %bb.1298:
	s_cmp_eq_u32 s0, 44
	s_cbranch_scc0 .LBB7_1300
; %bb.1299:
	global_load_u8 v1, v[16:17], off
	s_mov_b32 s8, 0
	s_mov_b32 s10, -1
	s_wait_loadcnt 0x0
	v_lshlrev_b32_e32 v5, 23, v1
	v_cmp_ne_u32_e32 vcc_lo, 0xff, v1
	s_delay_alu instid0(VALU_DEP_2) | instskip(NEXT) | instid1(VALU_DEP_1)
	v_cvt_f64_f32_e32 v[14:15], v5
	v_cndmask_b32_e32 v5, 0x20000000, v14, vcc_lo
	s_delay_alu instid0(VALU_DEP_2) | instskip(SKIP_1) | instid1(VALU_DEP_2)
	v_cndmask_b32_e32 v7, 0x7ff80000, v15, vcc_lo
	v_cmp_ne_u32_e32 vcc_lo, 0, v1
	v_cndmask_b32_e32 v15, 0x38000000, v7, vcc_lo
	s_delay_alu instid0(VALU_DEP_4)
	v_cndmask_b32_e32 v14, 0, v5, vcc_lo
	s_branch .LBB7_1301
.LBB7_1300:
	s_mov_b32 s8, -1
                                        ; implicit-def: $vgpr14_vgpr15
.LBB7_1301:
	s_mov_b32 s13, 0
.LBB7_1302:
	s_delay_alu instid0(SALU_CYCLE_1)
	s_and_b32 vcc_lo, exec_lo, s13
	s_cbranch_vccz .LBB7_1306
; %bb.1303:
	s_cmp_eq_u32 s0, 29
	s_cbranch_scc0 .LBB7_1305
; %bb.1304:
	global_load_b64 v[14:15], v[16:17], off
	s_mov_b32 s8, 0
	s_mov_b32 s10, -1
	s_mov_b32 s13, 0
	s_wait_loadcnt 0x0
	v_cvt_f64_u32_e32 v[18:19], v15
	v_cvt_f64_u32_e32 v[14:15], v14
	s_delay_alu instid0(VALU_DEP_2) | instskip(NEXT) | instid1(VALU_DEP_1)
	v_ldexp_f64 v[18:19], v[18:19], 32
	v_add_f64_e32 v[14:15], v[18:19], v[14:15]
	s_branch .LBB7_1307
.LBB7_1305:
	s_mov_b32 s8, -1
                                        ; implicit-def: $vgpr14_vgpr15
.LBB7_1306:
	s_mov_b32 s13, 0
.LBB7_1307:
	s_delay_alu instid0(SALU_CYCLE_1)
	s_and_b32 vcc_lo, exec_lo, s13
	s_cbranch_vccz .LBB7_1325
; %bb.1308:
	s_cmp_lt_i32 s0, 27
	s_cbranch_scc1 .LBB7_1311
; %bb.1309:
	s_cmp_gt_i32 s0, 27
	s_cbranch_scc0 .LBB7_1312
; %bb.1310:
	global_load_b32 v1, v[16:17], off
	s_mov_b32 s10, 0
	s_wait_loadcnt 0x0
	v_cvt_f64_u32_e32 v[14:15], v1
	s_branch .LBB7_1313
.LBB7_1311:
	s_mov_b32 s10, -1
                                        ; implicit-def: $vgpr14_vgpr15
	s_branch .LBB7_1316
.LBB7_1312:
	s_mov_b32 s10, -1
                                        ; implicit-def: $vgpr14_vgpr15
.LBB7_1313:
	s_delay_alu instid0(SALU_CYCLE_1)
	s_and_not1_b32 vcc_lo, exec_lo, s10
	s_cbranch_vccnz .LBB7_1315
; %bb.1314:
	global_load_u16 v1, v[16:17], off
	s_wait_loadcnt 0x0
	v_cvt_f64_u32_e32 v[14:15], v1
.LBB7_1315:
	s_mov_b32 s10, 0
.LBB7_1316:
	s_delay_alu instid0(SALU_CYCLE_1)
	s_and_not1_b32 vcc_lo, exec_lo, s10
	s_cbranch_vccnz .LBB7_1324
; %bb.1317:
	global_load_u8 v1, v[16:17], off
	s_mov_b32 s10, 0
	s_mov_b32 s13, exec_lo
	s_wait_loadcnt 0x0
	v_cmpx_lt_i16_e32 0x7f, v1
	s_xor_b32 s13, exec_lo, s13
	s_cbranch_execz .LBB7_1337
; %bb.1318:
	s_mov_b32 s10, -1
	s_mov_b32 s14, exec_lo
	v_cmpx_eq_u16_e32 0x80, v1
; %bb.1319:
	s_xor_b32 s10, exec_lo, -1
; %bb.1320:
	s_or_b32 exec_lo, exec_lo, s14
	s_delay_alu instid0(SALU_CYCLE_1)
	s_and_b32 s10, s10, exec_lo
	s_or_saveexec_b32 s13, s13
	v_mov_b64_e32 v[14:15], 0x7ff8000020000000
	s_xor_b32 exec_lo, exec_lo, s13
	s_cbranch_execnz .LBB7_1338
.LBB7_1321:
	s_or_b32 exec_lo, exec_lo, s13
	s_and_saveexec_b32 s13, s10
	s_cbranch_execz .LBB7_1323
.LBB7_1322:
	v_and_b32_e32 v5, 0xffff, v1
	v_lshlrev_b32_e32 v1, 24, v1
	s_delay_alu instid0(VALU_DEP_2) | instskip(SKIP_1) | instid1(VALU_DEP_3)
	v_and_b32_e32 v7, 7, v5
	v_bfe_u32 v13, v5, 3, 4
	v_and_b32_e32 v1, 0x80000000, v1
	s_delay_alu instid0(VALU_DEP_3) | instskip(NEXT) | instid1(VALU_DEP_3)
	v_clz_i32_u32_e32 v9, v7
	v_cmp_eq_u32_e32 vcc_lo, 0, v13
	s_delay_alu instid0(VALU_DEP_2) | instskip(NEXT) | instid1(VALU_DEP_1)
	v_min_u32_e32 v9, 32, v9
	v_subrev_nc_u32_e32 v11, 28, v9
	v_sub_nc_u32_e32 v9, 29, v9
	s_delay_alu instid0(VALU_DEP_2) | instskip(NEXT) | instid1(VALU_DEP_2)
	v_lshlrev_b32_e32 v5, v11, v5
	v_cndmask_b32_e32 v9, v13, v9, vcc_lo
	s_delay_alu instid0(VALU_DEP_2) | instskip(NEXT) | instid1(VALU_DEP_1)
	v_and_b32_e32 v5, 7, v5
	v_cndmask_b32_e32 v5, v7, v5, vcc_lo
	s_delay_alu instid0(VALU_DEP_3) | instskip(NEXT) | instid1(VALU_DEP_2)
	v_lshl_add_u32 v7, v9, 23, 0x3b800000
	v_lshlrev_b32_e32 v5, 20, v5
	s_delay_alu instid0(VALU_DEP_1) | instskip(NEXT) | instid1(VALU_DEP_1)
	v_or3_b32 v1, v1, v7, v5
	v_cvt_f64_f32_e32 v[14:15], v1
.LBB7_1323:
	s_or_b32 exec_lo, exec_lo, s13
.LBB7_1324:
	s_mov_b32 s10, -1
.LBB7_1325:
	s_branch .LBB7_1358
.LBB7_1326:
	s_cmp_gt_i32 s0, 22
	s_cbranch_scc0 .LBB7_1336
; %bb.1327:
	s_cmp_lt_i32 s0, 24
	s_cbranch_scc1 .LBB7_1339
; %bb.1328:
	s_cmp_gt_i32 s0, 24
	s_cbranch_scc0 .LBB7_1340
; %bb.1329:
	global_load_u8 v1, v[16:17], off
	s_mov_b32 s10, exec_lo
	s_wait_loadcnt 0x0
	v_cmpx_lt_i16_e32 0x7f, v1
	s_xor_b32 s10, exec_lo, s10
	s_cbranch_execz .LBB7_1352
; %bb.1330:
	s_mov_b32 s9, -1
	s_mov_b32 s13, exec_lo
	v_cmpx_eq_u16_e32 0x80, v1
; %bb.1331:
	s_xor_b32 s9, exec_lo, -1
; %bb.1332:
	s_or_b32 exec_lo, exec_lo, s13
	s_delay_alu instid0(SALU_CYCLE_1)
	s_and_b32 s9, s9, exec_lo
	s_or_saveexec_b32 s10, s10
	v_mov_b64_e32 v[14:15], 0x7ff8000020000000
	s_xor_b32 exec_lo, exec_lo, s10
	s_cbranch_execnz .LBB7_1353
.LBB7_1333:
	s_or_b32 exec_lo, exec_lo, s10
	s_and_saveexec_b32 s10, s9
	s_cbranch_execz .LBB7_1335
.LBB7_1334:
	v_and_b32_e32 v5, 0xffff, v1
	v_lshlrev_b32_e32 v1, 24, v1
	s_delay_alu instid0(VALU_DEP_2) | instskip(SKIP_1) | instid1(VALU_DEP_3)
	v_and_b32_e32 v7, 3, v5
	v_bfe_u32 v13, v5, 2, 5
	v_and_b32_e32 v1, 0x80000000, v1
	s_delay_alu instid0(VALU_DEP_3) | instskip(NEXT) | instid1(VALU_DEP_3)
	v_clz_i32_u32_e32 v9, v7
	v_cmp_eq_u32_e32 vcc_lo, 0, v13
	s_delay_alu instid0(VALU_DEP_2) | instskip(NEXT) | instid1(VALU_DEP_1)
	v_min_u32_e32 v9, 32, v9
	v_subrev_nc_u32_e32 v11, 29, v9
	v_sub_nc_u32_e32 v9, 30, v9
	s_delay_alu instid0(VALU_DEP_2) | instskip(NEXT) | instid1(VALU_DEP_2)
	v_lshlrev_b32_e32 v5, v11, v5
	v_cndmask_b32_e32 v9, v13, v9, vcc_lo
	s_delay_alu instid0(VALU_DEP_2) | instskip(NEXT) | instid1(VALU_DEP_1)
	v_and_b32_e32 v5, 3, v5
	v_cndmask_b32_e32 v5, v7, v5, vcc_lo
	s_delay_alu instid0(VALU_DEP_3) | instskip(NEXT) | instid1(VALU_DEP_2)
	v_lshl_add_u32 v7, v9, 23, 0x37800000
	v_lshlrev_b32_e32 v5, 21, v5
	s_delay_alu instid0(VALU_DEP_1) | instskip(NEXT) | instid1(VALU_DEP_1)
	v_or3_b32 v1, v1, v7, v5
	v_cvt_f64_f32_e32 v[14:15], v1
.LBB7_1335:
	s_or_b32 exec_lo, exec_lo, s10
	s_mov_b32 s9, 0
	s_branch .LBB7_1341
.LBB7_1336:
	s_mov_b32 s9, -1
                                        ; implicit-def: $vgpr14_vgpr15
	s_branch .LBB7_1347
.LBB7_1337:
	s_or_saveexec_b32 s13, s13
	v_mov_b64_e32 v[14:15], 0x7ff8000020000000
	s_xor_b32 exec_lo, exec_lo, s13
	s_cbranch_execz .LBB7_1321
.LBB7_1338:
	v_cmp_ne_u16_e32 vcc_lo, 0, v1
	v_mov_b64_e32 v[14:15], 0
	s_and_not1_b32 s10, s10, exec_lo
	s_and_b32 s14, vcc_lo, exec_lo
	s_delay_alu instid0(SALU_CYCLE_1)
	s_or_b32 s10, s10, s14
	s_or_b32 exec_lo, exec_lo, s13
	s_and_saveexec_b32 s13, s10
	s_cbranch_execnz .LBB7_1322
	s_branch .LBB7_1323
.LBB7_1339:
	s_mov_b32 s9, -1
                                        ; implicit-def: $vgpr14_vgpr15
	s_branch .LBB7_1344
.LBB7_1340:
	s_mov_b32 s9, -1
                                        ; implicit-def: $vgpr14_vgpr15
.LBB7_1341:
	s_delay_alu instid0(SALU_CYCLE_1)
	s_and_b32 vcc_lo, exec_lo, s9
	s_cbranch_vccz .LBB7_1343
; %bb.1342:
	global_load_u8 v1, v[16:17], off
	s_wait_loadcnt 0x0
	v_lshlrev_b32_e32 v1, 24, v1
	s_delay_alu instid0(VALU_DEP_1) | instskip(NEXT) | instid1(VALU_DEP_1)
	v_and_b32_e32 v5, 0x7f000000, v1
	v_clz_i32_u32_e32 v7, v5
	v_cmp_ne_u32_e32 vcc_lo, 0, v5
	v_add_nc_u32_e32 v11, 0x1000000, v5
	s_delay_alu instid0(VALU_DEP_3) | instskip(NEXT) | instid1(VALU_DEP_1)
	v_min_u32_e32 v7, 32, v7
	v_sub_nc_u32_e64 v7, v7, 4 clamp
	s_delay_alu instid0(VALU_DEP_1) | instskip(NEXT) | instid1(VALU_DEP_1)
	v_dual_lshlrev_b32 v9, v7, v5 :: v_dual_lshlrev_b32 v7, 23, v7
	v_lshrrev_b32_e32 v9, 4, v9
	s_delay_alu instid0(VALU_DEP_1) | instskip(SKIP_1) | instid1(VALU_DEP_2)
	v_sub_nc_u32_e32 v7, v9, v7
	v_ashrrev_i32_e32 v9, 8, v11
	v_add_nc_u32_e32 v7, 0x3c000000, v7
	s_delay_alu instid0(VALU_DEP_1) | instskip(NEXT) | instid1(VALU_DEP_1)
	v_and_or_b32 v7, 0x7f800000, v9, v7
	v_cndmask_b32_e32 v5, 0, v7, vcc_lo
	s_delay_alu instid0(VALU_DEP_1) | instskip(NEXT) | instid1(VALU_DEP_1)
	v_and_or_b32 v1, 0x80000000, v1, v5
	v_cvt_f64_f32_e32 v[14:15], v1
.LBB7_1343:
	s_mov_b32 s9, 0
.LBB7_1344:
	s_delay_alu instid0(SALU_CYCLE_1)
	s_and_not1_b32 vcc_lo, exec_lo, s9
	s_cbranch_vccnz .LBB7_1346
; %bb.1345:
	global_load_u8 v1, v[16:17], off
	s_wait_loadcnt 0x0
	v_lshlrev_b32_e32 v5, 25, v1
	v_lshlrev_b16 v1, 8, v1
	s_delay_alu instid0(VALU_DEP_2) | instskip(NEXT) | instid1(VALU_DEP_2)
	v_lshrrev_b32_e32 v7, 4, v5
	v_and_or_b32 v9, 0x7f00, v1, 0.5
	v_cmp_gt_u32_e32 vcc_lo, 0x8000000, v5
	v_bfe_i32 v1, v1, 0, 16
	s_delay_alu instid0(VALU_DEP_4) | instskip(NEXT) | instid1(VALU_DEP_4)
	v_or_b32_e32 v7, 0x70000000, v7
	v_add_f32_e32 v9, -0.5, v9
	s_delay_alu instid0(VALU_DEP_2) | instskip(NEXT) | instid1(VALU_DEP_1)
	v_mul_f32_e32 v7, 0x7800000, v7
	v_cndmask_b32_e32 v5, v7, v9, vcc_lo
	s_delay_alu instid0(VALU_DEP_1) | instskip(NEXT) | instid1(VALU_DEP_1)
	v_and_or_b32 v1, 0x80000000, v1, v5
	v_cvt_f64_f32_e32 v[14:15], v1
.LBB7_1346:
	s_mov_b32 s9, 0
	s_mov_b32 s10, -1
.LBB7_1347:
	s_and_not1_b32 vcc_lo, exec_lo, s9
	s_mov_b32 s9, 0
	s_cbranch_vccnz .LBB7_1358
; %bb.1348:
	s_cmp_gt_i32 s0, 14
	s_cbranch_scc0 .LBB7_1351
; %bb.1349:
	s_cmp_eq_u32 s0, 15
	s_cbranch_scc0 .LBB7_1354
; %bb.1350:
	global_load_u16 v1, v[16:17], off
	s_mov_b32 s8, 0
	s_mov_b32 s10, -1
	s_wait_loadcnt 0x0
	v_lshlrev_b32_e32 v1, 16, v1
	s_delay_alu instid0(VALU_DEP_1)
	v_cvt_f64_f32_e32 v[14:15], v1
	s_branch .LBB7_1356
.LBB7_1351:
	s_mov_b32 s9, -1
	s_branch .LBB7_1355
.LBB7_1352:
	s_or_saveexec_b32 s10, s10
	v_mov_b64_e32 v[14:15], 0x7ff8000020000000
	s_xor_b32 exec_lo, exec_lo, s10
	s_cbranch_execz .LBB7_1333
.LBB7_1353:
	v_cmp_ne_u16_e32 vcc_lo, 0, v1
	v_mov_b64_e32 v[14:15], 0
	s_and_not1_b32 s9, s9, exec_lo
	s_and_b32 s13, vcc_lo, exec_lo
	s_delay_alu instid0(SALU_CYCLE_1)
	s_or_b32 s9, s9, s13
	s_or_b32 exec_lo, exec_lo, s10
	s_and_saveexec_b32 s10, s9
	s_cbranch_execnz .LBB7_1334
	s_branch .LBB7_1335
.LBB7_1354:
	s_mov_b32 s8, -1
.LBB7_1355:
                                        ; implicit-def: $vgpr14_vgpr15
.LBB7_1356:
	s_and_b32 vcc_lo, exec_lo, s9
	s_mov_b32 s9, 0
	s_cbranch_vccz .LBB7_1358
; %bb.1357:
	s_cmp_lg_u32 s0, 11
	s_mov_b32 s9, -1
	s_cselect_b32 s8, -1, 0
.LBB7_1358:
	s_delay_alu instid0(SALU_CYCLE_1)
	s_and_b32 vcc_lo, exec_lo, s8
	s_cbranch_vccnz .LBB7_1421
; %bb.1359:
	s_and_not1_b32 vcc_lo, exec_lo, s9
	s_cbranch_vccnz .LBB7_1361
.LBB7_1360:
	global_load_u8 v1, v[16:17], off
	v_mov_b32_e32 v14, 0
	s_mov_b32 s10, -1
	s_wait_loadcnt 0x0
	v_cmp_ne_u16_e32 vcc_lo, 0, v1
	v_cndmask_b32_e64 v15, 0, 0x3ff00000, vcc_lo
.LBB7_1361:
	s_branch .LBB7_1287
.LBB7_1362:
	s_cmp_lt_i32 s0, 5
	s_cbranch_scc1 .LBB7_1367
; %bb.1363:
	s_cmp_lt_i32 s0, 8
	s_cbranch_scc1 .LBB7_1368
; %bb.1364:
	;; [unrolled: 3-line block ×3, first 2 shown]
	s_cmp_gt_i32 s0, 9
	s_cbranch_scc0 .LBB7_1370
; %bb.1366:
	global_load_b64 v[14:15], v[16:17], off
	s_mov_b32 s8, 0
	s_branch .LBB7_1371
.LBB7_1367:
                                        ; implicit-def: $vgpr14_vgpr15
	s_branch .LBB7_1389
.LBB7_1368:
	s_mov_b32 s8, -1
                                        ; implicit-def: $vgpr14_vgpr15
	s_branch .LBB7_1377
.LBB7_1369:
	s_mov_b32 s8, -1
                                        ; implicit-def: $vgpr14_vgpr15
	s_branch .LBB7_1374
.LBB7_1370:
	s_mov_b32 s8, -1
                                        ; implicit-def: $vgpr14_vgpr15
.LBB7_1371:
	s_delay_alu instid0(SALU_CYCLE_1)
	s_and_not1_b32 vcc_lo, exec_lo, s8
	s_cbranch_vccnz .LBB7_1373
; %bb.1372:
	global_load_b32 v1, v[16:17], off
	s_wait_loadcnt 0x0
	v_cvt_f64_f32_e32 v[14:15], v1
.LBB7_1373:
	s_mov_b32 s8, 0
.LBB7_1374:
	s_delay_alu instid0(SALU_CYCLE_1)
	s_and_not1_b32 vcc_lo, exec_lo, s8
	s_cbranch_vccnz .LBB7_1376
; %bb.1375:
	global_load_b32 v1, v[16:17], off
	s_wait_loadcnt 0x0
	v_cvt_f32_f16_e32 v1, v1
	s_delay_alu instid0(VALU_DEP_1)
	v_cvt_f64_f32_e32 v[14:15], v1
.LBB7_1376:
	s_mov_b32 s8, 0
.LBB7_1377:
	s_delay_alu instid0(SALU_CYCLE_1)
	s_and_not1_b32 vcc_lo, exec_lo, s8
	s_cbranch_vccnz .LBB7_1388
; %bb.1378:
	s_cmp_lt_i32 s0, 6
	s_cbranch_scc1 .LBB7_1381
; %bb.1379:
	s_cmp_gt_i32 s0, 6
	s_cbranch_scc0 .LBB7_1382
; %bb.1380:
	s_wait_loadcnt 0x0
	global_load_b64 v[14:15], v[16:17], off
	s_mov_b32 s8, 0
	s_branch .LBB7_1383
.LBB7_1381:
	s_mov_b32 s8, -1
                                        ; implicit-def: $vgpr14_vgpr15
	s_branch .LBB7_1386
.LBB7_1382:
	s_mov_b32 s8, -1
                                        ; implicit-def: $vgpr14_vgpr15
.LBB7_1383:
	s_delay_alu instid0(SALU_CYCLE_1)
	s_and_not1_b32 vcc_lo, exec_lo, s8
	s_cbranch_vccnz .LBB7_1385
; %bb.1384:
	global_load_b32 v1, v[16:17], off
	s_wait_loadcnt 0x0
	v_cvt_f64_f32_e32 v[14:15], v1
.LBB7_1385:
	s_mov_b32 s8, 0
.LBB7_1386:
	s_delay_alu instid0(SALU_CYCLE_1)
	s_and_not1_b32 vcc_lo, exec_lo, s8
	s_cbranch_vccnz .LBB7_1388
; %bb.1387:
	global_load_u16 v1, v[16:17], off
	s_wait_loadcnt 0x0
	v_cvt_f32_f16_e32 v1, v1
	s_delay_alu instid0(VALU_DEP_1)
	v_cvt_f64_f32_e32 v[14:15], v1
.LBB7_1388:
	s_cbranch_execnz .LBB7_1408
.LBB7_1389:
	s_cmp_lt_i32 s0, 2
	s_cbranch_scc1 .LBB7_1393
; %bb.1390:
	s_cmp_lt_i32 s0, 3
	s_cbranch_scc1 .LBB7_1394
; %bb.1391:
	s_cmp_gt_i32 s0, 3
	s_cbranch_scc0 .LBB7_1395
; %bb.1392:
	s_wait_loadcnt 0x0
	global_load_b64 v[14:15], v[16:17], off
	s_mov_b32 s8, 0
	s_wait_loadcnt 0x0
	v_cvt_f64_i32_e32 v[18:19], v15
	v_cvt_f64_u32_e32 v[14:15], v14
	s_delay_alu instid0(VALU_DEP_2) | instskip(NEXT) | instid1(VALU_DEP_1)
	v_ldexp_f64 v[18:19], v[18:19], 32
	v_add_f64_e32 v[14:15], v[18:19], v[14:15]
	s_branch .LBB7_1396
.LBB7_1393:
	s_mov_b32 s8, -1
                                        ; implicit-def: $vgpr14_vgpr15
	s_branch .LBB7_1402
.LBB7_1394:
	s_mov_b32 s8, -1
                                        ; implicit-def: $vgpr14_vgpr15
	s_branch .LBB7_1399
.LBB7_1395:
	s_mov_b32 s8, -1
                                        ; implicit-def: $vgpr14_vgpr15
.LBB7_1396:
	s_delay_alu instid0(SALU_CYCLE_1)
	s_and_not1_b32 vcc_lo, exec_lo, s8
	s_cbranch_vccnz .LBB7_1398
; %bb.1397:
	global_load_b32 v1, v[16:17], off
	s_wait_loadcnt 0x0
	v_cvt_f64_i32_e32 v[14:15], v1
.LBB7_1398:
	s_mov_b32 s8, 0
.LBB7_1399:
	s_delay_alu instid0(SALU_CYCLE_1)
	s_and_not1_b32 vcc_lo, exec_lo, s8
	s_cbranch_vccnz .LBB7_1401
; %bb.1400:
	global_load_i16 v1, v[16:17], off
	s_wait_loadcnt 0x0
	v_cvt_f64_i32_e32 v[14:15], v1
.LBB7_1401:
	s_mov_b32 s8, 0
.LBB7_1402:
	s_delay_alu instid0(SALU_CYCLE_1)
	s_and_not1_b32 vcc_lo, exec_lo, s8
	s_cbranch_vccnz .LBB7_1408
; %bb.1403:
	s_cmp_gt_i32 s0, 0
	s_mov_b32 s8, 0
	s_cbranch_scc0 .LBB7_1405
; %bb.1404:
	global_load_i8 v1, v[16:17], off
	s_wait_loadcnt 0x0
	v_cvt_f64_i32_e32 v[14:15], v1
	s_branch .LBB7_1406
.LBB7_1405:
	s_mov_b32 s8, -1
                                        ; implicit-def: $vgpr14_vgpr15
.LBB7_1406:
	s_delay_alu instid0(SALU_CYCLE_1)
	s_and_not1_b32 vcc_lo, exec_lo, s8
	s_cbranch_vccnz .LBB7_1408
; %bb.1407:
	global_load_u8 v1, v[16:17], off
	s_wait_loadcnt 0x0
	v_cvt_f64_u32_e32 v[14:15], v1
.LBB7_1408:
.LBB7_1409:
	v_mov_b32_e32 v13, 0
	s_cmp_lt_i32 s0, 11
	s_wait_xcnt 0x0
	s_delay_alu instid0(VALU_DEP_1)
	v_add_nc_u64_e32 v[16:17], s[6:7], v[12:13]
	s_cbranch_scc1 .LBB7_1416
; %bb.1410:
	s_cmp_gt_i32 s0, 25
	s_mov_b32 s9, 0
	s_cbranch_scc0 .LBB7_1418
; %bb.1411:
	s_cmp_gt_i32 s0, 28
	s_cbranch_scc0 .LBB7_1419
; %bb.1412:
	s_cmp_gt_i32 s0, 43
	;; [unrolled: 3-line block ×3, first 2 shown]
	s_cbranch_scc0 .LBB7_1422
; %bb.1414:
	s_cmp_eq_u32 s0, 46
	s_mov_b32 s13, 0
	s_cbranch_scc0 .LBB7_1423
; %bb.1415:
	global_load_b32 v1, v[16:17], off
	s_mov_b32 s8, 0
	s_mov_b32 s10, -1
	s_wait_loadcnt 0x0
	v_lshlrev_b32_e32 v1, 16, v1
	s_delay_alu instid0(VALU_DEP_1)
	v_cvt_f64_f32_e32 v[12:13], v1
	s_branch .LBB7_1425
.LBB7_1416:
	s_mov_b32 s10, 0
                                        ; implicit-def: $vgpr12_vgpr13
	s_cbranch_execnz .LBB7_1491
.LBB7_1417:
	s_and_not1_b32 vcc_lo, exec_lo, s10
	s_cbranch_vccz .LBB7_1539
	s_branch .LBB7_2100
.LBB7_1418:
	s_mov_b32 s13, -1
	s_mov_b32 s10, 0
	s_mov_b32 s8, 0
                                        ; implicit-def: $vgpr12_vgpr13
	s_branch .LBB7_1454
.LBB7_1419:
	s_mov_b32 s13, -1
	s_mov_b32 s10, 0
	s_mov_b32 s8, 0
                                        ; implicit-def: $vgpr12_vgpr13
	s_branch .LBB7_1435
.LBB7_1420:
	s_mov_b32 s13, -1
	s_mov_b32 s10, 0
	s_mov_b32 s8, 0
                                        ; implicit-def: $vgpr12_vgpr13
	s_branch .LBB7_1430
.LBB7_1421:
	s_or_b32 s1, s1, exec_lo
	s_trap 2
	s_cbranch_execz .LBB7_1360
	s_branch .LBB7_1361
.LBB7_1422:
	s_mov_b32 s13, -1
	s_mov_b32 s10, 0
	s_mov_b32 s8, 0
	s_branch .LBB7_1424
.LBB7_1423:
	s_mov_b32 s8, -1
	s_mov_b32 s10, 0
.LBB7_1424:
                                        ; implicit-def: $vgpr12_vgpr13
.LBB7_1425:
	s_and_b32 vcc_lo, exec_lo, s13
	s_cbranch_vccz .LBB7_1429
; %bb.1426:
	s_cmp_eq_u32 s0, 44
	s_cbranch_scc0 .LBB7_1428
; %bb.1427:
	global_load_u8 v1, v[16:17], off
	s_mov_b32 s8, 0
	s_mov_b32 s10, -1
	s_wait_loadcnt 0x0
	v_lshlrev_b32_e32 v5, 23, v1
	v_cmp_ne_u32_e32 vcc_lo, 0xff, v1
	s_delay_alu instid0(VALU_DEP_2) | instskip(NEXT) | instid1(VALU_DEP_1)
	v_cvt_f64_f32_e32 v[12:13], v5
	v_cndmask_b32_e32 v5, 0x20000000, v12, vcc_lo
	s_delay_alu instid0(VALU_DEP_2) | instskip(SKIP_1) | instid1(VALU_DEP_2)
	v_cndmask_b32_e32 v7, 0x7ff80000, v13, vcc_lo
	v_cmp_ne_u32_e32 vcc_lo, 0, v1
	v_cndmask_b32_e32 v13, 0x38000000, v7, vcc_lo
	s_delay_alu instid0(VALU_DEP_4)
	v_cndmask_b32_e32 v12, 0, v5, vcc_lo
	s_branch .LBB7_1429
.LBB7_1428:
	s_mov_b32 s8, -1
                                        ; implicit-def: $vgpr12_vgpr13
.LBB7_1429:
	s_mov_b32 s13, 0
.LBB7_1430:
	s_delay_alu instid0(SALU_CYCLE_1)
	s_and_b32 vcc_lo, exec_lo, s13
	s_cbranch_vccz .LBB7_1434
; %bb.1431:
	s_cmp_eq_u32 s0, 29
	s_cbranch_scc0 .LBB7_1433
; %bb.1432:
	global_load_b64 v[12:13], v[16:17], off
	s_mov_b32 s8, 0
	s_mov_b32 s10, -1
	s_mov_b32 s13, 0
	s_wait_loadcnt 0x0
	v_cvt_f64_u32_e32 v[18:19], v13
	v_cvt_f64_u32_e32 v[12:13], v12
	s_delay_alu instid0(VALU_DEP_2) | instskip(NEXT) | instid1(VALU_DEP_1)
	v_ldexp_f64 v[18:19], v[18:19], 32
	v_add_f64_e32 v[12:13], v[18:19], v[12:13]
	s_branch .LBB7_1435
.LBB7_1433:
	s_mov_b32 s8, -1
                                        ; implicit-def: $vgpr12_vgpr13
.LBB7_1434:
	s_mov_b32 s13, 0
.LBB7_1435:
	s_delay_alu instid0(SALU_CYCLE_1)
	s_and_b32 vcc_lo, exec_lo, s13
	s_cbranch_vccz .LBB7_1453
; %bb.1436:
	s_cmp_lt_i32 s0, 27
	s_cbranch_scc1 .LBB7_1439
; %bb.1437:
	s_cmp_gt_i32 s0, 27
	s_cbranch_scc0 .LBB7_1440
; %bb.1438:
	global_load_b32 v1, v[16:17], off
	s_mov_b32 s10, 0
	s_wait_loadcnt 0x0
	v_cvt_f64_u32_e32 v[12:13], v1
	s_branch .LBB7_1441
.LBB7_1439:
	s_mov_b32 s10, -1
                                        ; implicit-def: $vgpr12_vgpr13
	s_branch .LBB7_1444
.LBB7_1440:
	s_mov_b32 s10, -1
                                        ; implicit-def: $vgpr12_vgpr13
.LBB7_1441:
	s_delay_alu instid0(SALU_CYCLE_1)
	s_and_not1_b32 vcc_lo, exec_lo, s10
	s_cbranch_vccnz .LBB7_1443
; %bb.1442:
	global_load_u16 v1, v[16:17], off
	s_wait_loadcnt 0x0
	v_cvt_f64_u32_e32 v[12:13], v1
.LBB7_1443:
	s_mov_b32 s10, 0
.LBB7_1444:
	s_delay_alu instid0(SALU_CYCLE_1)
	s_and_not1_b32 vcc_lo, exec_lo, s10
	s_cbranch_vccnz .LBB7_1452
; %bb.1445:
	global_load_u8 v1, v[16:17], off
	s_mov_b32 s10, 0
	s_mov_b32 s13, exec_lo
	s_wait_loadcnt 0x0
	v_cmpx_lt_i16_e32 0x7f, v1
	s_xor_b32 s13, exec_lo, s13
	s_cbranch_execz .LBB7_1466
; %bb.1446:
	s_mov_b32 s10, -1
	s_mov_b32 s14, exec_lo
	v_cmpx_eq_u16_e32 0x80, v1
; %bb.1447:
	s_xor_b32 s10, exec_lo, -1
; %bb.1448:
	s_or_b32 exec_lo, exec_lo, s14
	s_delay_alu instid0(SALU_CYCLE_1)
	s_and_b32 s10, s10, exec_lo
	s_or_saveexec_b32 s13, s13
	v_mov_b64_e32 v[12:13], 0x7ff8000020000000
	s_xor_b32 exec_lo, exec_lo, s13
	s_cbranch_execnz .LBB7_1467
.LBB7_1449:
	s_or_b32 exec_lo, exec_lo, s13
	s_and_saveexec_b32 s13, s10
	s_cbranch_execz .LBB7_1451
.LBB7_1450:
	v_and_b32_e32 v5, 0xffff, v1
	v_lshlrev_b32_e32 v1, 24, v1
	s_delay_alu instid0(VALU_DEP_2) | instskip(SKIP_1) | instid1(VALU_DEP_3)
	v_and_b32_e32 v7, 7, v5
	v_bfe_u32 v12, v5, 3, 4
	v_and_b32_e32 v1, 0x80000000, v1
	s_delay_alu instid0(VALU_DEP_3) | instskip(NEXT) | instid1(VALU_DEP_3)
	v_clz_i32_u32_e32 v9, v7
	v_cmp_eq_u32_e32 vcc_lo, 0, v12
	s_delay_alu instid0(VALU_DEP_2) | instskip(NEXT) | instid1(VALU_DEP_1)
	v_min_u32_e32 v9, 32, v9
	v_subrev_nc_u32_e32 v11, 28, v9
	v_sub_nc_u32_e32 v9, 29, v9
	s_delay_alu instid0(VALU_DEP_2) | instskip(NEXT) | instid1(VALU_DEP_2)
	v_lshlrev_b32_e32 v5, v11, v5
	v_cndmask_b32_e32 v9, v12, v9, vcc_lo
	s_delay_alu instid0(VALU_DEP_2) | instskip(NEXT) | instid1(VALU_DEP_1)
	v_and_b32_e32 v5, 7, v5
	v_cndmask_b32_e32 v5, v7, v5, vcc_lo
	s_delay_alu instid0(VALU_DEP_3) | instskip(NEXT) | instid1(VALU_DEP_2)
	v_lshl_add_u32 v7, v9, 23, 0x3b800000
	v_lshlrev_b32_e32 v5, 20, v5
	s_delay_alu instid0(VALU_DEP_1) | instskip(NEXT) | instid1(VALU_DEP_1)
	v_or3_b32 v1, v1, v7, v5
	v_cvt_f64_f32_e32 v[12:13], v1
.LBB7_1451:
	s_or_b32 exec_lo, exec_lo, s13
.LBB7_1452:
	s_mov_b32 s10, -1
.LBB7_1453:
	s_mov_b32 s13, 0
.LBB7_1454:
	s_delay_alu instid0(SALU_CYCLE_1)
	s_and_b32 vcc_lo, exec_lo, s13
	s_cbranch_vccz .LBB7_1487
; %bb.1455:
	s_cmp_gt_i32 s0, 22
	s_cbranch_scc0 .LBB7_1465
; %bb.1456:
	s_cmp_lt_i32 s0, 24
	s_cbranch_scc1 .LBB7_1468
; %bb.1457:
	s_cmp_gt_i32 s0, 24
	s_cbranch_scc0 .LBB7_1469
; %bb.1458:
	global_load_u8 v1, v[16:17], off
	s_mov_b32 s10, exec_lo
	s_wait_loadcnt 0x0
	v_cmpx_lt_i16_e32 0x7f, v1
	s_xor_b32 s10, exec_lo, s10
	s_cbranch_execz .LBB7_1481
; %bb.1459:
	s_mov_b32 s9, -1
	s_mov_b32 s13, exec_lo
	v_cmpx_eq_u16_e32 0x80, v1
; %bb.1460:
	s_xor_b32 s9, exec_lo, -1
; %bb.1461:
	s_or_b32 exec_lo, exec_lo, s13
	s_delay_alu instid0(SALU_CYCLE_1)
	s_and_b32 s9, s9, exec_lo
	s_or_saveexec_b32 s10, s10
	v_mov_b64_e32 v[12:13], 0x7ff8000020000000
	s_xor_b32 exec_lo, exec_lo, s10
	s_cbranch_execnz .LBB7_1482
.LBB7_1462:
	s_or_b32 exec_lo, exec_lo, s10
	s_and_saveexec_b32 s10, s9
	s_cbranch_execz .LBB7_1464
.LBB7_1463:
	v_and_b32_e32 v5, 0xffff, v1
	v_lshlrev_b32_e32 v1, 24, v1
	s_delay_alu instid0(VALU_DEP_2) | instskip(SKIP_1) | instid1(VALU_DEP_3)
	v_and_b32_e32 v7, 3, v5
	v_bfe_u32 v12, v5, 2, 5
	v_and_b32_e32 v1, 0x80000000, v1
	s_delay_alu instid0(VALU_DEP_3) | instskip(NEXT) | instid1(VALU_DEP_3)
	v_clz_i32_u32_e32 v9, v7
	v_cmp_eq_u32_e32 vcc_lo, 0, v12
	s_delay_alu instid0(VALU_DEP_2) | instskip(NEXT) | instid1(VALU_DEP_1)
	v_min_u32_e32 v9, 32, v9
	v_subrev_nc_u32_e32 v11, 29, v9
	v_sub_nc_u32_e32 v9, 30, v9
	s_delay_alu instid0(VALU_DEP_2) | instskip(NEXT) | instid1(VALU_DEP_2)
	v_lshlrev_b32_e32 v5, v11, v5
	v_cndmask_b32_e32 v9, v12, v9, vcc_lo
	s_delay_alu instid0(VALU_DEP_2) | instskip(NEXT) | instid1(VALU_DEP_1)
	v_and_b32_e32 v5, 3, v5
	v_cndmask_b32_e32 v5, v7, v5, vcc_lo
	s_delay_alu instid0(VALU_DEP_3) | instskip(NEXT) | instid1(VALU_DEP_2)
	v_lshl_add_u32 v7, v9, 23, 0x37800000
	v_lshlrev_b32_e32 v5, 21, v5
	s_delay_alu instid0(VALU_DEP_1) | instskip(NEXT) | instid1(VALU_DEP_1)
	v_or3_b32 v1, v1, v7, v5
	v_cvt_f64_f32_e32 v[12:13], v1
.LBB7_1464:
	s_or_b32 exec_lo, exec_lo, s10
	s_mov_b32 s9, 0
	s_branch .LBB7_1470
.LBB7_1465:
	s_mov_b32 s9, -1
                                        ; implicit-def: $vgpr12_vgpr13
	s_branch .LBB7_1476
.LBB7_1466:
	s_or_saveexec_b32 s13, s13
	v_mov_b64_e32 v[12:13], 0x7ff8000020000000
	s_xor_b32 exec_lo, exec_lo, s13
	s_cbranch_execz .LBB7_1449
.LBB7_1467:
	v_cmp_ne_u16_e32 vcc_lo, 0, v1
	v_mov_b64_e32 v[12:13], 0
	s_and_not1_b32 s10, s10, exec_lo
	s_and_b32 s14, vcc_lo, exec_lo
	s_delay_alu instid0(SALU_CYCLE_1)
	s_or_b32 s10, s10, s14
	s_or_b32 exec_lo, exec_lo, s13
	s_and_saveexec_b32 s13, s10
	s_cbranch_execnz .LBB7_1450
	s_branch .LBB7_1451
.LBB7_1468:
	s_mov_b32 s9, -1
                                        ; implicit-def: $vgpr12_vgpr13
	s_branch .LBB7_1473
.LBB7_1469:
	s_mov_b32 s9, -1
                                        ; implicit-def: $vgpr12_vgpr13
.LBB7_1470:
	s_delay_alu instid0(SALU_CYCLE_1)
	s_and_b32 vcc_lo, exec_lo, s9
	s_cbranch_vccz .LBB7_1472
; %bb.1471:
	global_load_u8 v1, v[16:17], off
	s_wait_loadcnt 0x0
	v_lshlrev_b32_e32 v1, 24, v1
	s_delay_alu instid0(VALU_DEP_1) | instskip(NEXT) | instid1(VALU_DEP_1)
	v_and_b32_e32 v5, 0x7f000000, v1
	v_clz_i32_u32_e32 v7, v5
	v_cmp_ne_u32_e32 vcc_lo, 0, v5
	v_add_nc_u32_e32 v11, 0x1000000, v5
	s_delay_alu instid0(VALU_DEP_3) | instskip(NEXT) | instid1(VALU_DEP_1)
	v_min_u32_e32 v7, 32, v7
	v_sub_nc_u32_e64 v7, v7, 4 clamp
	s_delay_alu instid0(VALU_DEP_1) | instskip(NEXT) | instid1(VALU_DEP_1)
	v_dual_lshlrev_b32 v9, v7, v5 :: v_dual_lshlrev_b32 v7, 23, v7
	v_lshrrev_b32_e32 v9, 4, v9
	s_delay_alu instid0(VALU_DEP_1) | instskip(SKIP_1) | instid1(VALU_DEP_2)
	v_sub_nc_u32_e32 v7, v9, v7
	v_ashrrev_i32_e32 v9, 8, v11
	v_add_nc_u32_e32 v7, 0x3c000000, v7
	s_delay_alu instid0(VALU_DEP_1) | instskip(NEXT) | instid1(VALU_DEP_1)
	v_and_or_b32 v7, 0x7f800000, v9, v7
	v_cndmask_b32_e32 v5, 0, v7, vcc_lo
	s_delay_alu instid0(VALU_DEP_1) | instskip(NEXT) | instid1(VALU_DEP_1)
	v_and_or_b32 v1, 0x80000000, v1, v5
	v_cvt_f64_f32_e32 v[12:13], v1
.LBB7_1472:
	s_mov_b32 s9, 0
.LBB7_1473:
	s_delay_alu instid0(SALU_CYCLE_1)
	s_and_not1_b32 vcc_lo, exec_lo, s9
	s_cbranch_vccnz .LBB7_1475
; %bb.1474:
	global_load_u8 v1, v[16:17], off
	s_wait_loadcnt 0x0
	v_lshlrev_b32_e32 v5, 25, v1
	v_lshlrev_b16 v1, 8, v1
	s_delay_alu instid0(VALU_DEP_2) | instskip(NEXT) | instid1(VALU_DEP_2)
	v_lshrrev_b32_e32 v7, 4, v5
	v_and_or_b32 v9, 0x7f00, v1, 0.5
	v_cmp_gt_u32_e32 vcc_lo, 0x8000000, v5
	v_bfe_i32 v1, v1, 0, 16
	s_delay_alu instid0(VALU_DEP_4) | instskip(NEXT) | instid1(VALU_DEP_4)
	v_or_b32_e32 v7, 0x70000000, v7
	v_add_f32_e32 v9, -0.5, v9
	s_delay_alu instid0(VALU_DEP_2) | instskip(NEXT) | instid1(VALU_DEP_1)
	v_mul_f32_e32 v7, 0x7800000, v7
	v_cndmask_b32_e32 v5, v7, v9, vcc_lo
	s_delay_alu instid0(VALU_DEP_1) | instskip(NEXT) | instid1(VALU_DEP_1)
	v_and_or_b32 v1, 0x80000000, v1, v5
	v_cvt_f64_f32_e32 v[12:13], v1
.LBB7_1475:
	s_mov_b32 s9, 0
	s_mov_b32 s10, -1
.LBB7_1476:
	s_and_not1_b32 vcc_lo, exec_lo, s9
	s_mov_b32 s9, 0
	s_cbranch_vccnz .LBB7_1487
; %bb.1477:
	s_cmp_gt_i32 s0, 14
	s_cbranch_scc0 .LBB7_1480
; %bb.1478:
	s_cmp_eq_u32 s0, 15
	s_cbranch_scc0 .LBB7_1483
; %bb.1479:
	global_load_u16 v1, v[16:17], off
	s_mov_b32 s8, 0
	s_mov_b32 s10, -1
	s_wait_loadcnt 0x0
	v_lshlrev_b32_e32 v1, 16, v1
	s_delay_alu instid0(VALU_DEP_1)
	v_cvt_f64_f32_e32 v[12:13], v1
	s_branch .LBB7_1485
.LBB7_1480:
	s_mov_b32 s9, -1
	s_branch .LBB7_1484
.LBB7_1481:
	s_or_saveexec_b32 s10, s10
	v_mov_b64_e32 v[12:13], 0x7ff8000020000000
	s_xor_b32 exec_lo, exec_lo, s10
	s_cbranch_execz .LBB7_1462
.LBB7_1482:
	v_cmp_ne_u16_e32 vcc_lo, 0, v1
	v_mov_b64_e32 v[12:13], 0
	s_and_not1_b32 s9, s9, exec_lo
	s_and_b32 s13, vcc_lo, exec_lo
	s_delay_alu instid0(SALU_CYCLE_1)
	s_or_b32 s9, s9, s13
	s_or_b32 exec_lo, exec_lo, s10
	s_and_saveexec_b32 s10, s9
	s_cbranch_execnz .LBB7_1463
	s_branch .LBB7_1464
.LBB7_1483:
	s_mov_b32 s8, -1
.LBB7_1484:
                                        ; implicit-def: $vgpr12_vgpr13
.LBB7_1485:
	s_and_b32 vcc_lo, exec_lo, s9
	s_mov_b32 s9, 0
	s_cbranch_vccz .LBB7_1487
; %bb.1486:
	s_cmp_lg_u32 s0, 11
	s_mov_b32 s9, -1
	s_cselect_b32 s8, -1, 0
.LBB7_1487:
	s_delay_alu instid0(SALU_CYCLE_1)
	s_and_b32 vcc_lo, exec_lo, s8
	s_cbranch_vccnz .LBB7_1550
; %bb.1488:
	s_and_not1_b32 vcc_lo, exec_lo, s9
	s_cbranch_vccnz .LBB7_1490
.LBB7_1489:
	global_load_u8 v1, v[16:17], off
	v_mov_b32_e32 v12, 0
	s_mov_b32 s10, -1
	s_wait_loadcnt 0x0
	v_cmp_ne_u16_e32 vcc_lo, 0, v1
	v_cndmask_b32_e64 v13, 0, 0x3ff00000, vcc_lo
.LBB7_1490:
	s_branch .LBB7_1417
.LBB7_1491:
	s_cmp_lt_i32 s0, 5
	s_cbranch_scc1 .LBB7_1496
; %bb.1492:
	s_cmp_lt_i32 s0, 8
	s_cbranch_scc1 .LBB7_1497
; %bb.1493:
	;; [unrolled: 3-line block ×3, first 2 shown]
	s_cmp_gt_i32 s0, 9
	s_cbranch_scc0 .LBB7_1499
; %bb.1495:
	global_load_b64 v[12:13], v[16:17], off
	s_mov_b32 s8, 0
	s_branch .LBB7_1500
.LBB7_1496:
	s_mov_b32 s8, -1
                                        ; implicit-def: $vgpr12_vgpr13
	s_branch .LBB7_1518
.LBB7_1497:
	s_mov_b32 s8, -1
                                        ; implicit-def: $vgpr12_vgpr13
	s_branch .LBB7_1506
.LBB7_1498:
	s_mov_b32 s8, -1
                                        ; implicit-def: $vgpr12_vgpr13
	s_branch .LBB7_1503
.LBB7_1499:
	s_mov_b32 s8, -1
                                        ; implicit-def: $vgpr12_vgpr13
.LBB7_1500:
	s_delay_alu instid0(SALU_CYCLE_1)
	s_and_not1_b32 vcc_lo, exec_lo, s8
	s_cbranch_vccnz .LBB7_1502
; %bb.1501:
	global_load_b32 v1, v[16:17], off
	s_wait_loadcnt 0x0
	v_cvt_f64_f32_e32 v[12:13], v1
.LBB7_1502:
	s_mov_b32 s8, 0
.LBB7_1503:
	s_delay_alu instid0(SALU_CYCLE_1)
	s_and_not1_b32 vcc_lo, exec_lo, s8
	s_cbranch_vccnz .LBB7_1505
; %bb.1504:
	global_load_b32 v1, v[16:17], off
	s_wait_loadcnt 0x0
	v_cvt_f32_f16_e32 v1, v1
	s_delay_alu instid0(VALU_DEP_1)
	v_cvt_f64_f32_e32 v[12:13], v1
.LBB7_1505:
	s_mov_b32 s8, 0
.LBB7_1506:
	s_delay_alu instid0(SALU_CYCLE_1)
	s_and_not1_b32 vcc_lo, exec_lo, s8
	s_cbranch_vccnz .LBB7_1517
; %bb.1507:
	s_cmp_lt_i32 s0, 6
	s_cbranch_scc1 .LBB7_1510
; %bb.1508:
	s_cmp_gt_i32 s0, 6
	s_cbranch_scc0 .LBB7_1511
; %bb.1509:
	s_wait_loadcnt 0x0
	global_load_b64 v[12:13], v[16:17], off
	s_mov_b32 s8, 0
	s_branch .LBB7_1512
.LBB7_1510:
	s_mov_b32 s8, -1
                                        ; implicit-def: $vgpr12_vgpr13
	s_branch .LBB7_1515
.LBB7_1511:
	s_mov_b32 s8, -1
                                        ; implicit-def: $vgpr12_vgpr13
.LBB7_1512:
	s_delay_alu instid0(SALU_CYCLE_1)
	s_and_not1_b32 vcc_lo, exec_lo, s8
	s_cbranch_vccnz .LBB7_1514
; %bb.1513:
	global_load_b32 v1, v[16:17], off
	s_wait_loadcnt 0x0
	v_cvt_f64_f32_e32 v[12:13], v1
.LBB7_1514:
	s_mov_b32 s8, 0
.LBB7_1515:
	s_delay_alu instid0(SALU_CYCLE_1)
	s_and_not1_b32 vcc_lo, exec_lo, s8
	s_cbranch_vccnz .LBB7_1517
; %bb.1516:
	global_load_u16 v1, v[16:17], off
	s_wait_loadcnt 0x0
	v_cvt_f32_f16_e32 v1, v1
	s_delay_alu instid0(VALU_DEP_1)
	v_cvt_f64_f32_e32 v[12:13], v1
.LBB7_1517:
	s_mov_b32 s8, 0
.LBB7_1518:
	s_delay_alu instid0(SALU_CYCLE_1)
	s_and_not1_b32 vcc_lo, exec_lo, s8
	s_cbranch_vccnz .LBB7_1538
; %bb.1519:
	s_cmp_lt_i32 s0, 2
	s_cbranch_scc1 .LBB7_1523
; %bb.1520:
	s_cmp_lt_i32 s0, 3
	s_cbranch_scc1 .LBB7_1524
; %bb.1521:
	s_cmp_gt_i32 s0, 3
	s_cbranch_scc0 .LBB7_1525
; %bb.1522:
	s_wait_loadcnt 0x0
	global_load_b64 v[12:13], v[16:17], off
	s_mov_b32 s8, 0
	s_wait_loadcnt 0x0
	v_cvt_f64_i32_e32 v[18:19], v13
	v_cvt_f64_u32_e32 v[12:13], v12
	s_delay_alu instid0(VALU_DEP_2) | instskip(NEXT) | instid1(VALU_DEP_1)
	v_ldexp_f64 v[18:19], v[18:19], 32
	v_add_f64_e32 v[12:13], v[18:19], v[12:13]
	s_branch .LBB7_1526
.LBB7_1523:
	s_mov_b32 s8, -1
                                        ; implicit-def: $vgpr12_vgpr13
	s_branch .LBB7_1532
.LBB7_1524:
	s_mov_b32 s8, -1
                                        ; implicit-def: $vgpr12_vgpr13
	s_branch .LBB7_1529
.LBB7_1525:
	s_mov_b32 s8, -1
                                        ; implicit-def: $vgpr12_vgpr13
.LBB7_1526:
	s_delay_alu instid0(SALU_CYCLE_1)
	s_and_not1_b32 vcc_lo, exec_lo, s8
	s_cbranch_vccnz .LBB7_1528
; %bb.1527:
	global_load_b32 v1, v[16:17], off
	s_wait_loadcnt 0x0
	v_cvt_f64_i32_e32 v[12:13], v1
.LBB7_1528:
	s_mov_b32 s8, 0
.LBB7_1529:
	s_delay_alu instid0(SALU_CYCLE_1)
	s_and_not1_b32 vcc_lo, exec_lo, s8
	s_cbranch_vccnz .LBB7_1531
; %bb.1530:
	global_load_i16 v1, v[16:17], off
	s_wait_loadcnt 0x0
	v_cvt_f64_i32_e32 v[12:13], v1
.LBB7_1531:
	s_mov_b32 s8, 0
.LBB7_1532:
	s_delay_alu instid0(SALU_CYCLE_1)
	s_and_not1_b32 vcc_lo, exec_lo, s8
	s_cbranch_vccnz .LBB7_1538
; %bb.1533:
	s_cmp_gt_i32 s0, 0
	s_mov_b32 s8, 0
	s_cbranch_scc0 .LBB7_1535
; %bb.1534:
	global_load_i8 v1, v[16:17], off
	s_wait_loadcnt 0x0
	v_cvt_f64_i32_e32 v[12:13], v1
	s_branch .LBB7_1536
.LBB7_1535:
	s_mov_b32 s8, -1
                                        ; implicit-def: $vgpr12_vgpr13
.LBB7_1536:
	s_delay_alu instid0(SALU_CYCLE_1)
	s_and_not1_b32 vcc_lo, exec_lo, s8
	s_cbranch_vccnz .LBB7_1538
; %bb.1537:
	global_load_u8 v1, v[16:17], off
	s_wait_loadcnt 0x0
	v_cvt_f64_u32_e32 v[12:13], v1
.LBB7_1538:
.LBB7_1539:
	v_mov_b32_e32 v11, 0
	s_cmp_lt_i32 s0, 11
	s_wait_xcnt 0x0
	s_delay_alu instid0(VALU_DEP_1)
	v_add_nc_u64_e32 v[16:17], s[6:7], v[10:11]
	s_cbranch_scc1 .LBB7_1546
; %bb.1540:
	s_cmp_gt_i32 s0, 25
	s_mov_b32 s7, 0
	s_cbranch_scc0 .LBB7_1547
; %bb.1541:
	s_cmp_gt_i32 s0, 28
	s_cbranch_scc0 .LBB7_1548
; %bb.1542:
	s_cmp_gt_i32 s0, 43
	;; [unrolled: 3-line block ×3, first 2 shown]
	s_cbranch_scc0 .LBB7_1551
; %bb.1544:
	s_cmp_eq_u32 s0, 46
	s_mov_b32 s9, 0
	s_cbranch_scc0 .LBB7_1552
; %bb.1545:
	global_load_b32 v1, v[16:17], off
	s_mov_b32 s6, 0
	s_mov_b32 s8, -1
	s_wait_loadcnt 0x0
	v_lshlrev_b32_e32 v1, 16, v1
	s_delay_alu instid0(VALU_DEP_1)
	v_cvt_f64_f32_e32 v[10:11], v1
	s_branch .LBB7_1554
.LBB7_1546:
	s_mov_b32 s6, -1
	s_mov_b32 s8, 0
                                        ; implicit-def: $vgpr10_vgpr11
	s_branch .LBB7_1620
.LBB7_1547:
	s_mov_b32 s9, -1
	s_mov_b32 s8, 0
	s_mov_b32 s6, 0
                                        ; implicit-def: $vgpr10_vgpr11
	s_branch .LBB7_1583
.LBB7_1548:
	s_mov_b32 s9, -1
	s_mov_b32 s8, 0
	s_mov_b32 s6, 0
                                        ; implicit-def: $vgpr10_vgpr11
	s_branch .LBB7_1564
.LBB7_1549:
	s_mov_b32 s9, -1
	s_mov_b32 s8, 0
	s_mov_b32 s6, 0
                                        ; implicit-def: $vgpr10_vgpr11
	s_branch .LBB7_1559
.LBB7_1550:
	s_or_b32 s1, s1, exec_lo
	s_trap 2
	s_cbranch_execz .LBB7_1489
	s_branch .LBB7_1490
.LBB7_1551:
	s_mov_b32 s9, -1
	s_mov_b32 s8, 0
	s_mov_b32 s6, 0
	s_branch .LBB7_1553
.LBB7_1552:
	s_mov_b32 s6, -1
	s_mov_b32 s8, 0
.LBB7_1553:
                                        ; implicit-def: $vgpr10_vgpr11
.LBB7_1554:
	s_and_b32 vcc_lo, exec_lo, s9
	s_cbranch_vccz .LBB7_1558
; %bb.1555:
	s_cmp_eq_u32 s0, 44
	s_cbranch_scc0 .LBB7_1557
; %bb.1556:
	global_load_u8 v1, v[16:17], off
	s_mov_b32 s6, 0
	s_mov_b32 s8, -1
	s_wait_loadcnt 0x0
	v_lshlrev_b32_e32 v5, 23, v1
	v_cmp_ne_u32_e32 vcc_lo, 0xff, v1
	s_delay_alu instid0(VALU_DEP_2) | instskip(NEXT) | instid1(VALU_DEP_1)
	v_cvt_f64_f32_e32 v[10:11], v5
	v_cndmask_b32_e32 v5, 0x20000000, v10, vcc_lo
	s_delay_alu instid0(VALU_DEP_2) | instskip(SKIP_1) | instid1(VALU_DEP_2)
	v_cndmask_b32_e32 v7, 0x7ff80000, v11, vcc_lo
	v_cmp_ne_u32_e32 vcc_lo, 0, v1
	v_cndmask_b32_e32 v11, 0x38000000, v7, vcc_lo
	s_delay_alu instid0(VALU_DEP_4)
	v_cndmask_b32_e32 v10, 0, v5, vcc_lo
	s_branch .LBB7_1558
.LBB7_1557:
	s_mov_b32 s6, -1
                                        ; implicit-def: $vgpr10_vgpr11
.LBB7_1558:
	s_mov_b32 s9, 0
.LBB7_1559:
	s_delay_alu instid0(SALU_CYCLE_1)
	s_and_b32 vcc_lo, exec_lo, s9
	s_cbranch_vccz .LBB7_1563
; %bb.1560:
	s_cmp_eq_u32 s0, 29
	s_cbranch_scc0 .LBB7_1562
; %bb.1561:
	global_load_b64 v[10:11], v[16:17], off
	s_mov_b32 s6, 0
	s_mov_b32 s8, -1
	s_mov_b32 s9, 0
	s_wait_loadcnt 0x0
	v_cvt_f64_u32_e32 v[18:19], v11
	v_cvt_f64_u32_e32 v[10:11], v10
	s_delay_alu instid0(VALU_DEP_2) | instskip(NEXT) | instid1(VALU_DEP_1)
	v_ldexp_f64 v[18:19], v[18:19], 32
	v_add_f64_e32 v[10:11], v[18:19], v[10:11]
	s_branch .LBB7_1564
.LBB7_1562:
	s_mov_b32 s6, -1
                                        ; implicit-def: $vgpr10_vgpr11
.LBB7_1563:
	s_mov_b32 s9, 0
.LBB7_1564:
	s_delay_alu instid0(SALU_CYCLE_1)
	s_and_b32 vcc_lo, exec_lo, s9
	s_cbranch_vccz .LBB7_1582
; %bb.1565:
	s_cmp_lt_i32 s0, 27
	s_cbranch_scc1 .LBB7_1568
; %bb.1566:
	s_cmp_gt_i32 s0, 27
	s_cbranch_scc0 .LBB7_1569
; %bb.1567:
	global_load_b32 v1, v[16:17], off
	s_mov_b32 s8, 0
	s_wait_loadcnt 0x0
	v_cvt_f64_u32_e32 v[10:11], v1
	s_branch .LBB7_1570
.LBB7_1568:
	s_mov_b32 s8, -1
                                        ; implicit-def: $vgpr10_vgpr11
	s_branch .LBB7_1573
.LBB7_1569:
	s_mov_b32 s8, -1
                                        ; implicit-def: $vgpr10_vgpr11
.LBB7_1570:
	s_delay_alu instid0(SALU_CYCLE_1)
	s_and_not1_b32 vcc_lo, exec_lo, s8
	s_cbranch_vccnz .LBB7_1572
; %bb.1571:
	global_load_u16 v1, v[16:17], off
	s_wait_loadcnt 0x0
	v_cvt_f64_u32_e32 v[10:11], v1
.LBB7_1572:
	s_mov_b32 s8, 0
.LBB7_1573:
	s_delay_alu instid0(SALU_CYCLE_1)
	s_and_not1_b32 vcc_lo, exec_lo, s8
	s_cbranch_vccnz .LBB7_1581
; %bb.1574:
	global_load_u8 v1, v[16:17], off
	s_mov_b32 s8, 0
	s_mov_b32 s9, exec_lo
	s_wait_loadcnt 0x0
	v_cmpx_lt_i16_e32 0x7f, v1
	s_xor_b32 s9, exec_lo, s9
	s_cbranch_execz .LBB7_1595
; %bb.1575:
	s_mov_b32 s8, -1
	s_mov_b32 s10, exec_lo
	v_cmpx_eq_u16_e32 0x80, v1
; %bb.1576:
	s_xor_b32 s8, exec_lo, -1
; %bb.1577:
	s_or_b32 exec_lo, exec_lo, s10
	s_delay_alu instid0(SALU_CYCLE_1)
	s_and_b32 s8, s8, exec_lo
	s_or_saveexec_b32 s9, s9
	v_mov_b64_e32 v[10:11], 0x7ff8000020000000
	s_xor_b32 exec_lo, exec_lo, s9
	s_cbranch_execnz .LBB7_1596
.LBB7_1578:
	s_or_b32 exec_lo, exec_lo, s9
	s_and_saveexec_b32 s9, s8
	s_cbranch_execz .LBB7_1580
.LBB7_1579:
	v_and_b32_e32 v5, 0xffff, v1
	v_lshlrev_b32_e32 v1, 24, v1
	s_delay_alu instid0(VALU_DEP_2) | instskip(SKIP_1) | instid1(VALU_DEP_3)
	v_and_b32_e32 v7, 7, v5
	v_bfe_u32 v11, v5, 3, 4
	v_and_b32_e32 v1, 0x80000000, v1
	s_delay_alu instid0(VALU_DEP_3) | instskip(NEXT) | instid1(VALU_DEP_3)
	v_clz_i32_u32_e32 v9, v7
	v_cmp_eq_u32_e32 vcc_lo, 0, v11
	s_delay_alu instid0(VALU_DEP_2) | instskip(NEXT) | instid1(VALU_DEP_1)
	v_min_u32_e32 v9, 32, v9
	v_subrev_nc_u32_e32 v10, 28, v9
	v_sub_nc_u32_e32 v9, 29, v9
	s_delay_alu instid0(VALU_DEP_2) | instskip(NEXT) | instid1(VALU_DEP_2)
	v_lshlrev_b32_e32 v5, v10, v5
	v_cndmask_b32_e32 v9, v11, v9, vcc_lo
	s_delay_alu instid0(VALU_DEP_2) | instskip(NEXT) | instid1(VALU_DEP_1)
	v_and_b32_e32 v5, 7, v5
	v_cndmask_b32_e32 v5, v7, v5, vcc_lo
	s_delay_alu instid0(VALU_DEP_3) | instskip(NEXT) | instid1(VALU_DEP_2)
	v_lshl_add_u32 v7, v9, 23, 0x3b800000
	v_lshlrev_b32_e32 v5, 20, v5
	s_delay_alu instid0(VALU_DEP_1) | instskip(NEXT) | instid1(VALU_DEP_1)
	v_or3_b32 v1, v1, v7, v5
	v_cvt_f64_f32_e32 v[10:11], v1
.LBB7_1580:
	s_or_b32 exec_lo, exec_lo, s9
.LBB7_1581:
	s_mov_b32 s8, -1
.LBB7_1582:
	s_mov_b32 s9, 0
.LBB7_1583:
	s_delay_alu instid0(SALU_CYCLE_1)
	s_and_b32 vcc_lo, exec_lo, s9
	s_cbranch_vccz .LBB7_1616
; %bb.1584:
	s_cmp_gt_i32 s0, 22
	s_cbranch_scc0 .LBB7_1594
; %bb.1585:
	s_cmp_lt_i32 s0, 24
	s_cbranch_scc1 .LBB7_1597
; %bb.1586:
	s_cmp_gt_i32 s0, 24
	s_cbranch_scc0 .LBB7_1598
; %bb.1587:
	global_load_u8 v1, v[16:17], off
	s_mov_b32 s8, exec_lo
	s_wait_loadcnt 0x0
	v_cmpx_lt_i16_e32 0x7f, v1
	s_xor_b32 s8, exec_lo, s8
	s_cbranch_execz .LBB7_1610
; %bb.1588:
	s_mov_b32 s7, -1
	s_mov_b32 s9, exec_lo
	v_cmpx_eq_u16_e32 0x80, v1
; %bb.1589:
	s_xor_b32 s7, exec_lo, -1
; %bb.1590:
	s_or_b32 exec_lo, exec_lo, s9
	s_delay_alu instid0(SALU_CYCLE_1)
	s_and_b32 s7, s7, exec_lo
	s_or_saveexec_b32 s8, s8
	v_mov_b64_e32 v[10:11], 0x7ff8000020000000
	s_xor_b32 exec_lo, exec_lo, s8
	s_cbranch_execnz .LBB7_1611
.LBB7_1591:
	s_or_b32 exec_lo, exec_lo, s8
	s_and_saveexec_b32 s8, s7
	s_cbranch_execz .LBB7_1593
.LBB7_1592:
	v_and_b32_e32 v5, 0xffff, v1
	v_lshlrev_b32_e32 v1, 24, v1
	s_delay_alu instid0(VALU_DEP_2) | instskip(SKIP_1) | instid1(VALU_DEP_3)
	v_and_b32_e32 v7, 3, v5
	v_bfe_u32 v11, v5, 2, 5
	v_and_b32_e32 v1, 0x80000000, v1
	s_delay_alu instid0(VALU_DEP_3) | instskip(NEXT) | instid1(VALU_DEP_3)
	v_clz_i32_u32_e32 v9, v7
	v_cmp_eq_u32_e32 vcc_lo, 0, v11
	s_delay_alu instid0(VALU_DEP_2) | instskip(NEXT) | instid1(VALU_DEP_1)
	v_min_u32_e32 v9, 32, v9
	v_subrev_nc_u32_e32 v10, 29, v9
	v_sub_nc_u32_e32 v9, 30, v9
	s_delay_alu instid0(VALU_DEP_2) | instskip(NEXT) | instid1(VALU_DEP_2)
	v_lshlrev_b32_e32 v5, v10, v5
	v_cndmask_b32_e32 v9, v11, v9, vcc_lo
	s_delay_alu instid0(VALU_DEP_2) | instskip(NEXT) | instid1(VALU_DEP_1)
	v_and_b32_e32 v5, 3, v5
	v_cndmask_b32_e32 v5, v7, v5, vcc_lo
	s_delay_alu instid0(VALU_DEP_3) | instskip(NEXT) | instid1(VALU_DEP_2)
	v_lshl_add_u32 v7, v9, 23, 0x37800000
	v_lshlrev_b32_e32 v5, 21, v5
	s_delay_alu instid0(VALU_DEP_1) | instskip(NEXT) | instid1(VALU_DEP_1)
	v_or3_b32 v1, v1, v7, v5
	v_cvt_f64_f32_e32 v[10:11], v1
.LBB7_1593:
	s_or_b32 exec_lo, exec_lo, s8
	s_mov_b32 s7, 0
	s_branch .LBB7_1599
.LBB7_1594:
	s_mov_b32 s7, -1
                                        ; implicit-def: $vgpr10_vgpr11
	s_branch .LBB7_1605
.LBB7_1595:
	s_or_saveexec_b32 s9, s9
	v_mov_b64_e32 v[10:11], 0x7ff8000020000000
	s_xor_b32 exec_lo, exec_lo, s9
	s_cbranch_execz .LBB7_1578
.LBB7_1596:
	v_cmp_ne_u16_e32 vcc_lo, 0, v1
	v_mov_b64_e32 v[10:11], 0
	s_and_not1_b32 s8, s8, exec_lo
	s_and_b32 s10, vcc_lo, exec_lo
	s_delay_alu instid0(SALU_CYCLE_1)
	s_or_b32 s8, s8, s10
	s_or_b32 exec_lo, exec_lo, s9
	s_and_saveexec_b32 s9, s8
	s_cbranch_execnz .LBB7_1579
	s_branch .LBB7_1580
.LBB7_1597:
	s_mov_b32 s7, -1
                                        ; implicit-def: $vgpr10_vgpr11
	s_branch .LBB7_1602
.LBB7_1598:
	s_mov_b32 s7, -1
                                        ; implicit-def: $vgpr10_vgpr11
.LBB7_1599:
	s_delay_alu instid0(SALU_CYCLE_1)
	s_and_b32 vcc_lo, exec_lo, s7
	s_cbranch_vccz .LBB7_1601
; %bb.1600:
	global_load_u8 v1, v[16:17], off
	s_wait_loadcnt 0x0
	v_lshlrev_b32_e32 v1, 24, v1
	s_delay_alu instid0(VALU_DEP_1) | instskip(NEXT) | instid1(VALU_DEP_1)
	v_and_b32_e32 v5, 0x7f000000, v1
	v_clz_i32_u32_e32 v7, v5
	v_cmp_ne_u32_e32 vcc_lo, 0, v5
	v_add_nc_u32_e32 v10, 0x1000000, v5
	s_delay_alu instid0(VALU_DEP_3) | instskip(NEXT) | instid1(VALU_DEP_1)
	v_min_u32_e32 v7, 32, v7
	v_sub_nc_u32_e64 v7, v7, 4 clamp
	s_delay_alu instid0(VALU_DEP_1) | instskip(NEXT) | instid1(VALU_DEP_1)
	v_dual_lshlrev_b32 v9, v7, v5 :: v_dual_lshlrev_b32 v7, 23, v7
	v_lshrrev_b32_e32 v9, 4, v9
	s_delay_alu instid0(VALU_DEP_1) | instskip(NEXT) | instid1(VALU_DEP_1)
	v_dual_sub_nc_u32 v7, v9, v7 :: v_dual_ashrrev_i32 v9, 8, v10
	v_add_nc_u32_e32 v7, 0x3c000000, v7
	s_delay_alu instid0(VALU_DEP_1) | instskip(NEXT) | instid1(VALU_DEP_1)
	v_and_or_b32 v7, 0x7f800000, v9, v7
	v_cndmask_b32_e32 v5, 0, v7, vcc_lo
	s_delay_alu instid0(VALU_DEP_1) | instskip(NEXT) | instid1(VALU_DEP_1)
	v_and_or_b32 v1, 0x80000000, v1, v5
	v_cvt_f64_f32_e32 v[10:11], v1
.LBB7_1601:
	s_mov_b32 s7, 0
.LBB7_1602:
	s_delay_alu instid0(SALU_CYCLE_1)
	s_and_not1_b32 vcc_lo, exec_lo, s7
	s_cbranch_vccnz .LBB7_1604
; %bb.1603:
	global_load_u8 v1, v[16:17], off
	s_wait_loadcnt 0x0
	v_lshlrev_b32_e32 v5, 25, v1
	v_lshlrev_b16 v1, 8, v1
	s_delay_alu instid0(VALU_DEP_2) | instskip(NEXT) | instid1(VALU_DEP_2)
	v_lshrrev_b32_e32 v7, 4, v5
	v_and_or_b32 v9, 0x7f00, v1, 0.5
	v_cmp_gt_u32_e32 vcc_lo, 0x8000000, v5
	v_bfe_i32 v1, v1, 0, 16
	s_delay_alu instid0(VALU_DEP_4) | instskip(NEXT) | instid1(VALU_DEP_4)
	v_or_b32_e32 v7, 0x70000000, v7
	v_add_f32_e32 v9, -0.5, v9
	s_delay_alu instid0(VALU_DEP_2) | instskip(NEXT) | instid1(VALU_DEP_1)
	v_mul_f32_e32 v7, 0x7800000, v7
	v_cndmask_b32_e32 v5, v7, v9, vcc_lo
	s_delay_alu instid0(VALU_DEP_1) | instskip(NEXT) | instid1(VALU_DEP_1)
	v_and_or_b32 v1, 0x80000000, v1, v5
	v_cvt_f64_f32_e32 v[10:11], v1
.LBB7_1604:
	s_mov_b32 s7, 0
	s_mov_b32 s8, -1
.LBB7_1605:
	s_and_not1_b32 vcc_lo, exec_lo, s7
	s_mov_b32 s7, 0
	s_cbranch_vccnz .LBB7_1616
; %bb.1606:
	s_cmp_gt_i32 s0, 14
	s_cbranch_scc0 .LBB7_1609
; %bb.1607:
	s_cmp_eq_u32 s0, 15
	s_cbranch_scc0 .LBB7_1612
; %bb.1608:
	global_load_u16 v1, v[16:17], off
	s_mov_b32 s6, 0
	s_mov_b32 s8, -1
	s_wait_loadcnt 0x0
	v_lshlrev_b32_e32 v1, 16, v1
	s_delay_alu instid0(VALU_DEP_1)
	v_cvt_f64_f32_e32 v[10:11], v1
	s_branch .LBB7_1614
.LBB7_1609:
	s_mov_b32 s7, -1
	s_branch .LBB7_1613
.LBB7_1610:
	s_or_saveexec_b32 s8, s8
	v_mov_b64_e32 v[10:11], 0x7ff8000020000000
	s_xor_b32 exec_lo, exec_lo, s8
	s_cbranch_execz .LBB7_1591
.LBB7_1611:
	v_cmp_ne_u16_e32 vcc_lo, 0, v1
	v_mov_b64_e32 v[10:11], 0
	s_and_not1_b32 s7, s7, exec_lo
	s_and_b32 s9, vcc_lo, exec_lo
	s_delay_alu instid0(SALU_CYCLE_1)
	s_or_b32 s7, s7, s9
	s_or_b32 exec_lo, exec_lo, s8
	s_and_saveexec_b32 s8, s7
	s_cbranch_execnz .LBB7_1592
	s_branch .LBB7_1593
.LBB7_1612:
	s_mov_b32 s6, -1
.LBB7_1613:
                                        ; implicit-def: $vgpr10_vgpr11
.LBB7_1614:
	s_and_b32 vcc_lo, exec_lo, s7
	s_mov_b32 s7, 0
	s_cbranch_vccz .LBB7_1616
; %bb.1615:
	s_cmp_lg_u32 s0, 11
	s_mov_b32 s7, -1
	s_cselect_b32 s6, -1, 0
.LBB7_1616:
	s_delay_alu instid0(SALU_CYCLE_1)
	s_and_b32 vcc_lo, exec_lo, s6
	s_cbranch_vccnz .LBB7_2145
; %bb.1617:
	s_and_not1_b32 vcc_lo, exec_lo, s7
	s_cbranch_vccnz .LBB7_1619
.LBB7_1618:
	global_load_u8 v1, v[16:17], off
	v_mov_b32_e32 v10, 0
	s_mov_b32 s8, -1
	s_wait_loadcnt 0x0
	v_cmp_ne_u16_e32 vcc_lo, 0, v1
	v_cndmask_b32_e64 v11, 0, 0x3ff00000, vcc_lo
.LBB7_1619:
	s_mov_b32 s6, 0
.LBB7_1620:
	s_delay_alu instid0(SALU_CYCLE_1)
	s_and_b32 vcc_lo, exec_lo, s6
	s_cbranch_vccz .LBB7_1669
; %bb.1621:
	s_cmp_lt_i32 s0, 5
	s_cbranch_scc1 .LBB7_1626
; %bb.1622:
	s_cmp_lt_i32 s0, 8
	s_cbranch_scc1 .LBB7_1627
	;; [unrolled: 3-line block ×3, first 2 shown]
; %bb.1624:
	s_cmp_gt_i32 s0, 9
	s_cbranch_scc0 .LBB7_1629
; %bb.1625:
	global_load_b64 v[10:11], v[16:17], off
	s_mov_b32 s6, 0
	s_branch .LBB7_1630
.LBB7_1626:
	s_mov_b32 s6, -1
                                        ; implicit-def: $vgpr10_vgpr11
	s_branch .LBB7_1648
.LBB7_1627:
	s_mov_b32 s6, -1
                                        ; implicit-def: $vgpr10_vgpr11
	s_branch .LBB7_1636
.LBB7_1628:
	s_mov_b32 s6, -1
                                        ; implicit-def: $vgpr10_vgpr11
	s_branch .LBB7_1633
.LBB7_1629:
	s_mov_b32 s6, -1
                                        ; implicit-def: $vgpr10_vgpr11
.LBB7_1630:
	s_delay_alu instid0(SALU_CYCLE_1)
	s_and_not1_b32 vcc_lo, exec_lo, s6
	s_cbranch_vccnz .LBB7_1632
; %bb.1631:
	global_load_b32 v1, v[16:17], off
	s_wait_loadcnt 0x0
	v_cvt_f64_f32_e32 v[10:11], v1
.LBB7_1632:
	s_mov_b32 s6, 0
.LBB7_1633:
	s_delay_alu instid0(SALU_CYCLE_1)
	s_and_not1_b32 vcc_lo, exec_lo, s6
	s_cbranch_vccnz .LBB7_1635
; %bb.1634:
	global_load_b32 v1, v[16:17], off
	s_wait_loadcnt 0x0
	v_cvt_f32_f16_e32 v1, v1
	s_delay_alu instid0(VALU_DEP_1)
	v_cvt_f64_f32_e32 v[10:11], v1
.LBB7_1635:
	s_mov_b32 s6, 0
.LBB7_1636:
	s_delay_alu instid0(SALU_CYCLE_1)
	s_and_not1_b32 vcc_lo, exec_lo, s6
	s_cbranch_vccnz .LBB7_1647
; %bb.1637:
	s_cmp_lt_i32 s0, 6
	s_cbranch_scc1 .LBB7_1640
; %bb.1638:
	s_cmp_gt_i32 s0, 6
	s_cbranch_scc0 .LBB7_1641
; %bb.1639:
	s_wait_loadcnt 0x0
	global_load_b64 v[10:11], v[16:17], off
	s_mov_b32 s6, 0
	s_branch .LBB7_1642
.LBB7_1640:
	s_mov_b32 s6, -1
                                        ; implicit-def: $vgpr10_vgpr11
	s_branch .LBB7_1645
.LBB7_1641:
	s_mov_b32 s6, -1
                                        ; implicit-def: $vgpr10_vgpr11
.LBB7_1642:
	s_delay_alu instid0(SALU_CYCLE_1)
	s_and_not1_b32 vcc_lo, exec_lo, s6
	s_cbranch_vccnz .LBB7_1644
; %bb.1643:
	global_load_b32 v1, v[16:17], off
	s_wait_loadcnt 0x0
	v_cvt_f64_f32_e32 v[10:11], v1
.LBB7_1644:
	s_mov_b32 s6, 0
.LBB7_1645:
	s_delay_alu instid0(SALU_CYCLE_1)
	s_and_not1_b32 vcc_lo, exec_lo, s6
	s_cbranch_vccnz .LBB7_1647
; %bb.1646:
	global_load_u16 v1, v[16:17], off
	s_wait_loadcnt 0x0
	v_cvt_f32_f16_e32 v1, v1
	s_delay_alu instid0(VALU_DEP_1)
	v_cvt_f64_f32_e32 v[10:11], v1
.LBB7_1647:
	s_mov_b32 s6, 0
.LBB7_1648:
	s_delay_alu instid0(SALU_CYCLE_1)
	s_and_not1_b32 vcc_lo, exec_lo, s6
	s_cbranch_vccnz .LBB7_1668
; %bb.1649:
	s_cmp_lt_i32 s0, 2
	s_cbranch_scc1 .LBB7_1653
; %bb.1650:
	s_cmp_lt_i32 s0, 3
	s_cbranch_scc1 .LBB7_1654
; %bb.1651:
	s_cmp_gt_i32 s0, 3
	s_cbranch_scc0 .LBB7_1655
; %bb.1652:
	s_wait_loadcnt 0x0
	global_load_b64 v[10:11], v[16:17], off
	s_mov_b32 s6, 0
	s_wait_loadcnt 0x0
	v_cvt_f64_i32_e32 v[18:19], v11
	v_cvt_f64_u32_e32 v[10:11], v10
	s_delay_alu instid0(VALU_DEP_2) | instskip(NEXT) | instid1(VALU_DEP_1)
	v_ldexp_f64 v[18:19], v[18:19], 32
	v_add_f64_e32 v[10:11], v[18:19], v[10:11]
	s_branch .LBB7_1656
.LBB7_1653:
	s_mov_b32 s6, -1
                                        ; implicit-def: $vgpr10_vgpr11
	s_branch .LBB7_1662
.LBB7_1654:
	s_mov_b32 s6, -1
                                        ; implicit-def: $vgpr10_vgpr11
	s_branch .LBB7_1659
.LBB7_1655:
	s_mov_b32 s6, -1
                                        ; implicit-def: $vgpr10_vgpr11
.LBB7_1656:
	s_delay_alu instid0(SALU_CYCLE_1)
	s_and_not1_b32 vcc_lo, exec_lo, s6
	s_cbranch_vccnz .LBB7_1658
; %bb.1657:
	global_load_b32 v1, v[16:17], off
	s_wait_loadcnt 0x0
	v_cvt_f64_i32_e32 v[10:11], v1
.LBB7_1658:
	s_mov_b32 s6, 0
.LBB7_1659:
	s_delay_alu instid0(SALU_CYCLE_1)
	s_and_not1_b32 vcc_lo, exec_lo, s6
	s_cbranch_vccnz .LBB7_1661
; %bb.1660:
	global_load_i16 v1, v[16:17], off
	s_wait_loadcnt 0x0
	v_cvt_f64_i32_e32 v[10:11], v1
.LBB7_1661:
	s_mov_b32 s6, 0
.LBB7_1662:
	s_delay_alu instid0(SALU_CYCLE_1)
	s_and_not1_b32 vcc_lo, exec_lo, s6
	s_cbranch_vccnz .LBB7_1668
; %bb.1663:
	s_cmp_gt_i32 s0, 0
	s_mov_b32 s0, 0
	s_cbranch_scc0 .LBB7_1665
; %bb.1664:
	global_load_i8 v1, v[16:17], off
	s_wait_loadcnt 0x0
	v_cvt_f64_i32_e32 v[10:11], v1
	s_branch .LBB7_1666
.LBB7_1665:
	s_mov_b32 s0, -1
                                        ; implicit-def: $vgpr10_vgpr11
.LBB7_1666:
	s_delay_alu instid0(SALU_CYCLE_1)
	s_and_not1_b32 vcc_lo, exec_lo, s0
	s_cbranch_vccnz .LBB7_1668
; %bb.1667:
	global_load_u8 v1, v[16:17], off
	s_wait_loadcnt 0x0
	v_cvt_f64_u32_e32 v[10:11], v1
.LBB7_1668:
	s_mov_b32 s8, -1
.LBB7_1669:
	s_delay_alu instid0(SALU_CYCLE_1)
	s_and_not1_b32 vcc_lo, exec_lo, s8
	s_cbranch_vccnz .LBB7_2100
; %bb.1670:
	s_load_b96 s[8:10], s[2:3], 0x158
	s_mov_b32 s7, 0
	s_wait_loadcnt 0x0
	s_wait_kmcnt 0x0
	v_cmp_nge_f64_e64 s0, v[2:3], -s[8:9]
	v_cmp_nge_f64_e32 vcc_lo, s[8:9], v[2:3]
	s_and_b32 s6, s10, 0xff
	s_or_b32 vcc_lo, s0, vcc_lo
	v_mov_b32_e32 v1, 0
	s_cmp_lt_i32 s6, 11
	s_mov_b32 s0, -1
	s_delay_alu instid0(VALU_DEP_1)
	v_add_nc_u64_e32 v[16:17], s[4:5], v[0:1]
	v_dual_cndmask_b32 v1, 0, v3 :: v_dual_cndmask_b32 v0, 0, v2
	s_cbranch_scc1 .LBB7_1749
; %bb.1671:
	s_and_b32 s2, 0xffff, s6
	s_mov_b32 s10, -1
	s_mov_b32 s3, 0
	s_cmp_gt_i32 s2, 25
	s_mov_b32 s0, 0
	s_cbranch_scc0 .LBB7_1704
; %bb.1672:
	s_cmp_gt_i32 s2, 28
	s_cbranch_scc0 .LBB7_1687
; %bb.1673:
	s_cmp_gt_i32 s2, 43
	;; [unrolled: 3-line block ×3, first 2 shown]
	s_cbranch_scc0 .LBB7_1677
; %bb.1675:
	s_mov_b32 s0, -1
	s_mov_b32 s10, 0
	s_cmp_eq_u32 s2, 46
	s_cbranch_scc0 .LBB7_1677
; %bb.1676:
	v_cvt_f32_f64_e32 v2, v[0:1]
	s_mov_b32 s0, 0
	s_mov_b32 s7, -1
	s_delay_alu instid0(VALU_DEP_1) | instskip(SKIP_1) | instid1(VALU_DEP_2)
	v_bfe_u32 v3, v2, 16, 1
	v_cmp_o_f32_e32 vcc_lo, v2, v2
	v_add3_u32 v3, v2, v3, 0x7fff
	s_delay_alu instid0(VALU_DEP_1) | instskip(NEXT) | instid1(VALU_DEP_1)
	v_lshrrev_b32_e32 v3, 16, v3
	v_cndmask_b32_e32 v2, 0x7fc0, v3, vcc_lo
	global_store_b32 v[16:17], v2, off
.LBB7_1677:
	s_and_b32 vcc_lo, exec_lo, s10
	s_cbranch_vccz .LBB7_1682
; %bb.1678:
	s_cmp_eq_u32 s2, 44
	s_mov_b32 s0, -1
	s_cbranch_scc0 .LBB7_1682
; %bb.1679:
	s_wait_xcnt 0x0
	v_cvt_f32_f64_e32 v2, v[0:1]
	v_mov_b32_e32 v3, 0xff
	s_mov_b32 s7, exec_lo
	s_delay_alu instid0(VALU_DEP_2) | instskip(NEXT) | instid1(VALU_DEP_1)
	v_bfe_u32 v5, v2, 23, 8
	v_cmpx_ne_u32_e32 0xff, v5
	s_cbranch_execz .LBB7_1681
; %bb.1680:
	v_and_b32_e32 v3, 0x400000, v2
	v_and_or_b32 v5, 0x3fffff, v2, v5
	v_lshrrev_b32_e32 v2, 23, v2
	s_delay_alu instid0(VALU_DEP_3) | instskip(NEXT) | instid1(VALU_DEP_3)
	v_cmp_ne_u32_e32 vcc_lo, 0, v3
	v_cmp_ne_u32_e64 s0, 0, v5
	s_and_b32 s0, vcc_lo, s0
	s_delay_alu instid0(SALU_CYCLE_1) | instskip(NEXT) | instid1(VALU_DEP_1)
	v_cndmask_b32_e64 v3, 0, 1, s0
	v_add_nc_u32_e32 v3, v2, v3
.LBB7_1681:
	s_or_b32 exec_lo, exec_lo, s7
	s_mov_b32 s0, 0
	s_mov_b32 s7, -1
	global_store_b8 v[16:17], v3, off
.LBB7_1682:
	s_mov_b32 s10, 0
.LBB7_1683:
	s_delay_alu instid0(SALU_CYCLE_1)
	s_and_b32 vcc_lo, exec_lo, s10
	s_cbranch_vccz .LBB7_1686
; %bb.1684:
	s_cmp_eq_u32 s2, 29
	s_mov_b32 s0, -1
	s_cbranch_scc0 .LBB7_1686
; %bb.1685:
	s_wait_xcnt 0x0
	v_trunc_f64_e32 v[2:3], v[0:1]
	s_mov_b32 s0, 0
	s_mov_b32 s7, -1
	s_delay_alu instid0(VALU_DEP_1) | instskip(NEXT) | instid1(VALU_DEP_1)
	v_ldexp_f64 v[18:19], v[2:3], 0xffffffe0
	v_floor_f64_e32 v[18:19], v[18:19]
	s_delay_alu instid0(VALU_DEP_1) | instskip(SKIP_1) | instid1(VALU_DEP_2)
	v_fmamk_f64 v[2:3], v[18:19], 0xc1f00000, v[2:3]
	v_cvt_u32_f64_e32 v19, v[18:19]
	v_cvt_u32_f64_e32 v18, v[2:3]
	global_store_b64 v[16:17], v[18:19], off
.LBB7_1686:
	s_mov_b32 s10, 0
.LBB7_1687:
	s_delay_alu instid0(SALU_CYCLE_1)
	s_and_b32 vcc_lo, exec_lo, s10
	s_cbranch_vccz .LBB7_1703
; %bb.1688:
	s_cmp_lt_i32 s2, 27
	s_mov_b32 s7, -1
	s_cbranch_scc1 .LBB7_1694
; %bb.1689:
	s_wait_xcnt 0x0
	v_cvt_u32_f64_e32 v2, v[0:1]
	s_cmp_gt_i32 s2, 27
	s_cbranch_scc0 .LBB7_1691
; %bb.1690:
	s_mov_b32 s7, 0
	global_store_b32 v[16:17], v2, off
.LBB7_1691:
	s_and_not1_b32 vcc_lo, exec_lo, s7
	s_cbranch_vccnz .LBB7_1693
; %bb.1692:
	global_store_b16 v[16:17], v2, off
.LBB7_1693:
	s_mov_b32 s7, 0
.LBB7_1694:
	s_delay_alu instid0(SALU_CYCLE_1)
	s_and_not1_b32 vcc_lo, exec_lo, s7
	s_cbranch_vccnz .LBB7_1702
; %bb.1695:
	s_wait_xcnt 0x0
	v_cvt_f32_f64_e32 v2, v[0:1]
	v_mov_b32_e32 v5, 0x80
	s_mov_b32 s7, exec_lo
	s_delay_alu instid0(VALU_DEP_2) | instskip(NEXT) | instid1(VALU_DEP_1)
	v_and_b32_e32 v3, 0x7fffffff, v2
	v_cmpx_gt_u32_e32 0x43800000, v3
	s_cbranch_execz .LBB7_1701
; %bb.1696:
	v_cmp_lt_u32_e32 vcc_lo, 0x3bffffff, v3
	s_mov_b32 s10, 0
                                        ; implicit-def: $vgpr3
	s_and_saveexec_b32 s13, vcc_lo
	s_delay_alu instid0(SALU_CYCLE_1)
	s_xor_b32 s13, exec_lo, s13
	s_cbranch_execz .LBB7_2146
; %bb.1697:
	v_bfe_u32 v3, v2, 20, 1
	s_mov_b32 s10, exec_lo
	s_delay_alu instid0(VALU_DEP_1) | instskip(NEXT) | instid1(VALU_DEP_1)
	v_add3_u32 v3, v2, v3, 0x487ffff
	v_lshrrev_b32_e32 v3, 20, v3
	s_and_not1_saveexec_b32 s13, s13
	s_cbranch_execnz .LBB7_2147
.LBB7_1698:
	s_or_b32 exec_lo, exec_lo, s13
	v_mov_b32_e32 v5, 0
	s_and_saveexec_b32 s13, s10
.LBB7_1699:
	v_lshrrev_b32_e32 v2, 24, v2
	s_delay_alu instid0(VALU_DEP_1)
	v_and_or_b32 v5, 0x80, v2, v3
.LBB7_1700:
	s_or_b32 exec_lo, exec_lo, s13
.LBB7_1701:
	s_delay_alu instid0(SALU_CYCLE_1)
	s_or_b32 exec_lo, exec_lo, s7
	global_store_b8 v[16:17], v5, off
.LBB7_1702:
	s_mov_b32 s7, -1
.LBB7_1703:
	s_mov_b32 s10, 0
.LBB7_1704:
	s_delay_alu instid0(SALU_CYCLE_1)
	s_and_b32 vcc_lo, exec_lo, s10
	s_cbranch_vccz .LBB7_1744
; %bb.1705:
	s_cmp_gt_i32 s2, 22
	s_mov_b32 s3, -1
	s_cbranch_scc0 .LBB7_1737
; %bb.1706:
	s_cmp_lt_i32 s2, 24
	s_cbranch_scc1 .LBB7_1726
; %bb.1707:
	s_cmp_gt_i32 s2, 24
	s_cbranch_scc0 .LBB7_1715
; %bb.1708:
	s_wait_xcnt 0x0
	v_cvt_f32_f64_e32 v2, v[0:1]
	v_mov_b32_e32 v5, 0x80
	s_mov_b32 s3, exec_lo
	s_delay_alu instid0(VALU_DEP_2) | instskip(NEXT) | instid1(VALU_DEP_1)
	v_and_b32_e32 v3, 0x7fffffff, v2
	v_cmpx_gt_u32_e32 0x47800000, v3
	s_cbranch_execz .LBB7_1714
; %bb.1709:
	v_cmp_lt_u32_e32 vcc_lo, 0x37ffffff, v3
	s_mov_b32 s7, 0
                                        ; implicit-def: $vgpr3
	s_and_saveexec_b32 s10, vcc_lo
	s_delay_alu instid0(SALU_CYCLE_1)
	s_xor_b32 s10, exec_lo, s10
	s_cbranch_execz .LBB7_2149
; %bb.1710:
	v_bfe_u32 v3, v2, 21, 1
	s_mov_b32 s7, exec_lo
	s_delay_alu instid0(VALU_DEP_1) | instskip(NEXT) | instid1(VALU_DEP_1)
	v_add3_u32 v3, v2, v3, 0x88fffff
	v_lshrrev_b32_e32 v3, 21, v3
	s_and_not1_saveexec_b32 s10, s10
	s_cbranch_execnz .LBB7_2150
.LBB7_1711:
	s_or_b32 exec_lo, exec_lo, s10
	v_mov_b32_e32 v5, 0
	s_and_saveexec_b32 s10, s7
.LBB7_1712:
	v_lshrrev_b32_e32 v2, 24, v2
	s_delay_alu instid0(VALU_DEP_1)
	v_and_or_b32 v5, 0x80, v2, v3
.LBB7_1713:
	s_or_b32 exec_lo, exec_lo, s10
.LBB7_1714:
	s_delay_alu instid0(SALU_CYCLE_1)
	s_or_b32 exec_lo, exec_lo, s3
	s_mov_b32 s3, 0
	global_store_b8 v[16:17], v5, off
.LBB7_1715:
	s_and_b32 vcc_lo, exec_lo, s3
	s_cbranch_vccz .LBB7_1725
; %bb.1716:
	s_wait_xcnt 0x0
	v_cvt_f32_f64_e32 v2, v[0:1]
	s_mov_b32 s3, exec_lo
                                        ; implicit-def: $vgpr3
	s_delay_alu instid0(VALU_DEP_1) | instskip(NEXT) | instid1(VALU_DEP_1)
	v_and_b32_e32 v5, 0x7fffffff, v2
	v_cmpx_gt_u32_e32 0x43f00000, v5
	s_xor_b32 s3, exec_lo, s3
	s_cbranch_execz .LBB7_1722
; %bb.1717:
	s_mov_b32 s7, exec_lo
                                        ; implicit-def: $vgpr3
	v_cmpx_lt_u32_e32 0x3c7fffff, v5
	s_xor_b32 s7, exec_lo, s7
; %bb.1718:
	v_bfe_u32 v3, v2, 20, 1
	s_delay_alu instid0(VALU_DEP_1) | instskip(NEXT) | instid1(VALU_DEP_1)
	v_add3_u32 v3, v2, v3, 0x407ffff
	v_and_b32_e32 v5, 0xff00000, v3
	v_lshrrev_b32_e32 v3, 20, v3
	s_delay_alu instid0(VALU_DEP_2) | instskip(NEXT) | instid1(VALU_DEP_2)
	v_cmp_ne_u32_e32 vcc_lo, 0x7f00000, v5
	v_cndmask_b32_e32 v3, 0x7e, v3, vcc_lo
; %bb.1719:
	s_and_not1_saveexec_b32 s7, s7
; %bb.1720:
	v_add_f32_e64 v3, 0x46800000, |v2|
; %bb.1721:
	s_or_b32 exec_lo, exec_lo, s7
                                        ; implicit-def: $vgpr5
.LBB7_1722:
	s_and_not1_saveexec_b32 s3, s3
; %bb.1723:
	v_mov_b32_e32 v3, 0x7f
	v_cmp_lt_u32_e32 vcc_lo, 0x7f800000, v5
	s_delay_alu instid0(VALU_DEP_2)
	v_cndmask_b32_e32 v3, 0x7e, v3, vcc_lo
; %bb.1724:
	s_or_b32 exec_lo, exec_lo, s3
	v_lshrrev_b32_e32 v2, 24, v2
	s_delay_alu instid0(VALU_DEP_1)
	v_and_or_b32 v2, 0x80, v2, v3
	global_store_b8 v[16:17], v2, off
.LBB7_1725:
	s_mov_b32 s3, 0
.LBB7_1726:
	s_delay_alu instid0(SALU_CYCLE_1)
	s_and_not1_b32 vcc_lo, exec_lo, s3
	s_cbranch_vccnz .LBB7_1736
; %bb.1727:
	s_wait_xcnt 0x0
	v_cvt_f32_f64_e32 v2, v[0:1]
	s_mov_b32 s3, exec_lo
                                        ; implicit-def: $vgpr3
	s_delay_alu instid0(VALU_DEP_1) | instskip(NEXT) | instid1(VALU_DEP_1)
	v_and_b32_e32 v5, 0x7fffffff, v2
	v_cmpx_gt_u32_e32 0x47800000, v5
	s_xor_b32 s3, exec_lo, s3
	s_cbranch_execz .LBB7_1733
; %bb.1728:
	s_mov_b32 s7, exec_lo
                                        ; implicit-def: $vgpr3
	v_cmpx_lt_u32_e32 0x387fffff, v5
	s_xor_b32 s7, exec_lo, s7
; %bb.1729:
	v_bfe_u32 v3, v2, 21, 1
	s_delay_alu instid0(VALU_DEP_1) | instskip(NEXT) | instid1(VALU_DEP_1)
	v_add3_u32 v3, v2, v3, 0x80fffff
	v_lshrrev_b32_e32 v3, 21, v3
; %bb.1730:
	s_and_not1_saveexec_b32 s7, s7
; %bb.1731:
	v_add_f32_e64 v3, 0x43000000, |v2|
; %bb.1732:
	s_or_b32 exec_lo, exec_lo, s7
                                        ; implicit-def: $vgpr5
.LBB7_1733:
	s_and_not1_saveexec_b32 s3, s3
; %bb.1734:
	v_mov_b32_e32 v3, 0x7f
	v_cmp_lt_u32_e32 vcc_lo, 0x7f800000, v5
	s_delay_alu instid0(VALU_DEP_2)
	v_cndmask_b32_e32 v3, 0x7c, v3, vcc_lo
; %bb.1735:
	s_or_b32 exec_lo, exec_lo, s3
	v_lshrrev_b32_e32 v2, 24, v2
	s_delay_alu instid0(VALU_DEP_1)
	v_and_or_b32 v2, 0x80, v2, v3
	global_store_b8 v[16:17], v2, off
.LBB7_1736:
	s_mov_b32 s3, 0
	s_mov_b32 s7, -1
.LBB7_1737:
	s_and_not1_b32 vcc_lo, exec_lo, s3
	s_mov_b32 s3, 0
	s_cbranch_vccnz .LBB7_1744
; %bb.1738:
	s_cmp_gt_i32 s2, 14
	s_mov_b32 s3, -1
	s_cbranch_scc0 .LBB7_1742
; %bb.1739:
	s_cmp_eq_u32 s2, 15
	s_mov_b32 s0, -1
	s_cbranch_scc0 .LBB7_1741
; %bb.1740:
	s_wait_xcnt 0x0
	v_cvt_f32_f64_e32 v2, v[0:1]
	s_mov_b32 s0, 0
	s_mov_b32 s7, -1
	s_delay_alu instid0(VALU_DEP_1) | instskip(SKIP_1) | instid1(VALU_DEP_2)
	v_bfe_u32 v3, v2, 16, 1
	v_cmp_o_f32_e32 vcc_lo, v2, v2
	v_add3_u32 v3, v2, v3, 0x7fff
	s_delay_alu instid0(VALU_DEP_1) | instskip(NEXT) | instid1(VALU_DEP_1)
	v_lshrrev_b32_e32 v3, 16, v3
	v_cndmask_b32_e32 v2, 0x7fc0, v3, vcc_lo
	global_store_b16 v[16:17], v2, off
.LBB7_1741:
	s_mov_b32 s3, 0
.LBB7_1742:
	s_delay_alu instid0(SALU_CYCLE_1)
	s_and_b32 vcc_lo, exec_lo, s3
	s_mov_b32 s3, 0
	s_cbranch_vccz .LBB7_1744
; %bb.1743:
	s_cmp_lg_u32 s2, 11
	s_mov_b32 s3, -1
	s_cselect_b32 s0, -1, 0
.LBB7_1744:
	s_delay_alu instid0(SALU_CYCLE_1)
	s_and_b32 vcc_lo, exec_lo, s0
	s_cbranch_vccnz .LBB7_2148
; %bb.1745:
	s_and_not1_b32 vcc_lo, exec_lo, s3
	s_cbranch_vccnz .LBB7_1747
.LBB7_1746:
	v_cmp_neq_f64_e32 vcc_lo, 0, v[0:1]
	s_mov_b32 s7, -1
	s_wait_xcnt 0x0
	v_cndmask_b32_e64 v2, 0, 1, vcc_lo
	global_store_b8 v[16:17], v2, off
.LBB7_1747:
.LBB7_1748:
	s_and_not1_b32 vcc_lo, exec_lo, s7
	s_cbranch_vccz .LBB7_1788
	s_branch .LBB7_2100
.LBB7_1749:
	s_and_b32 vcc_lo, exec_lo, s0
	s_cbranch_vccz .LBB7_1748
; %bb.1750:
	s_and_b32 s0, 0xffff, s6
	s_mov_b32 s2, -1
	s_cmp_lt_i32 s0, 5
	s_cbranch_scc1 .LBB7_1771
; %bb.1751:
	s_cmp_lt_i32 s0, 8
	s_cbranch_scc1 .LBB7_1761
; %bb.1752:
	;; [unrolled: 3-line block ×3, first 2 shown]
	s_cmp_gt_i32 s0, 9
	s_cbranch_scc0 .LBB7_1755
; %bb.1754:
	s_wait_xcnt 0x0
	v_mov_b32_e32 v2, 0
	s_mov_b32 s2, 0
	s_delay_alu instid0(VALU_DEP_1)
	v_mov_b32_e32 v3, v2
	global_store_b128 v[16:17], v[0:3], off
.LBB7_1755:
	s_and_not1_b32 vcc_lo, exec_lo, s2
	s_cbranch_vccnz .LBB7_1757
; %bb.1756:
	s_wait_xcnt 0x0
	v_cvt_f32_f64_e32 v2, v[0:1]
	v_mov_b32_e32 v3, 0
	global_store_b64 v[16:17], v[2:3], off
.LBB7_1757:
	s_mov_b32 s2, 0
.LBB7_1758:
	s_delay_alu instid0(SALU_CYCLE_1)
	s_and_not1_b32 vcc_lo, exec_lo, s2
	s_cbranch_vccnz .LBB7_1760
; %bb.1759:
	s_wait_xcnt 0x0
	v_and_or_b32 v2, 0x1ff, v1, v0
	v_lshrrev_b32_e32 v3, 8, v1
	v_bfe_u32 v5, v1, 20, 11
	s_delay_alu instid0(VALU_DEP_3) | instskip(NEXT) | instid1(VALU_DEP_2)
	v_cmp_ne_u32_e32 vcc_lo, 0, v2
	v_sub_nc_u32_e32 v7, 0x3f1, v5
	v_add_nc_u32_e32 v5, 0xfffffc10, v5
	v_cndmask_b32_e64 v2, 0, 1, vcc_lo
	s_delay_alu instid0(VALU_DEP_1) | instskip(NEXT) | instid1(VALU_DEP_4)
	v_and_or_b32 v2, 0xffe, v3, v2
	v_med3_i32 v3, v7, 0, 13
	s_delay_alu instid0(VALU_DEP_2) | instskip(NEXT) | instid1(VALU_DEP_1)
	v_or_b32_e32 v7, 0x1000, v2
	v_lshrrev_b32_e32 v9, v3, v7
	s_delay_alu instid0(VALU_DEP_1) | instskip(NEXT) | instid1(VALU_DEP_1)
	v_lshlrev_b32_e32 v3, v3, v9
	v_cmp_ne_u32_e32 vcc_lo, v3, v7
	v_lshl_or_b32 v7, v5, 12, v2
	v_cndmask_b32_e64 v3, 0, 1, vcc_lo
	v_cmp_gt_i32_e32 vcc_lo, 1, v5
	s_delay_alu instid0(VALU_DEP_2) | instskip(NEXT) | instid1(VALU_DEP_1)
	v_or_b32_e32 v3, v9, v3
	v_cndmask_b32_e32 v3, v7, v3, vcc_lo
	s_delay_alu instid0(VALU_DEP_1) | instskip(NEXT) | instid1(VALU_DEP_1)
	v_and_b32_e32 v7, 7, v3
	v_cmp_lt_i32_e32 vcc_lo, 5, v7
	v_cndmask_b32_e64 v9, 0, 1, vcc_lo
	v_cmp_eq_u32_e32 vcc_lo, 3, v7
	v_cndmask_b32_e64 v7, 0, 1, vcc_lo
	v_cmp_ne_u32_e32 vcc_lo, 0, v2
	s_delay_alu instid0(VALU_DEP_2) | instskip(SKIP_1) | instid1(VALU_DEP_1)
	v_dual_lshrrev_b32 v3, 2, v3 :: v_dual_bitop2_b32 v7, v7, v9 bitop3:0x54
	v_mov_b32_e32 v9, 0x7e00
	v_dual_cndmask_b32 v2, 0x7c00, v9 :: v_dual_add_nc_u32 v3, v3, v7
	v_cmp_gt_i32_e32 vcc_lo, 31, v5
	v_lshrrev_b32_e32 v7, 16, v1
	s_delay_alu instid0(VALU_DEP_3) | instskip(SKIP_1) | instid1(VALU_DEP_2)
	v_cndmask_b32_e32 v3, 0x7c00, v3, vcc_lo
	v_cmp_eq_u32_e32 vcc_lo, 0x40f, v5
	v_cndmask_b32_e32 v2, v3, v2, vcc_lo
	s_delay_alu instid0(VALU_DEP_4) | instskip(NEXT) | instid1(VALU_DEP_1)
	v_and_b32_e32 v3, 0x8000, v7
	v_bitop3_b32 v2, v3, 0xffff, v2 bitop3:0xc8
	global_store_b32 v[16:17], v2, off
.LBB7_1760:
	s_mov_b32 s2, 0
.LBB7_1761:
	s_delay_alu instid0(SALU_CYCLE_1)
	s_and_not1_b32 vcc_lo, exec_lo, s2
	s_cbranch_vccnz .LBB7_1770
; %bb.1762:
	s_cmp_lt_i32 s0, 6
	s_mov_b32 s2, -1
	s_cbranch_scc1 .LBB7_1768
; %bb.1763:
	s_cmp_gt_i32 s0, 6
	s_cbranch_scc0 .LBB7_1765
; %bb.1764:
	s_mov_b32 s2, 0
	global_store_b64 v[16:17], v[0:1], off
.LBB7_1765:
	s_and_not1_b32 vcc_lo, exec_lo, s2
	s_cbranch_vccnz .LBB7_1767
; %bb.1766:
	s_wait_xcnt 0x0
	v_cvt_f32_f64_e32 v2, v[0:1]
	global_store_b32 v[16:17], v2, off
.LBB7_1767:
	s_mov_b32 s2, 0
.LBB7_1768:
	s_delay_alu instid0(SALU_CYCLE_1)
	s_and_not1_b32 vcc_lo, exec_lo, s2
	s_cbranch_vccnz .LBB7_1770
; %bb.1769:
	s_wait_xcnt 0x0
	v_and_or_b32 v2, 0x1ff, v1, v0
	v_lshrrev_b32_e32 v3, 8, v1
	v_bfe_u32 v5, v1, 20, 11
	s_delay_alu instid0(VALU_DEP_3) | instskip(NEXT) | instid1(VALU_DEP_2)
	v_cmp_ne_u32_e32 vcc_lo, 0, v2
	v_sub_nc_u32_e32 v7, 0x3f1, v5
	v_add_nc_u32_e32 v5, 0xfffffc10, v5
	v_cndmask_b32_e64 v2, 0, 1, vcc_lo
	s_delay_alu instid0(VALU_DEP_1) | instskip(NEXT) | instid1(VALU_DEP_4)
	v_and_or_b32 v2, 0xffe, v3, v2
	v_med3_i32 v3, v7, 0, 13
	s_delay_alu instid0(VALU_DEP_2) | instskip(NEXT) | instid1(VALU_DEP_1)
	v_or_b32_e32 v7, 0x1000, v2
	v_lshrrev_b32_e32 v9, v3, v7
	s_delay_alu instid0(VALU_DEP_1) | instskip(NEXT) | instid1(VALU_DEP_1)
	v_lshlrev_b32_e32 v3, v3, v9
	v_cmp_ne_u32_e32 vcc_lo, v3, v7
	v_lshl_or_b32 v7, v5, 12, v2
	v_cndmask_b32_e64 v3, 0, 1, vcc_lo
	v_cmp_gt_i32_e32 vcc_lo, 1, v5
	s_delay_alu instid0(VALU_DEP_2) | instskip(NEXT) | instid1(VALU_DEP_1)
	v_or_b32_e32 v3, v9, v3
	v_cndmask_b32_e32 v3, v7, v3, vcc_lo
	s_delay_alu instid0(VALU_DEP_1) | instskip(NEXT) | instid1(VALU_DEP_1)
	v_and_b32_e32 v7, 7, v3
	v_cmp_lt_i32_e32 vcc_lo, 5, v7
	v_cndmask_b32_e64 v9, 0, 1, vcc_lo
	v_cmp_eq_u32_e32 vcc_lo, 3, v7
	v_cndmask_b32_e64 v7, 0, 1, vcc_lo
	v_cmp_ne_u32_e32 vcc_lo, 0, v2
	s_delay_alu instid0(VALU_DEP_2) | instskip(SKIP_1) | instid1(VALU_DEP_1)
	v_dual_lshrrev_b32 v3, 2, v3 :: v_dual_bitop2_b32 v7, v7, v9 bitop3:0x54
	v_mov_b32_e32 v9, 0x7e00
	v_dual_cndmask_b32 v2, 0x7c00, v9 :: v_dual_add_nc_u32 v3, v3, v7
	v_cmp_gt_i32_e32 vcc_lo, 31, v5
	s_delay_alu instid0(VALU_DEP_2) | instskip(SKIP_1) | instid1(VALU_DEP_2)
	v_cndmask_b32_e32 v3, 0x7c00, v3, vcc_lo
	v_cmp_eq_u32_e32 vcc_lo, 0x40f, v5
	v_dual_cndmask_b32 v2, v3, v2 :: v_dual_lshrrev_b32 v3, 16, v1
	s_delay_alu instid0(VALU_DEP_1)
	v_and_or_b32 v2, 0x8000, v3, v2
	global_store_b16 v[16:17], v2, off
.LBB7_1770:
	s_mov_b32 s2, 0
.LBB7_1771:
	s_delay_alu instid0(SALU_CYCLE_1)
	s_and_not1_b32 vcc_lo, exec_lo, s2
	s_cbranch_vccnz .LBB7_1787
; %bb.1772:
	s_cmp_lt_i32 s0, 2
	s_mov_b32 s2, -1
	s_cbranch_scc1 .LBB7_1782
; %bb.1773:
	s_cmp_lt_i32 s0, 3
	s_cbranch_scc1 .LBB7_1779
; %bb.1774:
	s_cmp_gt_i32 s0, 3
	s_cbranch_scc0 .LBB7_1776
; %bb.1775:
	s_wait_xcnt 0x0
	v_trunc_f64_e32 v[2:3], v[0:1]
	s_mov_b32 s2, 0
	s_delay_alu instid0(VALU_DEP_1) | instskip(NEXT) | instid1(VALU_DEP_1)
	v_ldexp_f64 v[18:19], v[2:3], 0xffffffe0
	v_floor_f64_e32 v[18:19], v[18:19]
	s_delay_alu instid0(VALU_DEP_1) | instskip(SKIP_1) | instid1(VALU_DEP_2)
	v_fmamk_f64 v[2:3], v[18:19], 0xc1f00000, v[2:3]
	v_cvt_i32_f64_e32 v19, v[18:19]
	v_cvt_u32_f64_e32 v18, v[2:3]
	global_store_b64 v[16:17], v[18:19], off
.LBB7_1776:
	s_and_not1_b32 vcc_lo, exec_lo, s2
	s_cbranch_vccnz .LBB7_1778
; %bb.1777:
	s_wait_xcnt 0x0
	v_cvt_i32_f64_e32 v2, v[0:1]
	global_store_b32 v[16:17], v2, off
.LBB7_1778:
	s_mov_b32 s2, 0
.LBB7_1779:
	s_delay_alu instid0(SALU_CYCLE_1)
	s_and_not1_b32 vcc_lo, exec_lo, s2
	s_cbranch_vccnz .LBB7_1781
; %bb.1780:
	s_wait_xcnt 0x0
	v_cvt_i32_f64_e32 v2, v[0:1]
	global_store_b16 v[16:17], v2, off
.LBB7_1781:
	s_mov_b32 s2, 0
.LBB7_1782:
	s_delay_alu instid0(SALU_CYCLE_1)
	s_and_not1_b32 vcc_lo, exec_lo, s2
	s_cbranch_vccnz .LBB7_1787
; %bb.1783:
	s_cmp_gt_i32 s0, 0
	s_mov_b32 s0, -1
	s_cbranch_scc0 .LBB7_1785
; %bb.1784:
	s_wait_xcnt 0x0
	v_cvt_i32_f64_e32 v2, v[0:1]
	s_mov_b32 s0, 0
	global_store_b8 v[16:17], v2, off
.LBB7_1785:
	s_and_not1_b32 vcc_lo, exec_lo, s0
	s_cbranch_vccnz .LBB7_1787
; %bb.1786:
	s_wait_xcnt 0x0
	v_trunc_f64_e32 v[0:1], v[0:1]
	s_delay_alu instid0(VALU_DEP_1) | instskip(NEXT) | instid1(VALU_DEP_1)
	v_ldexp_f64 v[2:3], v[0:1], 0xffffffe0
	v_floor_f64_e32 v[2:3], v[2:3]
	s_delay_alu instid0(VALU_DEP_1) | instskip(NEXT) | instid1(VALU_DEP_1)
	v_fmamk_f64 v[0:1], v[2:3], 0xc1f00000, v[0:1]
	v_cvt_u32_f64_e32 v0, v[0:1]
	global_store_b8 v[16:17], v0, off
.LBB7_1787:
.LBB7_1788:
	v_cmp_nge_f64_e64 s0, v[14:15], -s[8:9]
	v_cmp_nge_f64_e32 vcc_lo, s[8:9], v[14:15]
	s_and_b32 s2, 0xffff, s6
	s_mov_b32 s7, 0
	s_or_b32 vcc_lo, s0, vcc_lo
	s_wait_xcnt 0x0
	v_dual_mov_b32 v9, 0 :: v_dual_cndmask_b32 v1, 0, v15, vcc_lo
	v_cndmask_b32_e32 v0, 0, v14, vcc_lo
	s_cmp_lt_i32 s2, 11
	s_mov_b32 s0, -1
	s_delay_alu instid0(VALU_DEP_2)
	v_add_nc_u64_e32 v[8:9], s[4:5], v[8:9]
	s_cbranch_scc1 .LBB7_1867
; %bb.1789:
	s_mov_b32 s10, -1
	s_mov_b32 s3, 0
	s_cmp_gt_i32 s2, 25
	s_mov_b32 s0, 0
	s_cbranch_scc0 .LBB7_1822
; %bb.1790:
	s_cmp_gt_i32 s2, 28
	s_cbranch_scc0 .LBB7_1805
; %bb.1791:
	s_cmp_gt_i32 s2, 43
	;; [unrolled: 3-line block ×3, first 2 shown]
	s_cbranch_scc0 .LBB7_1795
; %bb.1793:
	s_mov_b32 s0, -1
	s_mov_b32 s10, 0
	s_cmp_eq_u32 s2, 46
	s_cbranch_scc0 .LBB7_1795
; %bb.1794:
	v_cvt_f32_f64_e32 v2, v[0:1]
	s_mov_b32 s0, 0
	s_mov_b32 s7, -1
	s_delay_alu instid0(VALU_DEP_1) | instskip(SKIP_1) | instid1(VALU_DEP_2)
	v_bfe_u32 v3, v2, 16, 1
	v_cmp_o_f32_e32 vcc_lo, v2, v2
	v_add3_u32 v3, v2, v3, 0x7fff
	s_delay_alu instid0(VALU_DEP_1) | instskip(NEXT) | instid1(VALU_DEP_1)
	v_lshrrev_b32_e32 v3, 16, v3
	v_cndmask_b32_e32 v2, 0x7fc0, v3, vcc_lo
	global_store_b32 v[8:9], v2, off
.LBB7_1795:
	s_and_b32 vcc_lo, exec_lo, s10
	s_cbranch_vccz .LBB7_1800
; %bb.1796:
	s_cmp_eq_u32 s2, 44
	s_mov_b32 s0, -1
	s_cbranch_scc0 .LBB7_1800
; %bb.1797:
	s_wait_xcnt 0x0
	v_cvt_f32_f64_e32 v2, v[0:1]
	v_mov_b32_e32 v3, 0xff
	s_mov_b32 s7, exec_lo
	s_delay_alu instid0(VALU_DEP_2) | instskip(NEXT) | instid1(VALU_DEP_1)
	v_bfe_u32 v5, v2, 23, 8
	v_cmpx_ne_u32_e32 0xff, v5
	s_cbranch_execz .LBB7_1799
; %bb.1798:
	v_and_b32_e32 v3, 0x400000, v2
	v_and_or_b32 v5, 0x3fffff, v2, v5
	v_lshrrev_b32_e32 v2, 23, v2
	s_delay_alu instid0(VALU_DEP_3) | instskip(NEXT) | instid1(VALU_DEP_3)
	v_cmp_ne_u32_e32 vcc_lo, 0, v3
	v_cmp_ne_u32_e64 s0, 0, v5
	s_and_b32 s0, vcc_lo, s0
	s_delay_alu instid0(SALU_CYCLE_1) | instskip(NEXT) | instid1(VALU_DEP_1)
	v_cndmask_b32_e64 v3, 0, 1, s0
	v_add_nc_u32_e32 v3, v2, v3
.LBB7_1799:
	s_or_b32 exec_lo, exec_lo, s7
	s_mov_b32 s0, 0
	s_mov_b32 s7, -1
	global_store_b8 v[8:9], v3, off
.LBB7_1800:
	s_mov_b32 s10, 0
.LBB7_1801:
	s_delay_alu instid0(SALU_CYCLE_1)
	s_and_b32 vcc_lo, exec_lo, s10
	s_cbranch_vccz .LBB7_1804
; %bb.1802:
	s_cmp_eq_u32 s2, 29
	s_mov_b32 s0, -1
	s_cbranch_scc0 .LBB7_1804
; %bb.1803:
	s_wait_xcnt 0x0
	v_trunc_f64_e32 v[2:3], v[0:1]
	s_mov_b32 s0, 0
	s_mov_b32 s7, -1
	s_delay_alu instid0(VALU_DEP_1) | instskip(NEXT) | instid1(VALU_DEP_1)
	v_ldexp_f64 v[14:15], v[2:3], 0xffffffe0
	v_floor_f64_e32 v[14:15], v[14:15]
	s_delay_alu instid0(VALU_DEP_1) | instskip(SKIP_1) | instid1(VALU_DEP_2)
	v_fmamk_f64 v[2:3], v[14:15], 0xc1f00000, v[2:3]
	v_cvt_u32_f64_e32 v15, v[14:15]
	v_cvt_u32_f64_e32 v14, v[2:3]
	global_store_b64 v[8:9], v[14:15], off
.LBB7_1804:
	s_mov_b32 s10, 0
.LBB7_1805:
	s_delay_alu instid0(SALU_CYCLE_1)
	s_and_b32 vcc_lo, exec_lo, s10
	s_cbranch_vccz .LBB7_1821
; %bb.1806:
	s_cmp_lt_i32 s2, 27
	s_mov_b32 s7, -1
	s_cbranch_scc1 .LBB7_1812
; %bb.1807:
	s_cmp_gt_i32 s2, 27
	s_cbranch_scc0 .LBB7_1809
; %bb.1808:
	s_wait_xcnt 0x0
	v_cvt_u32_f64_e32 v2, v[0:1]
	s_mov_b32 s7, 0
	global_store_b32 v[8:9], v2, off
.LBB7_1809:
	s_and_not1_b32 vcc_lo, exec_lo, s7
	s_cbranch_vccnz .LBB7_1811
; %bb.1810:
	s_wait_xcnt 0x0
	v_cvt_u32_f64_e32 v2, v[0:1]
	global_store_b16 v[8:9], v2, off
.LBB7_1811:
	s_mov_b32 s7, 0
.LBB7_1812:
	s_delay_alu instid0(SALU_CYCLE_1)
	s_and_not1_b32 vcc_lo, exec_lo, s7
	s_cbranch_vccnz .LBB7_1820
; %bb.1813:
	s_wait_xcnt 0x0
	v_cvt_f32_f64_e32 v2, v[0:1]
	v_mov_b32_e32 v5, 0x80
	s_mov_b32 s7, exec_lo
	s_delay_alu instid0(VALU_DEP_2) | instskip(NEXT) | instid1(VALU_DEP_1)
	v_and_b32_e32 v3, 0x7fffffff, v2
	v_cmpx_gt_u32_e32 0x43800000, v3
	s_cbranch_execz .LBB7_1819
; %bb.1814:
	v_cmp_lt_u32_e32 vcc_lo, 0x3bffffff, v3
	s_mov_b32 s10, 0
                                        ; implicit-def: $vgpr3
	s_and_saveexec_b32 s13, vcc_lo
	s_delay_alu instid0(SALU_CYCLE_1)
	s_xor_b32 s13, exec_lo, s13
	s_cbranch_execz .LBB7_2151
; %bb.1815:
	v_bfe_u32 v3, v2, 20, 1
	s_mov_b32 s10, exec_lo
	s_delay_alu instid0(VALU_DEP_1) | instskip(NEXT) | instid1(VALU_DEP_1)
	v_add3_u32 v3, v2, v3, 0x487ffff
	v_lshrrev_b32_e32 v3, 20, v3
	s_and_not1_saveexec_b32 s13, s13
	s_cbranch_execnz .LBB7_2152
.LBB7_1816:
	s_or_b32 exec_lo, exec_lo, s13
	v_mov_b32_e32 v5, 0
	s_and_saveexec_b32 s13, s10
.LBB7_1817:
	v_lshrrev_b32_e32 v2, 24, v2
	s_delay_alu instid0(VALU_DEP_1)
	v_and_or_b32 v5, 0x80, v2, v3
.LBB7_1818:
	s_or_b32 exec_lo, exec_lo, s13
.LBB7_1819:
	s_delay_alu instid0(SALU_CYCLE_1)
	s_or_b32 exec_lo, exec_lo, s7
	global_store_b8 v[8:9], v5, off
.LBB7_1820:
	s_mov_b32 s7, -1
.LBB7_1821:
	s_mov_b32 s10, 0
.LBB7_1822:
	s_delay_alu instid0(SALU_CYCLE_1)
	s_and_b32 vcc_lo, exec_lo, s10
	s_cbranch_vccz .LBB7_1862
; %bb.1823:
	s_cmp_gt_i32 s2, 22
	s_mov_b32 s3, -1
	s_cbranch_scc0 .LBB7_1855
; %bb.1824:
	s_cmp_lt_i32 s2, 24
	s_cbranch_scc1 .LBB7_1844
; %bb.1825:
	s_cmp_gt_i32 s2, 24
	s_cbranch_scc0 .LBB7_1833
; %bb.1826:
	s_wait_xcnt 0x0
	v_cvt_f32_f64_e32 v2, v[0:1]
	v_mov_b32_e32 v5, 0x80
	s_mov_b32 s3, exec_lo
	s_delay_alu instid0(VALU_DEP_2) | instskip(NEXT) | instid1(VALU_DEP_1)
	v_and_b32_e32 v3, 0x7fffffff, v2
	v_cmpx_gt_u32_e32 0x47800000, v3
	s_cbranch_execz .LBB7_1832
; %bb.1827:
	v_cmp_lt_u32_e32 vcc_lo, 0x37ffffff, v3
	s_mov_b32 s7, 0
                                        ; implicit-def: $vgpr3
	s_and_saveexec_b32 s10, vcc_lo
	s_delay_alu instid0(SALU_CYCLE_1)
	s_xor_b32 s10, exec_lo, s10
	s_cbranch_execz .LBB7_2154
; %bb.1828:
	v_bfe_u32 v3, v2, 21, 1
	s_mov_b32 s7, exec_lo
	s_delay_alu instid0(VALU_DEP_1) | instskip(NEXT) | instid1(VALU_DEP_1)
	v_add3_u32 v3, v2, v3, 0x88fffff
	v_lshrrev_b32_e32 v3, 21, v3
	s_and_not1_saveexec_b32 s10, s10
	s_cbranch_execnz .LBB7_2155
.LBB7_1829:
	s_or_b32 exec_lo, exec_lo, s10
	v_mov_b32_e32 v5, 0
	s_and_saveexec_b32 s10, s7
.LBB7_1830:
	v_lshrrev_b32_e32 v2, 24, v2
	s_delay_alu instid0(VALU_DEP_1)
	v_and_or_b32 v5, 0x80, v2, v3
.LBB7_1831:
	s_or_b32 exec_lo, exec_lo, s10
.LBB7_1832:
	s_delay_alu instid0(SALU_CYCLE_1)
	s_or_b32 exec_lo, exec_lo, s3
	s_mov_b32 s3, 0
	global_store_b8 v[8:9], v5, off
.LBB7_1833:
	s_and_b32 vcc_lo, exec_lo, s3
	s_cbranch_vccz .LBB7_1843
; %bb.1834:
	s_wait_xcnt 0x0
	v_cvt_f32_f64_e32 v2, v[0:1]
	s_mov_b32 s3, exec_lo
                                        ; implicit-def: $vgpr3
	s_delay_alu instid0(VALU_DEP_1) | instskip(NEXT) | instid1(VALU_DEP_1)
	v_and_b32_e32 v5, 0x7fffffff, v2
	v_cmpx_gt_u32_e32 0x43f00000, v5
	s_xor_b32 s3, exec_lo, s3
	s_cbranch_execz .LBB7_1840
; %bb.1835:
	s_mov_b32 s7, exec_lo
                                        ; implicit-def: $vgpr3
	v_cmpx_lt_u32_e32 0x3c7fffff, v5
	s_xor_b32 s7, exec_lo, s7
; %bb.1836:
	v_bfe_u32 v3, v2, 20, 1
	s_delay_alu instid0(VALU_DEP_1) | instskip(NEXT) | instid1(VALU_DEP_1)
	v_add3_u32 v3, v2, v3, 0x407ffff
	v_and_b32_e32 v5, 0xff00000, v3
	v_lshrrev_b32_e32 v3, 20, v3
	s_delay_alu instid0(VALU_DEP_2) | instskip(NEXT) | instid1(VALU_DEP_2)
	v_cmp_ne_u32_e32 vcc_lo, 0x7f00000, v5
	v_cndmask_b32_e32 v3, 0x7e, v3, vcc_lo
; %bb.1837:
	s_and_not1_saveexec_b32 s7, s7
; %bb.1838:
	v_add_f32_e64 v3, 0x46800000, |v2|
; %bb.1839:
	s_or_b32 exec_lo, exec_lo, s7
                                        ; implicit-def: $vgpr5
.LBB7_1840:
	s_and_not1_saveexec_b32 s3, s3
; %bb.1841:
	v_mov_b32_e32 v3, 0x7f
	v_cmp_lt_u32_e32 vcc_lo, 0x7f800000, v5
	s_delay_alu instid0(VALU_DEP_2)
	v_cndmask_b32_e32 v3, 0x7e, v3, vcc_lo
; %bb.1842:
	s_or_b32 exec_lo, exec_lo, s3
	v_lshrrev_b32_e32 v2, 24, v2
	s_delay_alu instid0(VALU_DEP_1)
	v_and_or_b32 v2, 0x80, v2, v3
	global_store_b8 v[8:9], v2, off
.LBB7_1843:
	s_mov_b32 s3, 0
.LBB7_1844:
	s_delay_alu instid0(SALU_CYCLE_1)
	s_and_not1_b32 vcc_lo, exec_lo, s3
	s_cbranch_vccnz .LBB7_1854
; %bb.1845:
	s_wait_xcnt 0x0
	v_cvt_f32_f64_e32 v2, v[0:1]
	s_mov_b32 s3, exec_lo
                                        ; implicit-def: $vgpr3
	s_delay_alu instid0(VALU_DEP_1) | instskip(NEXT) | instid1(VALU_DEP_1)
	v_and_b32_e32 v5, 0x7fffffff, v2
	v_cmpx_gt_u32_e32 0x47800000, v5
	s_xor_b32 s3, exec_lo, s3
	s_cbranch_execz .LBB7_1851
; %bb.1846:
	s_mov_b32 s7, exec_lo
                                        ; implicit-def: $vgpr3
	v_cmpx_lt_u32_e32 0x387fffff, v5
	s_xor_b32 s7, exec_lo, s7
; %bb.1847:
	v_bfe_u32 v3, v2, 21, 1
	s_delay_alu instid0(VALU_DEP_1) | instskip(NEXT) | instid1(VALU_DEP_1)
	v_add3_u32 v3, v2, v3, 0x80fffff
	v_lshrrev_b32_e32 v3, 21, v3
; %bb.1848:
	s_and_not1_saveexec_b32 s7, s7
; %bb.1849:
	v_add_f32_e64 v3, 0x43000000, |v2|
; %bb.1850:
	s_or_b32 exec_lo, exec_lo, s7
                                        ; implicit-def: $vgpr5
.LBB7_1851:
	s_and_not1_saveexec_b32 s3, s3
; %bb.1852:
	v_mov_b32_e32 v3, 0x7f
	v_cmp_lt_u32_e32 vcc_lo, 0x7f800000, v5
	s_delay_alu instid0(VALU_DEP_2)
	v_cndmask_b32_e32 v3, 0x7c, v3, vcc_lo
; %bb.1853:
	s_or_b32 exec_lo, exec_lo, s3
	v_lshrrev_b32_e32 v2, 24, v2
	s_delay_alu instid0(VALU_DEP_1)
	v_and_or_b32 v2, 0x80, v2, v3
	global_store_b8 v[8:9], v2, off
.LBB7_1854:
	s_mov_b32 s3, 0
	s_mov_b32 s7, -1
.LBB7_1855:
	s_and_not1_b32 vcc_lo, exec_lo, s3
	s_mov_b32 s3, 0
	s_cbranch_vccnz .LBB7_1862
; %bb.1856:
	s_cmp_gt_i32 s2, 14
	s_mov_b32 s3, -1
	s_cbranch_scc0 .LBB7_1860
; %bb.1857:
	s_cmp_eq_u32 s2, 15
	s_mov_b32 s0, -1
	s_cbranch_scc0 .LBB7_1859
; %bb.1858:
	s_wait_xcnt 0x0
	v_cvt_f32_f64_e32 v2, v[0:1]
	s_mov_b32 s0, 0
	s_mov_b32 s7, -1
	s_delay_alu instid0(VALU_DEP_1) | instskip(SKIP_1) | instid1(VALU_DEP_2)
	v_bfe_u32 v3, v2, 16, 1
	v_cmp_o_f32_e32 vcc_lo, v2, v2
	v_add3_u32 v3, v2, v3, 0x7fff
	s_delay_alu instid0(VALU_DEP_1) | instskip(NEXT) | instid1(VALU_DEP_1)
	v_lshrrev_b32_e32 v3, 16, v3
	v_cndmask_b32_e32 v2, 0x7fc0, v3, vcc_lo
	global_store_b16 v[8:9], v2, off
.LBB7_1859:
	s_mov_b32 s3, 0
.LBB7_1860:
	s_delay_alu instid0(SALU_CYCLE_1)
	s_and_b32 vcc_lo, exec_lo, s3
	s_mov_b32 s3, 0
	s_cbranch_vccz .LBB7_1862
; %bb.1861:
	s_cmp_lg_u32 s2, 11
	s_mov_b32 s3, -1
	s_cselect_b32 s0, -1, 0
.LBB7_1862:
	s_delay_alu instid0(SALU_CYCLE_1)
	s_and_b32 vcc_lo, exec_lo, s0
	s_cbranch_vccnz .LBB7_2153
; %bb.1863:
	s_and_not1_b32 vcc_lo, exec_lo, s3
	s_cbranch_vccnz .LBB7_1865
.LBB7_1864:
	v_cmp_neq_f64_e32 vcc_lo, 0, v[0:1]
	s_mov_b32 s7, -1
	s_wait_xcnt 0x0
	v_cndmask_b32_e64 v2, 0, 1, vcc_lo
	global_store_b8 v[8:9], v2, off
.LBB7_1865:
.LBB7_1866:
	s_and_not1_b32 vcc_lo, exec_lo, s7
	s_cbranch_vccz .LBB7_1906
	s_branch .LBB7_2100
.LBB7_1867:
	s_and_b32 vcc_lo, exec_lo, s0
	s_cbranch_vccz .LBB7_1866
; %bb.1868:
	s_cmp_lt_i32 s2, 5
	s_mov_b32 s0, -1
	s_cbranch_scc1 .LBB7_1889
; %bb.1869:
	s_cmp_lt_i32 s2, 8
	s_cbranch_scc1 .LBB7_1879
; %bb.1870:
	s_cmp_lt_i32 s2, 9
	s_cbranch_scc1 .LBB7_1876
; %bb.1871:
	s_cmp_gt_i32 s2, 9
	s_cbranch_scc0 .LBB7_1873
; %bb.1872:
	s_wait_xcnt 0x0
	v_mov_b32_e32 v2, 0
	s_mov_b32 s0, 0
	s_delay_alu instid0(VALU_DEP_1)
	v_mov_b32_e32 v3, v2
	global_store_b128 v[8:9], v[0:3], off
.LBB7_1873:
	s_and_not1_b32 vcc_lo, exec_lo, s0
	s_cbranch_vccnz .LBB7_1875
; %bb.1874:
	s_wait_xcnt 0x0
	v_cvt_f32_f64_e32 v2, v[0:1]
	v_mov_b32_e32 v3, 0
	global_store_b64 v[8:9], v[2:3], off
.LBB7_1875:
	s_mov_b32 s0, 0
.LBB7_1876:
	s_delay_alu instid0(SALU_CYCLE_1)
	s_and_not1_b32 vcc_lo, exec_lo, s0
	s_cbranch_vccnz .LBB7_1878
; %bb.1877:
	s_wait_xcnt 0x0
	v_and_or_b32 v2, 0x1ff, v1, v0
	v_lshrrev_b32_e32 v3, 8, v1
	v_bfe_u32 v5, v1, 20, 11
	s_delay_alu instid0(VALU_DEP_3) | instskip(NEXT) | instid1(VALU_DEP_2)
	v_cmp_ne_u32_e32 vcc_lo, 0, v2
	v_sub_nc_u32_e32 v7, 0x3f1, v5
	v_add_nc_u32_e32 v5, 0xfffffc10, v5
	v_cndmask_b32_e64 v2, 0, 1, vcc_lo
	s_delay_alu instid0(VALU_DEP_1) | instskip(NEXT) | instid1(VALU_DEP_4)
	v_and_or_b32 v2, 0xffe, v3, v2
	v_med3_i32 v3, v7, 0, 13
	s_delay_alu instid0(VALU_DEP_2) | instskip(NEXT) | instid1(VALU_DEP_1)
	v_or_b32_e32 v7, 0x1000, v2
	v_lshrrev_b32_e32 v14, v3, v7
	s_delay_alu instid0(VALU_DEP_1) | instskip(NEXT) | instid1(VALU_DEP_1)
	v_lshlrev_b32_e32 v3, v3, v14
	v_cmp_ne_u32_e32 vcc_lo, v3, v7
	v_lshl_or_b32 v7, v5, 12, v2
	v_cndmask_b32_e64 v3, 0, 1, vcc_lo
	v_cmp_gt_i32_e32 vcc_lo, 1, v5
	s_delay_alu instid0(VALU_DEP_2) | instskip(NEXT) | instid1(VALU_DEP_1)
	v_or_b32_e32 v3, v14, v3
	v_cndmask_b32_e32 v3, v7, v3, vcc_lo
	s_delay_alu instid0(VALU_DEP_1) | instskip(NEXT) | instid1(VALU_DEP_1)
	v_dual_lshrrev_b32 v3, 2, v3 :: v_dual_bitop2_b32 v7, 7, v3 bitop3:0x40
	v_cmp_lt_i32_e32 vcc_lo, 5, v7
	v_cndmask_b32_e64 v14, 0, 1, vcc_lo
	v_cmp_eq_u32_e32 vcc_lo, 3, v7
	v_cndmask_b32_e64 v7, 0, 1, vcc_lo
	v_cmp_ne_u32_e32 vcc_lo, 0, v2
	s_delay_alu instid0(VALU_DEP_2) | instskip(NEXT) | instid1(VALU_DEP_1)
	v_or_b32_e32 v7, v7, v14
	v_dual_mov_b32 v14, 0x7e00 :: v_dual_add_nc_u32 v3, v3, v7
	s_delay_alu instid0(VALU_DEP_1) | instskip(SKIP_2) | instid1(VALU_DEP_4)
	v_cndmask_b32_e32 v2, 0x7c00, v14, vcc_lo
	v_cmp_gt_i32_e32 vcc_lo, 31, v5
	v_lshrrev_b32_e32 v7, 16, v1
	v_cndmask_b32_e32 v3, 0x7c00, v3, vcc_lo
	v_cmp_eq_u32_e32 vcc_lo, 0x40f, v5
	s_delay_alu instid0(VALU_DEP_2) | instskip(NEXT) | instid1(VALU_DEP_4)
	v_cndmask_b32_e32 v2, v3, v2, vcc_lo
	v_and_b32_e32 v3, 0x8000, v7
	s_delay_alu instid0(VALU_DEP_1)
	v_bitop3_b32 v2, v3, 0xffff, v2 bitop3:0xc8
	global_store_b32 v[8:9], v2, off
.LBB7_1878:
	s_mov_b32 s0, 0
.LBB7_1879:
	s_delay_alu instid0(SALU_CYCLE_1)
	s_and_not1_b32 vcc_lo, exec_lo, s0
	s_cbranch_vccnz .LBB7_1888
; %bb.1880:
	s_cmp_lt_i32 s2, 6
	s_mov_b32 s0, -1
	s_cbranch_scc1 .LBB7_1886
; %bb.1881:
	s_cmp_gt_i32 s2, 6
	s_cbranch_scc0 .LBB7_1883
; %bb.1882:
	s_mov_b32 s0, 0
	global_store_b64 v[8:9], v[0:1], off
.LBB7_1883:
	s_and_not1_b32 vcc_lo, exec_lo, s0
	s_cbranch_vccnz .LBB7_1885
; %bb.1884:
	s_wait_xcnt 0x0
	v_cvt_f32_f64_e32 v2, v[0:1]
	global_store_b32 v[8:9], v2, off
.LBB7_1885:
	s_mov_b32 s0, 0
.LBB7_1886:
	s_delay_alu instid0(SALU_CYCLE_1)
	s_and_not1_b32 vcc_lo, exec_lo, s0
	s_cbranch_vccnz .LBB7_1888
; %bb.1887:
	s_wait_xcnt 0x0
	v_and_or_b32 v2, 0x1ff, v1, v0
	v_lshrrev_b32_e32 v3, 8, v1
	v_bfe_u32 v5, v1, 20, 11
	s_delay_alu instid0(VALU_DEP_3) | instskip(NEXT) | instid1(VALU_DEP_2)
	v_cmp_ne_u32_e32 vcc_lo, 0, v2
	v_sub_nc_u32_e32 v7, 0x3f1, v5
	v_add_nc_u32_e32 v5, 0xfffffc10, v5
	v_cndmask_b32_e64 v2, 0, 1, vcc_lo
	s_delay_alu instid0(VALU_DEP_1) | instskip(NEXT) | instid1(VALU_DEP_4)
	v_and_or_b32 v2, 0xffe, v3, v2
	v_med3_i32 v3, v7, 0, 13
	s_delay_alu instid0(VALU_DEP_2) | instskip(NEXT) | instid1(VALU_DEP_1)
	v_or_b32_e32 v7, 0x1000, v2
	v_lshrrev_b32_e32 v14, v3, v7
	s_delay_alu instid0(VALU_DEP_1) | instskip(NEXT) | instid1(VALU_DEP_1)
	v_lshlrev_b32_e32 v3, v3, v14
	v_cmp_ne_u32_e32 vcc_lo, v3, v7
	v_lshl_or_b32 v7, v5, 12, v2
	v_cndmask_b32_e64 v3, 0, 1, vcc_lo
	v_cmp_gt_i32_e32 vcc_lo, 1, v5
	s_delay_alu instid0(VALU_DEP_2) | instskip(NEXT) | instid1(VALU_DEP_1)
	v_or_b32_e32 v3, v14, v3
	v_cndmask_b32_e32 v3, v7, v3, vcc_lo
	s_delay_alu instid0(VALU_DEP_1) | instskip(NEXT) | instid1(VALU_DEP_1)
	v_dual_lshrrev_b32 v3, 2, v3 :: v_dual_bitop2_b32 v7, 7, v3 bitop3:0x40
	v_cmp_lt_i32_e32 vcc_lo, 5, v7
	v_cndmask_b32_e64 v14, 0, 1, vcc_lo
	v_cmp_eq_u32_e32 vcc_lo, 3, v7
	v_cndmask_b32_e64 v7, 0, 1, vcc_lo
	v_cmp_ne_u32_e32 vcc_lo, 0, v2
	s_delay_alu instid0(VALU_DEP_2) | instskip(NEXT) | instid1(VALU_DEP_1)
	v_or_b32_e32 v7, v7, v14
	v_dual_mov_b32 v14, 0x7e00 :: v_dual_add_nc_u32 v3, v3, v7
	s_delay_alu instid0(VALU_DEP_1) | instskip(SKIP_1) | instid1(VALU_DEP_3)
	v_cndmask_b32_e32 v2, 0x7c00, v14, vcc_lo
	v_cmp_gt_i32_e32 vcc_lo, 31, v5
	v_cndmask_b32_e32 v3, 0x7c00, v3, vcc_lo
	v_cmp_eq_u32_e32 vcc_lo, 0x40f, v5
	s_delay_alu instid0(VALU_DEP_2) | instskip(NEXT) | instid1(VALU_DEP_1)
	v_dual_cndmask_b32 v2, v3, v2 :: v_dual_lshrrev_b32 v3, 16, v1
	v_and_or_b32 v2, 0x8000, v3, v2
	global_store_b16 v[8:9], v2, off
.LBB7_1888:
	s_mov_b32 s0, 0
.LBB7_1889:
	s_delay_alu instid0(SALU_CYCLE_1)
	s_and_not1_b32 vcc_lo, exec_lo, s0
	s_cbranch_vccnz .LBB7_1905
; %bb.1890:
	s_cmp_lt_i32 s2, 2
	s_mov_b32 s0, -1
	s_cbranch_scc1 .LBB7_1900
; %bb.1891:
	s_cmp_lt_i32 s2, 3
	s_cbranch_scc1 .LBB7_1897
; %bb.1892:
	s_cmp_gt_i32 s2, 3
	s_cbranch_scc0 .LBB7_1894
; %bb.1893:
	s_wait_xcnt 0x0
	v_trunc_f64_e32 v[2:3], v[0:1]
	s_mov_b32 s0, 0
	s_delay_alu instid0(VALU_DEP_1) | instskip(NEXT) | instid1(VALU_DEP_1)
	v_ldexp_f64 v[14:15], v[2:3], 0xffffffe0
	v_floor_f64_e32 v[14:15], v[14:15]
	s_delay_alu instid0(VALU_DEP_1) | instskip(SKIP_1) | instid1(VALU_DEP_2)
	v_fmamk_f64 v[2:3], v[14:15], 0xc1f00000, v[2:3]
	v_cvt_i32_f64_e32 v15, v[14:15]
	v_cvt_u32_f64_e32 v14, v[2:3]
	global_store_b64 v[8:9], v[14:15], off
.LBB7_1894:
	s_and_not1_b32 vcc_lo, exec_lo, s0
	s_cbranch_vccnz .LBB7_1896
; %bb.1895:
	s_wait_xcnt 0x0
	v_cvt_i32_f64_e32 v2, v[0:1]
	global_store_b32 v[8:9], v2, off
.LBB7_1896:
	s_mov_b32 s0, 0
.LBB7_1897:
	s_delay_alu instid0(SALU_CYCLE_1)
	s_and_not1_b32 vcc_lo, exec_lo, s0
	s_cbranch_vccnz .LBB7_1899
; %bb.1898:
	s_wait_xcnt 0x0
	v_cvt_i32_f64_e32 v2, v[0:1]
	global_store_b16 v[8:9], v2, off
.LBB7_1899:
	s_mov_b32 s0, 0
.LBB7_1900:
	s_delay_alu instid0(SALU_CYCLE_1)
	s_and_not1_b32 vcc_lo, exec_lo, s0
	s_cbranch_vccnz .LBB7_1905
; %bb.1901:
	s_cmp_gt_i32 s2, 0
	s_mov_b32 s0, -1
	s_cbranch_scc0 .LBB7_1903
; %bb.1902:
	s_wait_xcnt 0x0
	v_cvt_i32_f64_e32 v2, v[0:1]
	s_mov_b32 s0, 0
	global_store_b8 v[8:9], v2, off
.LBB7_1903:
	s_and_not1_b32 vcc_lo, exec_lo, s0
	s_cbranch_vccnz .LBB7_1905
; %bb.1904:
	s_wait_xcnt 0x0
	v_trunc_f64_e32 v[0:1], v[0:1]
	s_delay_alu instid0(VALU_DEP_1) | instskip(NEXT) | instid1(VALU_DEP_1)
	v_ldexp_f64 v[2:3], v[0:1], 0xffffffe0
	v_floor_f64_e32 v[2:3], v[2:3]
	s_delay_alu instid0(VALU_DEP_1) | instskip(NEXT) | instid1(VALU_DEP_1)
	v_fmamk_f64 v[0:1], v[2:3], 0xc1f00000, v[0:1]
	v_cvt_u32_f64_e32 v0, v[0:1]
	global_store_b8 v[8:9], v0, off
.LBB7_1905:
.LBB7_1906:
	v_cmp_nge_f64_e64 s0, v[12:13], -s[8:9]
	v_cmp_nge_f64_e32 vcc_lo, s[8:9], v[12:13]
	s_mov_b32 s7, 0
	s_or_b32 vcc_lo, s0, vcc_lo
	s_wait_xcnt 0x0
	v_dual_mov_b32 v7, 0 :: v_dual_cndmask_b32 v1, 0, v13, vcc_lo
	v_cndmask_b32_e32 v0, 0, v12, vcc_lo
	s_cmp_lt_i32 s2, 11
	s_mov_b32 s0, -1
	s_delay_alu instid0(VALU_DEP_2)
	v_add_nc_u64_e32 v[6:7], s[4:5], v[6:7]
	s_cbranch_scc1 .LBB7_2061
; %bb.1907:
	s_mov_b32 s10, -1
	s_mov_b32 s3, 0
	s_cmp_gt_i32 s2, 25
	s_mov_b32 s0, 0
	s_cbranch_scc0 .LBB7_1940
; %bb.1908:
	s_cmp_gt_i32 s2, 28
	s_cbranch_scc0 .LBB7_1923
; %bb.1909:
	s_cmp_gt_i32 s2, 43
	;; [unrolled: 3-line block ×3, first 2 shown]
	s_cbranch_scc0 .LBB7_1913
; %bb.1911:
	s_mov_b32 s0, -1
	s_mov_b32 s10, 0
	s_cmp_eq_u32 s2, 46
	s_cbranch_scc0 .LBB7_1913
; %bb.1912:
	v_cvt_f32_f64_e32 v2, v[0:1]
	s_mov_b32 s0, 0
	s_mov_b32 s7, -1
	s_delay_alu instid0(VALU_DEP_1) | instskip(SKIP_1) | instid1(VALU_DEP_2)
	v_bfe_u32 v3, v2, 16, 1
	v_cmp_o_f32_e32 vcc_lo, v2, v2
	v_add3_u32 v3, v2, v3, 0x7fff
	s_delay_alu instid0(VALU_DEP_1) | instskip(NEXT) | instid1(VALU_DEP_1)
	v_lshrrev_b32_e32 v3, 16, v3
	v_cndmask_b32_e32 v2, 0x7fc0, v3, vcc_lo
	global_store_b32 v[6:7], v2, off
.LBB7_1913:
	s_and_b32 vcc_lo, exec_lo, s10
	s_cbranch_vccz .LBB7_1918
; %bb.1914:
	s_cmp_eq_u32 s2, 44
	s_mov_b32 s0, -1
	s_cbranch_scc0 .LBB7_1918
; %bb.1915:
	s_wait_xcnt 0x0
	v_cvt_f32_f64_e32 v2, v[0:1]
	v_mov_b32_e32 v3, 0xff
	s_mov_b32 s7, exec_lo
	s_delay_alu instid0(VALU_DEP_2) | instskip(NEXT) | instid1(VALU_DEP_1)
	v_bfe_u32 v5, v2, 23, 8
	v_cmpx_ne_u32_e32 0xff, v5
	s_cbranch_execz .LBB7_1917
; %bb.1916:
	v_and_b32_e32 v3, 0x400000, v2
	v_and_or_b32 v5, 0x3fffff, v2, v5
	v_lshrrev_b32_e32 v2, 23, v2
	s_delay_alu instid0(VALU_DEP_3) | instskip(NEXT) | instid1(VALU_DEP_3)
	v_cmp_ne_u32_e32 vcc_lo, 0, v3
	v_cmp_ne_u32_e64 s0, 0, v5
	s_and_b32 s0, vcc_lo, s0
	s_delay_alu instid0(SALU_CYCLE_1) | instskip(NEXT) | instid1(VALU_DEP_1)
	v_cndmask_b32_e64 v3, 0, 1, s0
	v_add_nc_u32_e32 v3, v2, v3
.LBB7_1917:
	s_or_b32 exec_lo, exec_lo, s7
	s_mov_b32 s0, 0
	s_mov_b32 s7, -1
	global_store_b8 v[6:7], v3, off
.LBB7_1918:
	s_mov_b32 s10, 0
.LBB7_1919:
	s_delay_alu instid0(SALU_CYCLE_1)
	s_and_b32 vcc_lo, exec_lo, s10
	s_cbranch_vccz .LBB7_1922
; %bb.1920:
	s_cmp_eq_u32 s2, 29
	s_mov_b32 s0, -1
	s_cbranch_scc0 .LBB7_1922
; %bb.1921:
	s_wait_xcnt 0x0
	v_trunc_f64_e32 v[2:3], v[0:1]
	s_mov_b32 s0, 0
	s_mov_b32 s7, -1
	s_delay_alu instid0(VALU_DEP_1) | instskip(NEXT) | instid1(VALU_DEP_1)
	v_ldexp_f64 v[8:9], v[2:3], 0xffffffe0
	v_floor_f64_e32 v[8:9], v[8:9]
	s_delay_alu instid0(VALU_DEP_1) | instskip(SKIP_1) | instid1(VALU_DEP_2)
	v_fmamk_f64 v[2:3], v[8:9], 0xc1f00000, v[2:3]
	v_cvt_u32_f64_e32 v9, v[8:9]
	v_cvt_u32_f64_e32 v8, v[2:3]
	global_store_b64 v[6:7], v[8:9], off
.LBB7_1922:
	s_mov_b32 s10, 0
.LBB7_1923:
	s_delay_alu instid0(SALU_CYCLE_1)
	s_and_b32 vcc_lo, exec_lo, s10
	s_cbranch_vccz .LBB7_1939
; %bb.1924:
	s_cmp_lt_i32 s2, 27
	s_mov_b32 s7, -1
	s_cbranch_scc1 .LBB7_1930
; %bb.1925:
	s_wait_xcnt 0x0
	v_cvt_u32_f64_e32 v2, v[0:1]
	s_cmp_gt_i32 s2, 27
	s_cbranch_scc0 .LBB7_1927
; %bb.1926:
	s_mov_b32 s7, 0
	global_store_b32 v[6:7], v2, off
.LBB7_1927:
	s_and_not1_b32 vcc_lo, exec_lo, s7
	s_cbranch_vccnz .LBB7_1929
; %bb.1928:
	global_store_b16 v[6:7], v2, off
.LBB7_1929:
	s_mov_b32 s7, 0
.LBB7_1930:
	s_delay_alu instid0(SALU_CYCLE_1)
	s_and_not1_b32 vcc_lo, exec_lo, s7
	s_cbranch_vccnz .LBB7_1938
; %bb.1931:
	s_wait_xcnt 0x0
	v_cvt_f32_f64_e32 v2, v[0:1]
	v_mov_b32_e32 v5, 0x80
	s_mov_b32 s7, exec_lo
	s_delay_alu instid0(VALU_DEP_2) | instskip(NEXT) | instid1(VALU_DEP_1)
	v_and_b32_e32 v3, 0x7fffffff, v2
	v_cmpx_gt_u32_e32 0x43800000, v3
	s_cbranch_execz .LBB7_1937
; %bb.1932:
	v_cmp_lt_u32_e32 vcc_lo, 0x3bffffff, v3
	s_mov_b32 s10, 0
                                        ; implicit-def: $vgpr3
	s_and_saveexec_b32 s13, vcc_lo
	s_delay_alu instid0(SALU_CYCLE_1)
	s_xor_b32 s13, exec_lo, s13
	s_cbranch_execz .LBB7_2156
; %bb.1933:
	v_bfe_u32 v3, v2, 20, 1
	s_mov_b32 s10, exec_lo
	s_delay_alu instid0(VALU_DEP_1) | instskip(NEXT) | instid1(VALU_DEP_1)
	v_add3_u32 v3, v2, v3, 0x487ffff
	v_lshrrev_b32_e32 v3, 20, v3
	s_and_not1_saveexec_b32 s13, s13
	s_cbranch_execnz .LBB7_2157
.LBB7_1934:
	s_or_b32 exec_lo, exec_lo, s13
	v_mov_b32_e32 v5, 0
	s_and_saveexec_b32 s13, s10
.LBB7_1935:
	v_lshrrev_b32_e32 v2, 24, v2
	s_delay_alu instid0(VALU_DEP_1)
	v_and_or_b32 v5, 0x80, v2, v3
.LBB7_1936:
	s_or_b32 exec_lo, exec_lo, s13
.LBB7_1937:
	s_delay_alu instid0(SALU_CYCLE_1)
	s_or_b32 exec_lo, exec_lo, s7
	global_store_b8 v[6:7], v5, off
.LBB7_1938:
	s_mov_b32 s7, -1
.LBB7_1939:
	s_mov_b32 s10, 0
.LBB7_1940:
	s_delay_alu instid0(SALU_CYCLE_1)
	s_and_b32 vcc_lo, exec_lo, s10
	s_cbranch_vccz .LBB7_1980
; %bb.1941:
	s_cmp_gt_i32 s2, 22
	s_mov_b32 s3, -1
	s_cbranch_scc0 .LBB7_1973
; %bb.1942:
	s_cmp_lt_i32 s2, 24
	s_cbranch_scc1 .LBB7_1962
; %bb.1943:
	s_cmp_gt_i32 s2, 24
	s_cbranch_scc0 .LBB7_1951
; %bb.1944:
	s_wait_xcnt 0x0
	v_cvt_f32_f64_e32 v2, v[0:1]
	v_mov_b32_e32 v5, 0x80
	s_mov_b32 s3, exec_lo
	s_delay_alu instid0(VALU_DEP_2) | instskip(NEXT) | instid1(VALU_DEP_1)
	v_and_b32_e32 v3, 0x7fffffff, v2
	v_cmpx_gt_u32_e32 0x47800000, v3
	s_cbranch_execz .LBB7_1950
; %bb.1945:
	v_cmp_lt_u32_e32 vcc_lo, 0x37ffffff, v3
	s_mov_b32 s7, 0
                                        ; implicit-def: $vgpr3
	s_and_saveexec_b32 s10, vcc_lo
	s_delay_alu instid0(SALU_CYCLE_1)
	s_xor_b32 s10, exec_lo, s10
	s_cbranch_execz .LBB7_2159
; %bb.1946:
	v_bfe_u32 v3, v2, 21, 1
	s_mov_b32 s7, exec_lo
	s_delay_alu instid0(VALU_DEP_1) | instskip(NEXT) | instid1(VALU_DEP_1)
	v_add3_u32 v3, v2, v3, 0x88fffff
	v_lshrrev_b32_e32 v3, 21, v3
	s_and_not1_saveexec_b32 s10, s10
	s_cbranch_execnz .LBB7_2160
.LBB7_1947:
	s_or_b32 exec_lo, exec_lo, s10
	v_mov_b32_e32 v5, 0
	s_and_saveexec_b32 s10, s7
.LBB7_1948:
	v_lshrrev_b32_e32 v2, 24, v2
	s_delay_alu instid0(VALU_DEP_1)
	v_and_or_b32 v5, 0x80, v2, v3
.LBB7_1949:
	s_or_b32 exec_lo, exec_lo, s10
.LBB7_1950:
	s_delay_alu instid0(SALU_CYCLE_1)
	s_or_b32 exec_lo, exec_lo, s3
	s_mov_b32 s3, 0
	global_store_b8 v[6:7], v5, off
.LBB7_1951:
	s_and_b32 vcc_lo, exec_lo, s3
	s_cbranch_vccz .LBB7_1961
; %bb.1952:
	s_wait_xcnt 0x0
	v_cvt_f32_f64_e32 v2, v[0:1]
	s_mov_b32 s3, exec_lo
                                        ; implicit-def: $vgpr3
	s_delay_alu instid0(VALU_DEP_1) | instskip(NEXT) | instid1(VALU_DEP_1)
	v_and_b32_e32 v5, 0x7fffffff, v2
	v_cmpx_gt_u32_e32 0x43f00000, v5
	s_xor_b32 s3, exec_lo, s3
	s_cbranch_execz .LBB7_1958
; %bb.1953:
	s_mov_b32 s7, exec_lo
                                        ; implicit-def: $vgpr3
	v_cmpx_lt_u32_e32 0x3c7fffff, v5
	s_xor_b32 s7, exec_lo, s7
; %bb.1954:
	v_bfe_u32 v3, v2, 20, 1
	s_delay_alu instid0(VALU_DEP_1) | instskip(NEXT) | instid1(VALU_DEP_1)
	v_add3_u32 v3, v2, v3, 0x407ffff
	v_and_b32_e32 v5, 0xff00000, v3
	v_lshrrev_b32_e32 v3, 20, v3
	s_delay_alu instid0(VALU_DEP_2) | instskip(NEXT) | instid1(VALU_DEP_2)
	v_cmp_ne_u32_e32 vcc_lo, 0x7f00000, v5
	v_cndmask_b32_e32 v3, 0x7e, v3, vcc_lo
; %bb.1955:
	s_and_not1_saveexec_b32 s7, s7
; %bb.1956:
	v_add_f32_e64 v3, 0x46800000, |v2|
; %bb.1957:
	s_or_b32 exec_lo, exec_lo, s7
                                        ; implicit-def: $vgpr5
.LBB7_1958:
	s_and_not1_saveexec_b32 s3, s3
; %bb.1959:
	v_mov_b32_e32 v3, 0x7f
	v_cmp_lt_u32_e32 vcc_lo, 0x7f800000, v5
	s_delay_alu instid0(VALU_DEP_2)
	v_cndmask_b32_e32 v3, 0x7e, v3, vcc_lo
; %bb.1960:
	s_or_b32 exec_lo, exec_lo, s3
	v_lshrrev_b32_e32 v2, 24, v2
	s_delay_alu instid0(VALU_DEP_1)
	v_and_or_b32 v2, 0x80, v2, v3
	global_store_b8 v[6:7], v2, off
.LBB7_1961:
	s_mov_b32 s3, 0
.LBB7_1962:
	s_delay_alu instid0(SALU_CYCLE_1)
	s_and_not1_b32 vcc_lo, exec_lo, s3
	s_cbranch_vccnz .LBB7_1972
; %bb.1963:
	s_wait_xcnt 0x0
	v_cvt_f32_f64_e32 v2, v[0:1]
	s_mov_b32 s3, exec_lo
                                        ; implicit-def: $vgpr3
	s_delay_alu instid0(VALU_DEP_1) | instskip(NEXT) | instid1(VALU_DEP_1)
	v_and_b32_e32 v5, 0x7fffffff, v2
	v_cmpx_gt_u32_e32 0x47800000, v5
	s_xor_b32 s3, exec_lo, s3
	s_cbranch_execz .LBB7_1969
; %bb.1964:
	s_mov_b32 s7, exec_lo
                                        ; implicit-def: $vgpr3
	v_cmpx_lt_u32_e32 0x387fffff, v5
	s_xor_b32 s7, exec_lo, s7
; %bb.1965:
	v_bfe_u32 v3, v2, 21, 1
	s_delay_alu instid0(VALU_DEP_1) | instskip(NEXT) | instid1(VALU_DEP_1)
	v_add3_u32 v3, v2, v3, 0x80fffff
	v_lshrrev_b32_e32 v3, 21, v3
; %bb.1966:
	s_and_not1_saveexec_b32 s7, s7
; %bb.1967:
	v_add_f32_e64 v3, 0x43000000, |v2|
; %bb.1968:
	s_or_b32 exec_lo, exec_lo, s7
                                        ; implicit-def: $vgpr5
.LBB7_1969:
	s_and_not1_saveexec_b32 s3, s3
; %bb.1970:
	v_mov_b32_e32 v3, 0x7f
	v_cmp_lt_u32_e32 vcc_lo, 0x7f800000, v5
	s_delay_alu instid0(VALU_DEP_2)
	v_cndmask_b32_e32 v3, 0x7c, v3, vcc_lo
; %bb.1971:
	s_or_b32 exec_lo, exec_lo, s3
	v_lshrrev_b32_e32 v2, 24, v2
	s_delay_alu instid0(VALU_DEP_1)
	v_and_or_b32 v2, 0x80, v2, v3
	global_store_b8 v[6:7], v2, off
.LBB7_1972:
	s_mov_b32 s3, 0
	s_mov_b32 s7, -1
.LBB7_1973:
	s_and_not1_b32 vcc_lo, exec_lo, s3
	s_mov_b32 s3, 0
	s_cbranch_vccnz .LBB7_1980
; %bb.1974:
	s_cmp_gt_i32 s2, 14
	s_mov_b32 s3, -1
	s_cbranch_scc0 .LBB7_1978
; %bb.1975:
	s_cmp_eq_u32 s2, 15
	s_mov_b32 s0, -1
	s_cbranch_scc0 .LBB7_1977
; %bb.1976:
	s_wait_xcnt 0x0
	v_cvt_f32_f64_e32 v2, v[0:1]
	s_mov_b32 s0, 0
	s_mov_b32 s7, -1
	s_delay_alu instid0(VALU_DEP_1) | instskip(SKIP_1) | instid1(VALU_DEP_2)
	v_bfe_u32 v3, v2, 16, 1
	v_cmp_o_f32_e32 vcc_lo, v2, v2
	v_add3_u32 v3, v2, v3, 0x7fff
	s_delay_alu instid0(VALU_DEP_1) | instskip(NEXT) | instid1(VALU_DEP_1)
	v_lshrrev_b32_e32 v3, 16, v3
	v_cndmask_b32_e32 v2, 0x7fc0, v3, vcc_lo
	global_store_b16 v[6:7], v2, off
.LBB7_1977:
	s_mov_b32 s3, 0
.LBB7_1978:
	s_delay_alu instid0(SALU_CYCLE_1)
	s_and_b32 vcc_lo, exec_lo, s3
	s_mov_b32 s3, 0
	s_cbranch_vccz .LBB7_1980
; %bb.1979:
	s_cmp_lg_u32 s2, 11
	s_mov_b32 s3, -1
	s_cselect_b32 s0, -1, 0
.LBB7_1980:
	s_delay_alu instid0(SALU_CYCLE_1)
	s_and_b32 vcc_lo, exec_lo, s0
	s_cbranch_vccnz .LBB7_2158
; %bb.1981:
	s_and_not1_b32 vcc_lo, exec_lo, s3
	s_cbranch_vccnz .LBB7_1983
.LBB7_1982:
	v_cmp_neq_f64_e32 vcc_lo, 0, v[0:1]
	s_mov_b32 s7, -1
	s_wait_xcnt 0x0
	v_cndmask_b32_e64 v2, 0, 1, vcc_lo
	global_store_b8 v[6:7], v2, off
.LBB7_1983:
.LBB7_1984:
	s_and_not1_b32 vcc_lo, exec_lo, s7
	s_cbranch_vccnz .LBB7_2100
.LBB7_1985:
	v_cmp_nge_f64_e64 s0, v[10:11], -s[8:9]
	v_cmp_nge_f64_e32 vcc_lo, s[8:9], v[10:11]
	s_mov_b32 s3, 0
	s_or_b32 vcc_lo, s0, vcc_lo
	s_wait_xcnt 0x0
	v_dual_mov_b32 v5, 0 :: v_dual_cndmask_b32 v1, 0, v11, vcc_lo
	v_cndmask_b32_e32 v0, 0, v10, vcc_lo
	s_cmp_lt_i32 s2, 11
	s_mov_b32 s0, -1
	s_delay_alu instid0(VALU_DEP_2)
	v_add_nc_u64_e32 v[6:7], s[4:5], v[4:5]
	s_cbranch_scc1 .LBB7_2101
; %bb.1986:
	s_mov_b32 s4, -1
	s_cmp_gt_i32 s2, 25
	s_mov_b32 s0, 0
	s_cbranch_scc0 .LBB7_2019
; %bb.1987:
	s_cmp_gt_i32 s2, 28
	s_cbranch_scc0 .LBB7_2003
; %bb.1988:
	s_cmp_gt_i32 s2, 43
	;; [unrolled: 3-line block ×3, first 2 shown]
	s_cbranch_scc0 .LBB7_1993
; %bb.1990:
	s_cmp_eq_u32 s2, 46
	s_mov_b32 s0, -1
	s_cbranch_scc0 .LBB7_1992
; %bb.1991:
	v_cvt_f32_f64_e32 v2, v[0:1]
	s_mov_b32 s0, 0
	s_delay_alu instid0(VALU_DEP_1) | instskip(SKIP_1) | instid1(VALU_DEP_2)
	v_bfe_u32 v3, v2, 16, 1
	v_cmp_o_f32_e32 vcc_lo, v2, v2
	v_add3_u32 v3, v2, v3, 0x7fff
	s_delay_alu instid0(VALU_DEP_1) | instskip(NEXT) | instid1(VALU_DEP_1)
	v_lshrrev_b32_e32 v3, 16, v3
	v_cndmask_b32_e32 v2, 0x7fc0, v3, vcc_lo
	global_store_b32 v[6:7], v2, off
.LBB7_1992:
	s_mov_b32 s4, 0
.LBB7_1993:
	s_delay_alu instid0(SALU_CYCLE_1)
	s_and_b32 vcc_lo, exec_lo, s4
	s_cbranch_vccz .LBB7_1998
; %bb.1994:
	s_cmp_eq_u32 s2, 44
	s_mov_b32 s0, -1
	s_cbranch_scc0 .LBB7_1998
; %bb.1995:
	s_wait_xcnt 0x0
	v_cvt_f32_f64_e32 v2, v[0:1]
	v_mov_b32_e32 v3, 0xff
	s_mov_b32 s4, exec_lo
	s_delay_alu instid0(VALU_DEP_2) | instskip(NEXT) | instid1(VALU_DEP_1)
	v_bfe_u32 v4, v2, 23, 8
	v_cmpx_ne_u32_e32 0xff, v4
	s_cbranch_execz .LBB7_1997
; %bb.1996:
	v_and_b32_e32 v3, 0x400000, v2
	v_and_or_b32 v4, 0x3fffff, v2, v4
	v_lshrrev_b32_e32 v2, 23, v2
	s_delay_alu instid0(VALU_DEP_3) | instskip(NEXT) | instid1(VALU_DEP_3)
	v_cmp_ne_u32_e32 vcc_lo, 0, v3
	v_cmp_ne_u32_e64 s0, 0, v4
	s_and_b32 s0, vcc_lo, s0
	s_delay_alu instid0(SALU_CYCLE_1) | instskip(NEXT) | instid1(VALU_DEP_1)
	v_cndmask_b32_e64 v3, 0, 1, s0
	v_add_nc_u32_e32 v3, v2, v3
.LBB7_1997:
	s_or_b32 exec_lo, exec_lo, s4
	s_mov_b32 s0, 0
	global_store_b8 v[6:7], v3, off
.LBB7_1998:
	s_mov_b32 s4, 0
.LBB7_1999:
	s_delay_alu instid0(SALU_CYCLE_1)
	s_and_b32 vcc_lo, exec_lo, s4
	s_cbranch_vccz .LBB7_2002
; %bb.2000:
	s_cmp_eq_u32 s2, 29
	s_mov_b32 s0, -1
	s_cbranch_scc0 .LBB7_2002
; %bb.2001:
	s_wait_xcnt 0x0
	v_trunc_f64_e32 v[2:3], v[0:1]
	s_mov_b32 s0, 0
	s_delay_alu instid0(VALU_DEP_1) | instskip(NEXT) | instid1(VALU_DEP_1)
	v_ldexp_f64 v[4:5], v[2:3], 0xffffffe0
	v_floor_f64_e32 v[4:5], v[4:5]
	s_delay_alu instid0(VALU_DEP_1) | instskip(SKIP_1) | instid1(VALU_DEP_2)
	v_fmamk_f64 v[2:3], v[4:5], 0xc1f00000, v[2:3]
	v_cvt_u32_f64_e32 v5, v[4:5]
	v_cvt_u32_f64_e32 v4, v[2:3]
	global_store_b64 v[6:7], v[4:5], off
.LBB7_2002:
	s_mov_b32 s4, 0
.LBB7_2003:
	s_delay_alu instid0(SALU_CYCLE_1)
	s_and_b32 vcc_lo, exec_lo, s4
	s_cbranch_vccz .LBB7_2018
; %bb.2004:
	s_cmp_lt_i32 s2, 27
	s_mov_b32 s4, -1
	s_cbranch_scc1 .LBB7_2010
; %bb.2005:
	s_cmp_gt_i32 s2, 27
	s_cbranch_scc0 .LBB7_2007
; %bb.2006:
	s_wait_xcnt 0x0
	v_cvt_u32_f64_e32 v2, v[0:1]
	s_mov_b32 s4, 0
	global_store_b32 v[6:7], v2, off
.LBB7_2007:
	s_and_not1_b32 vcc_lo, exec_lo, s4
	s_cbranch_vccnz .LBB7_2009
; %bb.2008:
	s_wait_xcnt 0x0
	v_cvt_u32_f64_e32 v2, v[0:1]
	global_store_b16 v[6:7], v2, off
.LBB7_2009:
	s_mov_b32 s4, 0
.LBB7_2010:
	s_delay_alu instid0(SALU_CYCLE_1)
	s_and_not1_b32 vcc_lo, exec_lo, s4
	s_cbranch_vccnz .LBB7_2018
; %bb.2011:
	s_wait_xcnt 0x0
	v_cvt_f32_f64_e32 v2, v[0:1]
	v_mov_b32_e32 v4, 0x80
	s_mov_b32 s4, exec_lo
	s_delay_alu instid0(VALU_DEP_2) | instskip(NEXT) | instid1(VALU_DEP_1)
	v_and_b32_e32 v3, 0x7fffffff, v2
	v_cmpx_gt_u32_e32 0x43800000, v3
	s_cbranch_execz .LBB7_2017
; %bb.2012:
	v_cmp_lt_u32_e32 vcc_lo, 0x3bffffff, v3
	s_mov_b32 s5, 0
                                        ; implicit-def: $vgpr3
	s_and_saveexec_b32 s7, vcc_lo
	s_delay_alu instid0(SALU_CYCLE_1)
	s_xor_b32 s7, exec_lo, s7
	s_cbranch_execz .LBB7_2161
; %bb.2013:
	v_bfe_u32 v3, v2, 20, 1
	s_mov_b32 s5, exec_lo
	s_delay_alu instid0(VALU_DEP_1) | instskip(NEXT) | instid1(VALU_DEP_1)
	v_add3_u32 v3, v2, v3, 0x487ffff
	v_lshrrev_b32_e32 v3, 20, v3
	s_and_not1_saveexec_b32 s7, s7
	s_cbranch_execnz .LBB7_2162
.LBB7_2014:
	s_or_b32 exec_lo, exec_lo, s7
	v_mov_b32_e32 v4, 0
	s_and_saveexec_b32 s7, s5
.LBB7_2015:
	v_lshrrev_b32_e32 v2, 24, v2
	s_delay_alu instid0(VALU_DEP_1)
	v_and_or_b32 v4, 0x80, v2, v3
.LBB7_2016:
	s_or_b32 exec_lo, exec_lo, s7
.LBB7_2017:
	s_delay_alu instid0(SALU_CYCLE_1)
	s_or_b32 exec_lo, exec_lo, s4
	global_store_b8 v[6:7], v4, off
.LBB7_2018:
	s_mov_b32 s4, 0
.LBB7_2019:
	s_delay_alu instid0(SALU_CYCLE_1)
	s_and_b32 vcc_lo, exec_lo, s4
	s_cbranch_vccz .LBB7_2059
; %bb.2020:
	s_cmp_gt_i32 s2, 22
	s_mov_b32 s3, -1
	s_cbranch_scc0 .LBB7_2052
; %bb.2021:
	s_cmp_lt_i32 s2, 24
	s_cbranch_scc1 .LBB7_2041
; %bb.2022:
	s_cmp_gt_i32 s2, 24
	s_cbranch_scc0 .LBB7_2030
; %bb.2023:
	s_wait_xcnt 0x0
	v_cvt_f32_f64_e32 v2, v[0:1]
	v_mov_b32_e32 v4, 0x80
	s_mov_b32 s3, exec_lo
	s_delay_alu instid0(VALU_DEP_2) | instskip(NEXT) | instid1(VALU_DEP_1)
	v_and_b32_e32 v3, 0x7fffffff, v2
	v_cmpx_gt_u32_e32 0x47800000, v3
	s_cbranch_execz .LBB7_2029
; %bb.2024:
	v_cmp_lt_u32_e32 vcc_lo, 0x37ffffff, v3
	s_mov_b32 s4, 0
                                        ; implicit-def: $vgpr3
	s_and_saveexec_b32 s5, vcc_lo
	s_delay_alu instid0(SALU_CYCLE_1)
	s_xor_b32 s5, exec_lo, s5
	s_cbranch_execz .LBB7_2164
; %bb.2025:
	v_bfe_u32 v3, v2, 21, 1
	s_mov_b32 s4, exec_lo
	s_delay_alu instid0(VALU_DEP_1) | instskip(NEXT) | instid1(VALU_DEP_1)
	v_add3_u32 v3, v2, v3, 0x88fffff
	v_lshrrev_b32_e32 v3, 21, v3
	s_and_not1_saveexec_b32 s5, s5
	s_cbranch_execnz .LBB7_2165
.LBB7_2026:
	s_or_b32 exec_lo, exec_lo, s5
	v_mov_b32_e32 v4, 0
	s_and_saveexec_b32 s5, s4
.LBB7_2027:
	v_lshrrev_b32_e32 v2, 24, v2
	s_delay_alu instid0(VALU_DEP_1)
	v_and_or_b32 v4, 0x80, v2, v3
.LBB7_2028:
	s_or_b32 exec_lo, exec_lo, s5
.LBB7_2029:
	s_delay_alu instid0(SALU_CYCLE_1)
	s_or_b32 exec_lo, exec_lo, s3
	s_mov_b32 s3, 0
	global_store_b8 v[6:7], v4, off
.LBB7_2030:
	s_and_b32 vcc_lo, exec_lo, s3
	s_cbranch_vccz .LBB7_2040
; %bb.2031:
	s_wait_xcnt 0x0
	v_cvt_f32_f64_e32 v2, v[0:1]
	s_mov_b32 s3, exec_lo
                                        ; implicit-def: $vgpr3
	s_delay_alu instid0(VALU_DEP_1) | instskip(NEXT) | instid1(VALU_DEP_1)
	v_and_b32_e32 v4, 0x7fffffff, v2
	v_cmpx_gt_u32_e32 0x43f00000, v4
	s_xor_b32 s3, exec_lo, s3
	s_cbranch_execz .LBB7_2037
; %bb.2032:
	s_mov_b32 s4, exec_lo
                                        ; implicit-def: $vgpr3
	v_cmpx_lt_u32_e32 0x3c7fffff, v4
	s_xor_b32 s4, exec_lo, s4
; %bb.2033:
	v_bfe_u32 v3, v2, 20, 1
	s_delay_alu instid0(VALU_DEP_1) | instskip(NEXT) | instid1(VALU_DEP_1)
	v_add3_u32 v3, v2, v3, 0x407ffff
	v_and_b32_e32 v4, 0xff00000, v3
	v_lshrrev_b32_e32 v3, 20, v3
	s_delay_alu instid0(VALU_DEP_2) | instskip(NEXT) | instid1(VALU_DEP_2)
	v_cmp_ne_u32_e32 vcc_lo, 0x7f00000, v4
	v_cndmask_b32_e32 v3, 0x7e, v3, vcc_lo
; %bb.2034:
	s_and_not1_saveexec_b32 s4, s4
; %bb.2035:
	v_add_f32_e64 v3, 0x46800000, |v2|
; %bb.2036:
	s_or_b32 exec_lo, exec_lo, s4
                                        ; implicit-def: $vgpr4
.LBB7_2037:
	s_and_not1_saveexec_b32 s3, s3
; %bb.2038:
	v_mov_b32_e32 v3, 0x7f
	v_cmp_lt_u32_e32 vcc_lo, 0x7f800000, v4
	s_delay_alu instid0(VALU_DEP_2)
	v_cndmask_b32_e32 v3, 0x7e, v3, vcc_lo
; %bb.2039:
	s_or_b32 exec_lo, exec_lo, s3
	v_lshrrev_b32_e32 v2, 24, v2
	s_delay_alu instid0(VALU_DEP_1)
	v_and_or_b32 v2, 0x80, v2, v3
	global_store_b8 v[6:7], v2, off
.LBB7_2040:
	s_mov_b32 s3, 0
.LBB7_2041:
	s_delay_alu instid0(SALU_CYCLE_1)
	s_and_not1_b32 vcc_lo, exec_lo, s3
	s_cbranch_vccnz .LBB7_2051
; %bb.2042:
	s_wait_xcnt 0x0
	v_cvt_f32_f64_e32 v2, v[0:1]
	s_mov_b32 s3, exec_lo
                                        ; implicit-def: $vgpr3
	s_delay_alu instid0(VALU_DEP_1) | instskip(NEXT) | instid1(VALU_DEP_1)
	v_and_b32_e32 v4, 0x7fffffff, v2
	v_cmpx_gt_u32_e32 0x47800000, v4
	s_xor_b32 s3, exec_lo, s3
	s_cbranch_execz .LBB7_2048
; %bb.2043:
	s_mov_b32 s4, exec_lo
                                        ; implicit-def: $vgpr3
	v_cmpx_lt_u32_e32 0x387fffff, v4
	s_xor_b32 s4, exec_lo, s4
; %bb.2044:
	v_bfe_u32 v3, v2, 21, 1
	s_delay_alu instid0(VALU_DEP_1) | instskip(NEXT) | instid1(VALU_DEP_1)
	v_add3_u32 v3, v2, v3, 0x80fffff
	v_lshrrev_b32_e32 v3, 21, v3
; %bb.2045:
	s_and_not1_saveexec_b32 s4, s4
; %bb.2046:
	v_add_f32_e64 v3, 0x43000000, |v2|
; %bb.2047:
	s_or_b32 exec_lo, exec_lo, s4
                                        ; implicit-def: $vgpr4
.LBB7_2048:
	s_and_not1_saveexec_b32 s3, s3
; %bb.2049:
	v_mov_b32_e32 v3, 0x7f
	v_cmp_lt_u32_e32 vcc_lo, 0x7f800000, v4
	s_delay_alu instid0(VALU_DEP_2)
	v_cndmask_b32_e32 v3, 0x7c, v3, vcc_lo
; %bb.2050:
	s_or_b32 exec_lo, exec_lo, s3
	v_lshrrev_b32_e32 v2, 24, v2
	s_delay_alu instid0(VALU_DEP_1)
	v_and_or_b32 v2, 0x80, v2, v3
	global_store_b8 v[6:7], v2, off
.LBB7_2051:
	s_mov_b32 s3, 0
.LBB7_2052:
	s_delay_alu instid0(SALU_CYCLE_1)
	s_and_not1_b32 vcc_lo, exec_lo, s3
	s_mov_b32 s3, 0
	s_cbranch_vccnz .LBB7_2059
; %bb.2053:
	s_cmp_gt_i32 s2, 14
	s_mov_b32 s3, -1
	s_cbranch_scc0 .LBB7_2057
; %bb.2054:
	s_cmp_eq_u32 s2, 15
	s_mov_b32 s0, -1
	s_cbranch_scc0 .LBB7_2056
; %bb.2055:
	s_wait_xcnt 0x0
	v_cvt_f32_f64_e32 v2, v[0:1]
	s_mov_b32 s0, 0
	s_delay_alu instid0(VALU_DEP_1) | instskip(SKIP_1) | instid1(VALU_DEP_2)
	v_bfe_u32 v3, v2, 16, 1
	v_cmp_o_f32_e32 vcc_lo, v2, v2
	v_add3_u32 v3, v2, v3, 0x7fff
	s_delay_alu instid0(VALU_DEP_1) | instskip(NEXT) | instid1(VALU_DEP_1)
	v_lshrrev_b32_e32 v3, 16, v3
	v_cndmask_b32_e32 v2, 0x7fc0, v3, vcc_lo
	global_store_b16 v[6:7], v2, off
.LBB7_2056:
	s_mov_b32 s3, 0
.LBB7_2057:
	s_delay_alu instid0(SALU_CYCLE_1)
	s_and_b32 vcc_lo, exec_lo, s3
	s_mov_b32 s3, 0
	s_cbranch_vccz .LBB7_2059
; %bb.2058:
	s_cmp_lg_u32 s2, 11
	s_mov_b32 s3, -1
	s_cselect_b32 s0, -1, 0
.LBB7_2059:
	s_delay_alu instid0(SALU_CYCLE_1)
	s_and_b32 vcc_lo, exec_lo, s0
	s_cbranch_vccnz .LBB7_2163
.LBB7_2060:
	s_mov_b32 s0, 0
	s_branch .LBB7_2101
.LBB7_2061:
	s_and_b32 vcc_lo, exec_lo, s0
	s_cbranch_vccz .LBB7_1984
; %bb.2062:
	s_cmp_lt_i32 s2, 5
	s_mov_b32 s0, -1
	s_cbranch_scc1 .LBB7_2083
; %bb.2063:
	s_cmp_lt_i32 s2, 8
	s_cbranch_scc1 .LBB7_2073
; %bb.2064:
	s_cmp_lt_i32 s2, 9
	s_cbranch_scc1 .LBB7_2070
; %bb.2065:
	s_cmp_gt_i32 s2, 9
	s_cbranch_scc0 .LBB7_2067
; %bb.2066:
	s_wait_xcnt 0x0
	v_mov_b32_e32 v2, 0
	s_mov_b32 s0, 0
	s_delay_alu instid0(VALU_DEP_1)
	v_mov_b32_e32 v3, v2
	global_store_b128 v[6:7], v[0:3], off
.LBB7_2067:
	s_and_not1_b32 vcc_lo, exec_lo, s0
	s_cbranch_vccnz .LBB7_2069
; %bb.2068:
	s_wait_xcnt 0x0
	v_cvt_f32_f64_e32 v2, v[0:1]
	v_mov_b32_e32 v3, 0
	global_store_b64 v[6:7], v[2:3], off
.LBB7_2069:
	s_mov_b32 s0, 0
.LBB7_2070:
	s_delay_alu instid0(SALU_CYCLE_1)
	s_and_not1_b32 vcc_lo, exec_lo, s0
	s_cbranch_vccnz .LBB7_2072
; %bb.2071:
	s_wait_xcnt 0x0
	v_and_or_b32 v2, 0x1ff, v1, v0
	v_lshrrev_b32_e32 v3, 8, v1
	v_bfe_u32 v5, v1, 20, 11
	s_delay_alu instid0(VALU_DEP_3) | instskip(NEXT) | instid1(VALU_DEP_2)
	v_cmp_ne_u32_e32 vcc_lo, 0, v2
	v_sub_nc_u32_e32 v8, 0x3f1, v5
	v_add_nc_u32_e32 v5, 0xfffffc10, v5
	v_cndmask_b32_e64 v2, 0, 1, vcc_lo
	s_delay_alu instid0(VALU_DEP_1) | instskip(NEXT) | instid1(VALU_DEP_4)
	v_and_or_b32 v2, 0xffe, v3, v2
	v_med3_i32 v3, v8, 0, 13
	s_delay_alu instid0(VALU_DEP_2) | instskip(NEXT) | instid1(VALU_DEP_1)
	v_or_b32_e32 v8, 0x1000, v2
	v_lshrrev_b32_e32 v9, v3, v8
	s_delay_alu instid0(VALU_DEP_1) | instskip(NEXT) | instid1(VALU_DEP_1)
	v_lshlrev_b32_e32 v3, v3, v9
	v_cmp_ne_u32_e32 vcc_lo, v3, v8
	v_lshl_or_b32 v8, v5, 12, v2
	v_cndmask_b32_e64 v3, 0, 1, vcc_lo
	v_cmp_gt_i32_e32 vcc_lo, 1, v5
	s_delay_alu instid0(VALU_DEP_2) | instskip(NEXT) | instid1(VALU_DEP_1)
	v_or_b32_e32 v3, v9, v3
	v_cndmask_b32_e32 v3, v8, v3, vcc_lo
	s_delay_alu instid0(VALU_DEP_1) | instskip(NEXT) | instid1(VALU_DEP_1)
	v_dual_lshrrev_b32 v3, 2, v3 :: v_dual_bitop2_b32 v8, 7, v3 bitop3:0x40
	v_cmp_lt_i32_e32 vcc_lo, 5, v8
	v_cndmask_b32_e64 v9, 0, 1, vcc_lo
	v_cmp_eq_u32_e32 vcc_lo, 3, v8
	v_cndmask_b32_e64 v8, 0, 1, vcc_lo
	v_cmp_ne_u32_e32 vcc_lo, 0, v2
	s_delay_alu instid0(VALU_DEP_2) | instskip(SKIP_1) | instid1(VALU_DEP_1)
	v_or_b32_e32 v8, v8, v9
	v_mov_b32_e32 v9, 0x7e00
	v_dual_cndmask_b32 v2, 0x7c00, v9 :: v_dual_add_nc_u32 v3, v3, v8
	v_cmp_gt_i32_e32 vcc_lo, 31, v5
	s_delay_alu instid0(VALU_DEP_2) | instskip(SKIP_1) | instid1(VALU_DEP_2)
	v_dual_cndmask_b32 v3, 0x7c00, v3 :: v_dual_lshrrev_b32 v8, 16, v1
	v_cmp_eq_u32_e32 vcc_lo, 0x40f, v5
	v_cndmask_b32_e32 v2, v3, v2, vcc_lo
	s_delay_alu instid0(VALU_DEP_3) | instskip(NEXT) | instid1(VALU_DEP_1)
	v_and_b32_e32 v3, 0x8000, v8
	v_bitop3_b32 v2, v3, 0xffff, v2 bitop3:0xc8
	global_store_b32 v[6:7], v2, off
.LBB7_2072:
	s_mov_b32 s0, 0
.LBB7_2073:
	s_delay_alu instid0(SALU_CYCLE_1)
	s_and_not1_b32 vcc_lo, exec_lo, s0
	s_cbranch_vccnz .LBB7_2082
; %bb.2074:
	s_cmp_lt_i32 s2, 6
	s_mov_b32 s0, -1
	s_cbranch_scc1 .LBB7_2080
; %bb.2075:
	s_cmp_gt_i32 s2, 6
	s_cbranch_scc0 .LBB7_2077
; %bb.2076:
	s_mov_b32 s0, 0
	global_store_b64 v[6:7], v[0:1], off
.LBB7_2077:
	s_and_not1_b32 vcc_lo, exec_lo, s0
	s_cbranch_vccnz .LBB7_2079
; %bb.2078:
	s_wait_xcnt 0x0
	v_cvt_f32_f64_e32 v2, v[0:1]
	global_store_b32 v[6:7], v2, off
.LBB7_2079:
	s_mov_b32 s0, 0
.LBB7_2080:
	s_delay_alu instid0(SALU_CYCLE_1)
	s_and_not1_b32 vcc_lo, exec_lo, s0
	s_cbranch_vccnz .LBB7_2082
; %bb.2081:
	s_wait_xcnt 0x0
	v_and_or_b32 v2, 0x1ff, v1, v0
	v_lshrrev_b32_e32 v3, 8, v1
	v_bfe_u32 v5, v1, 20, 11
	s_delay_alu instid0(VALU_DEP_3) | instskip(NEXT) | instid1(VALU_DEP_2)
	v_cmp_ne_u32_e32 vcc_lo, 0, v2
	v_sub_nc_u32_e32 v8, 0x3f1, v5
	v_add_nc_u32_e32 v5, 0xfffffc10, v5
	v_cndmask_b32_e64 v2, 0, 1, vcc_lo
	s_delay_alu instid0(VALU_DEP_1) | instskip(NEXT) | instid1(VALU_DEP_4)
	v_and_or_b32 v2, 0xffe, v3, v2
	v_med3_i32 v3, v8, 0, 13
	s_delay_alu instid0(VALU_DEP_2) | instskip(NEXT) | instid1(VALU_DEP_1)
	v_or_b32_e32 v8, 0x1000, v2
	v_lshrrev_b32_e32 v9, v3, v8
	s_delay_alu instid0(VALU_DEP_1) | instskip(NEXT) | instid1(VALU_DEP_1)
	v_lshlrev_b32_e32 v3, v3, v9
	v_cmp_ne_u32_e32 vcc_lo, v3, v8
	v_lshl_or_b32 v8, v5, 12, v2
	v_cndmask_b32_e64 v3, 0, 1, vcc_lo
	v_cmp_gt_i32_e32 vcc_lo, 1, v5
	s_delay_alu instid0(VALU_DEP_2) | instskip(NEXT) | instid1(VALU_DEP_1)
	v_or_b32_e32 v3, v9, v3
	v_cndmask_b32_e32 v3, v8, v3, vcc_lo
	s_delay_alu instid0(VALU_DEP_1) | instskip(NEXT) | instid1(VALU_DEP_1)
	v_dual_lshrrev_b32 v3, 2, v3 :: v_dual_bitop2_b32 v8, 7, v3 bitop3:0x40
	v_cmp_lt_i32_e32 vcc_lo, 5, v8
	v_cndmask_b32_e64 v9, 0, 1, vcc_lo
	v_cmp_eq_u32_e32 vcc_lo, 3, v8
	v_cndmask_b32_e64 v8, 0, 1, vcc_lo
	v_cmp_ne_u32_e32 vcc_lo, 0, v2
	s_delay_alu instid0(VALU_DEP_2) | instskip(SKIP_1) | instid1(VALU_DEP_1)
	v_or_b32_e32 v8, v8, v9
	v_mov_b32_e32 v9, 0x7e00
	v_dual_cndmask_b32 v2, 0x7c00, v9 :: v_dual_add_nc_u32 v3, v3, v8
	v_cmp_gt_i32_e32 vcc_lo, 31, v5
	s_delay_alu instid0(VALU_DEP_2) | instskip(SKIP_1) | instid1(VALU_DEP_2)
	v_cndmask_b32_e32 v3, 0x7c00, v3, vcc_lo
	v_cmp_eq_u32_e32 vcc_lo, 0x40f, v5
	v_dual_cndmask_b32 v2, v3, v2 :: v_dual_lshrrev_b32 v3, 16, v1
	s_delay_alu instid0(VALU_DEP_1)
	v_and_or_b32 v2, 0x8000, v3, v2
	global_store_b16 v[6:7], v2, off
.LBB7_2082:
	s_mov_b32 s0, 0
.LBB7_2083:
	s_delay_alu instid0(SALU_CYCLE_1)
	s_and_not1_b32 vcc_lo, exec_lo, s0
	s_cbranch_vccnz .LBB7_2099
; %bb.2084:
	s_cmp_lt_i32 s2, 2
	s_mov_b32 s0, -1
	s_cbranch_scc1 .LBB7_2094
; %bb.2085:
	s_cmp_lt_i32 s2, 3
	s_cbranch_scc1 .LBB7_2091
; %bb.2086:
	s_cmp_gt_i32 s2, 3
	s_cbranch_scc0 .LBB7_2088
; %bb.2087:
	s_wait_xcnt 0x0
	v_trunc_f64_e32 v[2:3], v[0:1]
	s_mov_b32 s0, 0
	s_delay_alu instid0(VALU_DEP_1) | instskip(NEXT) | instid1(VALU_DEP_1)
	v_ldexp_f64 v[8:9], v[2:3], 0xffffffe0
	v_floor_f64_e32 v[8:9], v[8:9]
	s_delay_alu instid0(VALU_DEP_1) | instskip(SKIP_1) | instid1(VALU_DEP_2)
	v_fmamk_f64 v[2:3], v[8:9], 0xc1f00000, v[2:3]
	v_cvt_i32_f64_e32 v9, v[8:9]
	v_cvt_u32_f64_e32 v8, v[2:3]
	global_store_b64 v[6:7], v[8:9], off
.LBB7_2088:
	s_and_not1_b32 vcc_lo, exec_lo, s0
	s_cbranch_vccnz .LBB7_2090
; %bb.2089:
	s_wait_xcnt 0x0
	v_cvt_i32_f64_e32 v2, v[0:1]
	global_store_b32 v[6:7], v2, off
.LBB7_2090:
	s_mov_b32 s0, 0
.LBB7_2091:
	s_delay_alu instid0(SALU_CYCLE_1)
	s_and_not1_b32 vcc_lo, exec_lo, s0
	s_cbranch_vccnz .LBB7_2093
; %bb.2092:
	s_wait_xcnt 0x0
	v_cvt_i32_f64_e32 v2, v[0:1]
	global_store_b16 v[6:7], v2, off
.LBB7_2093:
	s_mov_b32 s0, 0
.LBB7_2094:
	s_delay_alu instid0(SALU_CYCLE_1)
	s_and_not1_b32 vcc_lo, exec_lo, s0
	s_cbranch_vccnz .LBB7_2099
; %bb.2095:
	s_cmp_gt_i32 s2, 0
	s_mov_b32 s0, -1
	s_cbranch_scc0 .LBB7_2097
; %bb.2096:
	s_wait_xcnt 0x0
	v_cvt_i32_f64_e32 v2, v[0:1]
	s_mov_b32 s0, 0
	global_store_b8 v[6:7], v2, off
.LBB7_2097:
	s_and_not1_b32 vcc_lo, exec_lo, s0
	s_cbranch_vccnz .LBB7_2099
; %bb.2098:
	s_wait_xcnt 0x0
	v_trunc_f64_e32 v[0:1], v[0:1]
	s_delay_alu instid0(VALU_DEP_1) | instskip(NEXT) | instid1(VALU_DEP_1)
	v_ldexp_f64 v[2:3], v[0:1], 0xffffffe0
	v_floor_f64_e32 v[2:3], v[2:3]
	s_delay_alu instid0(VALU_DEP_1) | instskip(NEXT) | instid1(VALU_DEP_1)
	v_fmamk_f64 v[0:1], v[2:3], 0xc1f00000, v[0:1]
	v_cvt_u32_f64_e32 v0, v[0:1]
	global_store_b8 v[6:7], v0, off
.LBB7_2099:
	s_branch .LBB7_1985
.LBB7_2100:
	s_mov_b32 s0, 0
	s_wait_xcnt 0x0
	s_mov_b32 s3, 0
                                        ; implicit-def: $vgpr6_vgpr7
                                        ; implicit-def: $sgpr6
                                        ; implicit-def: $vgpr0_vgpr1
.LBB7_2101:
	s_and_not1_b32 s2, s11, exec_lo
	s_and_b32 s1, s1, exec_lo
	s_and_b32 s0, s0, exec_lo
	;; [unrolled: 1-line block ×3, first 2 shown]
	s_or_b32 s11, s2, s1
.LBB7_2102:
	s_wait_xcnt 0x0
	s_or_b32 exec_lo, exec_lo, s12
	s_and_saveexec_b32 s1, s11
	s_cbranch_execz .LBB7_2105
; %bb.2103:
	; divergent unreachable
	s_or_b32 exec_lo, exec_lo, s1
	s_and_saveexec_b32 s1, s34
	s_delay_alu instid0(SALU_CYCLE_1)
	s_xor_b32 s1, exec_lo, s1
	s_cbranch_execnz .LBB7_2106
.LBB7_2104:
	s_or_b32 exec_lo, exec_lo, s1
	s_and_saveexec_b32 s1, s0
	s_cbranch_execnz .LBB7_2107
	s_branch .LBB7_2144
.LBB7_2105:
	s_or_b32 exec_lo, exec_lo, s1
	s_and_saveexec_b32 s1, s34
	s_delay_alu instid0(SALU_CYCLE_1)
	s_xor_b32 s1, exec_lo, s1
	s_cbranch_execz .LBB7_2104
.LBB7_2106:
	v_cmp_neq_f64_e32 vcc_lo, 0, v[0:1]
	s_wait_loadcnt 0x0
	v_cndmask_b32_e64 v2, 0, 1, vcc_lo
	global_store_b8 v[6:7], v2, off
	s_wait_xcnt 0x0
	s_or_b32 exec_lo, exec_lo, s1
	s_and_saveexec_b32 s1, s0
	s_cbranch_execz .LBB7_2144
.LBB7_2107:
	s_sext_i32_i16 s1, s6
	s_mov_b32 s0, -1
	s_cmp_lt_i32 s1, 5
	s_cbranch_scc1 .LBB7_2128
; %bb.2108:
	s_cmp_lt_i32 s1, 8
	s_cbranch_scc1 .LBB7_2118
; %bb.2109:
	;; [unrolled: 3-line block ×3, first 2 shown]
	s_cmp_gt_i32 s1, 9
	s_cbranch_scc0 .LBB7_2112
; %bb.2111:
	s_wait_loadcnt 0x0
	v_mov_b32_e32 v2, 0
	s_mov_b32 s0, 0
	s_delay_alu instid0(VALU_DEP_1)
	v_mov_b32_e32 v3, v2
	global_store_b128 v[6:7], v[0:3], off
.LBB7_2112:
	s_and_not1_b32 vcc_lo, exec_lo, s0
	s_cbranch_vccnz .LBB7_2114
; %bb.2113:
	s_wait_loadcnt 0x0
	v_cvt_f32_f64_e32 v2, v[0:1]
	v_mov_b32_e32 v3, 0
	global_store_b64 v[6:7], v[2:3], off
.LBB7_2114:
	s_mov_b32 s0, 0
.LBB7_2115:
	s_delay_alu instid0(SALU_CYCLE_1)
	s_and_not1_b32 vcc_lo, exec_lo, s0
	s_cbranch_vccnz .LBB7_2117
; %bb.2116:
	s_wait_loadcnt 0x0
	v_and_or_b32 v2, 0x1ff, v1, v0
	v_lshrrev_b32_e32 v3, 8, v1
	v_bfe_u32 v4, v1, 20, 11
	s_delay_alu instid0(VALU_DEP_3) | instskip(NEXT) | instid1(VALU_DEP_2)
	v_cmp_ne_u32_e32 vcc_lo, 0, v2
	v_sub_nc_u32_e32 v5, 0x3f1, v4
	v_add_nc_u32_e32 v4, 0xfffffc10, v4
	v_cndmask_b32_e64 v2, 0, 1, vcc_lo
	s_delay_alu instid0(VALU_DEP_1) | instskip(NEXT) | instid1(VALU_DEP_4)
	v_and_or_b32 v2, 0xffe, v3, v2
	v_med3_i32 v3, v5, 0, 13
	s_delay_alu instid0(VALU_DEP_2) | instskip(NEXT) | instid1(VALU_DEP_1)
	v_or_b32_e32 v5, 0x1000, v2
	v_lshrrev_b32_e32 v8, v3, v5
	s_delay_alu instid0(VALU_DEP_1) | instskip(NEXT) | instid1(VALU_DEP_1)
	v_lshlrev_b32_e32 v3, v3, v8
	v_cmp_ne_u32_e32 vcc_lo, v3, v5
	v_lshl_or_b32 v5, v4, 12, v2
	v_cndmask_b32_e64 v3, 0, 1, vcc_lo
	v_cmp_gt_i32_e32 vcc_lo, 1, v4
	s_delay_alu instid0(VALU_DEP_2) | instskip(NEXT) | instid1(VALU_DEP_1)
	v_or_b32_e32 v3, v8, v3
	v_cndmask_b32_e32 v3, v5, v3, vcc_lo
	s_delay_alu instid0(VALU_DEP_1) | instskip(NEXT) | instid1(VALU_DEP_1)
	v_dual_lshrrev_b32 v3, 2, v3 :: v_dual_bitop2_b32 v5, 7, v3 bitop3:0x40
	v_cmp_lt_i32_e32 vcc_lo, 5, v5
	v_cndmask_b32_e64 v8, 0, 1, vcc_lo
	v_cmp_eq_u32_e32 vcc_lo, 3, v5
	v_cndmask_b32_e64 v5, 0, 1, vcc_lo
	v_cmp_ne_u32_e32 vcc_lo, 0, v2
	s_delay_alu instid0(VALU_DEP_2) | instskip(NEXT) | instid1(VALU_DEP_1)
	v_or_b32_e32 v5, v5, v8
	v_dual_mov_b32 v8, 0x7e00 :: v_dual_add_nc_u32 v3, v3, v5
	s_delay_alu instid0(VALU_DEP_1) | instskip(SKIP_2) | instid1(VALU_DEP_4)
	v_cndmask_b32_e32 v2, 0x7c00, v8, vcc_lo
	v_cmp_gt_i32_e32 vcc_lo, 31, v4
	v_lshrrev_b32_e32 v5, 16, v1
	v_cndmask_b32_e32 v3, 0x7c00, v3, vcc_lo
	v_cmp_eq_u32_e32 vcc_lo, 0x40f, v4
	s_delay_alu instid0(VALU_DEP_2) | instskip(NEXT) | instid1(VALU_DEP_4)
	v_cndmask_b32_e32 v2, v3, v2, vcc_lo
	v_and_b32_e32 v3, 0x8000, v5
	s_delay_alu instid0(VALU_DEP_1)
	v_bitop3_b32 v2, v3, 0xffff, v2 bitop3:0xc8
	global_store_b32 v[6:7], v2, off
.LBB7_2117:
	s_mov_b32 s0, 0
.LBB7_2118:
	s_delay_alu instid0(SALU_CYCLE_1)
	s_and_not1_b32 vcc_lo, exec_lo, s0
	s_cbranch_vccnz .LBB7_2127
; %bb.2119:
	s_sext_i32_i16 s1, s6
	s_mov_b32 s0, -1
	s_cmp_lt_i32 s1, 6
	s_cbranch_scc1 .LBB7_2125
; %bb.2120:
	s_cmp_gt_i32 s1, 6
	s_cbranch_scc0 .LBB7_2122
; %bb.2121:
	s_mov_b32 s0, 0
	s_wait_loadcnt 0x0
	global_store_b64 v[6:7], v[0:1], off
.LBB7_2122:
	s_and_not1_b32 vcc_lo, exec_lo, s0
	s_cbranch_vccnz .LBB7_2124
; %bb.2123:
	s_wait_loadcnt 0x0
	v_cvt_f32_f64_e32 v2, v[0:1]
	global_store_b32 v[6:7], v2, off
.LBB7_2124:
	s_mov_b32 s0, 0
.LBB7_2125:
	s_delay_alu instid0(SALU_CYCLE_1)
	s_and_not1_b32 vcc_lo, exec_lo, s0
	s_cbranch_vccnz .LBB7_2127
; %bb.2126:
	s_wait_loadcnt 0x0
	v_and_or_b32 v2, 0x1ff, v1, v0
	v_lshrrev_b32_e32 v3, 8, v1
	v_bfe_u32 v4, v1, 20, 11
	s_delay_alu instid0(VALU_DEP_3) | instskip(NEXT) | instid1(VALU_DEP_2)
	v_cmp_ne_u32_e32 vcc_lo, 0, v2
	v_sub_nc_u32_e32 v5, 0x3f1, v4
	v_add_nc_u32_e32 v4, 0xfffffc10, v4
	v_cndmask_b32_e64 v2, 0, 1, vcc_lo
	s_delay_alu instid0(VALU_DEP_1) | instskip(NEXT) | instid1(VALU_DEP_4)
	v_and_or_b32 v2, 0xffe, v3, v2
	v_med3_i32 v3, v5, 0, 13
	s_delay_alu instid0(VALU_DEP_2) | instskip(NEXT) | instid1(VALU_DEP_1)
	v_or_b32_e32 v5, 0x1000, v2
	v_lshrrev_b32_e32 v8, v3, v5
	s_delay_alu instid0(VALU_DEP_1) | instskip(NEXT) | instid1(VALU_DEP_1)
	v_lshlrev_b32_e32 v3, v3, v8
	v_cmp_ne_u32_e32 vcc_lo, v3, v5
	v_lshl_or_b32 v5, v4, 12, v2
	v_cndmask_b32_e64 v3, 0, 1, vcc_lo
	v_cmp_gt_i32_e32 vcc_lo, 1, v4
	s_delay_alu instid0(VALU_DEP_2) | instskip(NEXT) | instid1(VALU_DEP_1)
	v_or_b32_e32 v3, v8, v3
	v_cndmask_b32_e32 v3, v5, v3, vcc_lo
	s_delay_alu instid0(VALU_DEP_1) | instskip(NEXT) | instid1(VALU_DEP_1)
	v_dual_lshrrev_b32 v3, 2, v3 :: v_dual_bitop2_b32 v5, 7, v3 bitop3:0x40
	v_cmp_lt_i32_e32 vcc_lo, 5, v5
	v_cndmask_b32_e64 v8, 0, 1, vcc_lo
	v_cmp_eq_u32_e32 vcc_lo, 3, v5
	v_cndmask_b32_e64 v5, 0, 1, vcc_lo
	v_cmp_ne_u32_e32 vcc_lo, 0, v2
	s_delay_alu instid0(VALU_DEP_2) | instskip(NEXT) | instid1(VALU_DEP_1)
	v_or_b32_e32 v5, v5, v8
	v_dual_mov_b32 v8, 0x7e00 :: v_dual_add_nc_u32 v3, v3, v5
	s_delay_alu instid0(VALU_DEP_1) | instskip(SKIP_1) | instid1(VALU_DEP_3)
	v_cndmask_b32_e32 v2, 0x7c00, v8, vcc_lo
	v_cmp_gt_i32_e32 vcc_lo, 31, v4
	v_cndmask_b32_e32 v3, 0x7c00, v3, vcc_lo
	v_cmp_eq_u32_e32 vcc_lo, 0x40f, v4
	s_delay_alu instid0(VALU_DEP_2) | instskip(NEXT) | instid1(VALU_DEP_1)
	v_dual_cndmask_b32 v2, v3, v2 :: v_dual_lshrrev_b32 v3, 16, v1
	v_and_or_b32 v2, 0x8000, v3, v2
	global_store_b16 v[6:7], v2, off
.LBB7_2127:
	s_mov_b32 s0, 0
.LBB7_2128:
	s_delay_alu instid0(SALU_CYCLE_1)
	s_and_not1_b32 vcc_lo, exec_lo, s0
	s_cbranch_vccnz .LBB7_2144
; %bb.2129:
	s_sext_i32_i16 s1, s6
	s_mov_b32 s0, -1
	s_cmp_lt_i32 s1, 2
	s_cbranch_scc1 .LBB7_2139
; %bb.2130:
	s_cmp_lt_i32 s1, 3
	s_cbranch_scc1 .LBB7_2136
; %bb.2131:
	s_cmp_gt_i32 s1, 3
	s_cbranch_scc0 .LBB7_2133
; %bb.2132:
	s_wait_loadcnt 0x0
	v_trunc_f64_e32 v[2:3], v[0:1]
	s_mov_b32 s0, 0
	s_delay_alu instid0(VALU_DEP_1) | instskip(NEXT) | instid1(VALU_DEP_1)
	v_ldexp_f64 v[4:5], v[2:3], 0xffffffe0
	v_floor_f64_e32 v[4:5], v[4:5]
	s_delay_alu instid0(VALU_DEP_1) | instskip(SKIP_1) | instid1(VALU_DEP_2)
	v_fmamk_f64 v[2:3], v[4:5], 0xc1f00000, v[2:3]
	v_cvt_i32_f64_e32 v5, v[4:5]
	v_cvt_u32_f64_e32 v4, v[2:3]
	global_store_b64 v[6:7], v[4:5], off
.LBB7_2133:
	s_and_not1_b32 vcc_lo, exec_lo, s0
	s_cbranch_vccnz .LBB7_2135
; %bb.2134:
	s_wait_loadcnt 0x0
	v_cvt_i32_f64_e32 v2, v[0:1]
	global_store_b32 v[6:7], v2, off
.LBB7_2135:
	s_mov_b32 s0, 0
.LBB7_2136:
	s_delay_alu instid0(SALU_CYCLE_1)
	s_and_not1_b32 vcc_lo, exec_lo, s0
	s_cbranch_vccnz .LBB7_2138
; %bb.2137:
	s_wait_loadcnt 0x0
	v_cvt_i32_f64_e32 v2, v[0:1]
	global_store_b16 v[6:7], v2, off
.LBB7_2138:
	s_mov_b32 s0, 0
.LBB7_2139:
	s_delay_alu instid0(SALU_CYCLE_1)
	s_and_not1_b32 vcc_lo, exec_lo, s0
	s_cbranch_vccnz .LBB7_2144
; %bb.2140:
	s_sext_i32_i16 s0, s6
	s_delay_alu instid0(SALU_CYCLE_1)
	s_cmp_gt_i32 s0, 0
	s_mov_b32 s0, -1
	s_cbranch_scc0 .LBB7_2142
; %bb.2141:
	s_wait_loadcnt 0x0
	v_cvt_i32_f64_e32 v2, v[0:1]
	s_mov_b32 s0, 0
	global_store_b8 v[6:7], v2, off
.LBB7_2142:
	s_and_not1_b32 vcc_lo, exec_lo, s0
	s_cbranch_vccnz .LBB7_2144
; %bb.2143:
	s_wait_xcnt 0x0
	v_trunc_f64_e32 v[0:1], v[0:1]
	s_wait_loadcnt 0x0
	s_delay_alu instid0(VALU_DEP_1) | instskip(NEXT) | instid1(VALU_DEP_1)
	v_ldexp_f64 v[2:3], v[0:1], 0xffffffe0
	v_floor_f64_e32 v[2:3], v[2:3]
	s_delay_alu instid0(VALU_DEP_1) | instskip(NEXT) | instid1(VALU_DEP_1)
	v_fmamk_f64 v[0:1], v[2:3], 0xc1f00000, v[0:1]
	v_cvt_u32_f64_e32 v0, v[0:1]
	global_store_b8 v[6:7], v0, off
	s_endpgm
.LBB7_2144:
	s_endpgm
.LBB7_2145:
	s_or_b32 s1, s1, exec_lo
	s_trap 2
	s_cbranch_execz .LBB7_1618
	s_branch .LBB7_1619
.LBB7_2146:
	s_and_not1_saveexec_b32 s13, s13
	s_cbranch_execz .LBB7_1698
.LBB7_2147:
	v_add_f32_e64 v3, 0x46000000, |v2|
	s_and_not1_b32 s10, s10, exec_lo
	s_delay_alu instid0(VALU_DEP_1) | instskip(NEXT) | instid1(VALU_DEP_1)
	v_and_b32_e32 v3, 0xff, v3
	v_cmp_ne_u32_e32 vcc_lo, 0, v3
	s_and_b32 s14, vcc_lo, exec_lo
	s_delay_alu instid0(SALU_CYCLE_1)
	s_or_b32 s10, s10, s14
	s_or_b32 exec_lo, exec_lo, s13
	v_mov_b32_e32 v5, 0
	s_and_saveexec_b32 s13, s10
	s_cbranch_execnz .LBB7_1699
	s_branch .LBB7_1700
.LBB7_2148:
	s_or_b32 s1, s1, exec_lo
	s_trap 2
	s_cbranch_execz .LBB7_1746
	s_branch .LBB7_1747
.LBB7_2149:
	s_and_not1_saveexec_b32 s10, s10
	s_cbranch_execz .LBB7_1711
.LBB7_2150:
	v_add_f32_e64 v3, 0x42800000, |v2|
	s_and_not1_b32 s7, s7, exec_lo
	s_delay_alu instid0(VALU_DEP_1) | instskip(NEXT) | instid1(VALU_DEP_1)
	v_and_b32_e32 v3, 0xff, v3
	v_cmp_ne_u32_e32 vcc_lo, 0, v3
	s_and_b32 s13, vcc_lo, exec_lo
	s_delay_alu instid0(SALU_CYCLE_1)
	s_or_b32 s7, s7, s13
	s_or_b32 exec_lo, exec_lo, s10
	v_mov_b32_e32 v5, 0
	s_and_saveexec_b32 s10, s7
	s_cbranch_execnz .LBB7_1712
	s_branch .LBB7_1713
.LBB7_2151:
	s_and_not1_saveexec_b32 s13, s13
	s_cbranch_execz .LBB7_1816
.LBB7_2152:
	v_add_f32_e64 v3, 0x46000000, |v2|
	s_and_not1_b32 s10, s10, exec_lo
	s_delay_alu instid0(VALU_DEP_1) | instskip(NEXT) | instid1(VALU_DEP_1)
	v_and_b32_e32 v3, 0xff, v3
	v_cmp_ne_u32_e32 vcc_lo, 0, v3
	s_and_b32 s14, vcc_lo, exec_lo
	s_delay_alu instid0(SALU_CYCLE_1)
	s_or_b32 s10, s10, s14
	s_or_b32 exec_lo, exec_lo, s13
	v_mov_b32_e32 v5, 0
	s_and_saveexec_b32 s13, s10
	s_cbranch_execnz .LBB7_1817
	s_branch .LBB7_1818
.LBB7_2153:
	s_or_b32 s1, s1, exec_lo
	s_trap 2
	s_cbranch_execz .LBB7_1864
	s_branch .LBB7_1865
.LBB7_2154:
	s_and_not1_saveexec_b32 s10, s10
	s_cbranch_execz .LBB7_1829
.LBB7_2155:
	v_add_f32_e64 v3, 0x42800000, |v2|
	s_and_not1_b32 s7, s7, exec_lo
	s_delay_alu instid0(VALU_DEP_1) | instskip(NEXT) | instid1(VALU_DEP_1)
	v_and_b32_e32 v3, 0xff, v3
	v_cmp_ne_u32_e32 vcc_lo, 0, v3
	s_and_b32 s13, vcc_lo, exec_lo
	s_delay_alu instid0(SALU_CYCLE_1)
	s_or_b32 s7, s7, s13
	s_or_b32 exec_lo, exec_lo, s10
	v_mov_b32_e32 v5, 0
	s_and_saveexec_b32 s10, s7
	s_cbranch_execnz .LBB7_1830
	s_branch .LBB7_1831
.LBB7_2156:
	s_and_not1_saveexec_b32 s13, s13
	s_cbranch_execz .LBB7_1934
.LBB7_2157:
	v_add_f32_e64 v3, 0x46000000, |v2|
	s_and_not1_b32 s10, s10, exec_lo
	s_delay_alu instid0(VALU_DEP_1) | instskip(NEXT) | instid1(VALU_DEP_1)
	v_and_b32_e32 v3, 0xff, v3
	v_cmp_ne_u32_e32 vcc_lo, 0, v3
	s_and_b32 s14, vcc_lo, exec_lo
	s_delay_alu instid0(SALU_CYCLE_1)
	s_or_b32 s10, s10, s14
	s_or_b32 exec_lo, exec_lo, s13
	v_mov_b32_e32 v5, 0
	s_and_saveexec_b32 s13, s10
	s_cbranch_execnz .LBB7_1935
	s_branch .LBB7_1936
.LBB7_2158:
	s_or_b32 s1, s1, exec_lo
	s_trap 2
	s_cbranch_execz .LBB7_1982
	s_branch .LBB7_1983
.LBB7_2159:
	s_and_not1_saveexec_b32 s10, s10
	s_cbranch_execz .LBB7_1947
.LBB7_2160:
	v_add_f32_e64 v3, 0x42800000, |v2|
	s_and_not1_b32 s7, s7, exec_lo
	s_delay_alu instid0(VALU_DEP_1) | instskip(NEXT) | instid1(VALU_DEP_1)
	v_and_b32_e32 v3, 0xff, v3
	v_cmp_ne_u32_e32 vcc_lo, 0, v3
	s_and_b32 s13, vcc_lo, exec_lo
	s_delay_alu instid0(SALU_CYCLE_1)
	s_or_b32 s7, s7, s13
	s_or_b32 exec_lo, exec_lo, s10
	v_mov_b32_e32 v5, 0
	s_and_saveexec_b32 s10, s7
	s_cbranch_execnz .LBB7_1948
	s_branch .LBB7_1949
.LBB7_2161:
	s_and_not1_saveexec_b32 s7, s7
	s_cbranch_execz .LBB7_2014
.LBB7_2162:
	v_add_f32_e64 v3, 0x46000000, |v2|
	s_and_not1_b32 s5, s5, exec_lo
	s_delay_alu instid0(VALU_DEP_1) | instskip(NEXT) | instid1(VALU_DEP_1)
	v_and_b32_e32 v3, 0xff, v3
	v_cmp_ne_u32_e32 vcc_lo, 0, v3
	s_and_b32 s8, vcc_lo, exec_lo
	s_delay_alu instid0(SALU_CYCLE_1)
	s_or_b32 s5, s5, s8
	s_or_b32 exec_lo, exec_lo, s7
	v_mov_b32_e32 v4, 0
	s_and_saveexec_b32 s7, s5
	s_cbranch_execnz .LBB7_2015
	s_branch .LBB7_2016
.LBB7_2163:
	s_mov_b32 s3, 0
	s_or_b32 s1, s1, exec_lo
	s_trap 2
	s_branch .LBB7_2060
.LBB7_2164:
	s_and_not1_saveexec_b32 s5, s5
	s_cbranch_execz .LBB7_2026
.LBB7_2165:
	v_add_f32_e64 v3, 0x42800000, |v2|
	s_and_not1_b32 s4, s4, exec_lo
	s_delay_alu instid0(VALU_DEP_1) | instskip(NEXT) | instid1(VALU_DEP_1)
	v_and_b32_e32 v3, 0xff, v3
	v_cmp_ne_u32_e32 vcc_lo, 0, v3
	s_and_b32 s7, vcc_lo, exec_lo
	s_delay_alu instid0(SALU_CYCLE_1)
	s_or_b32 s4, s4, s7
	s_or_b32 exec_lo, exec_lo, s5
	v_mov_b32_e32 v4, 0
	s_and_saveexec_b32 s5, s4
	s_cbranch_execnz .LBB7_2027
	s_branch .LBB7_2028
	.section	.rodata,"a",@progbits
	.p2align	6, 0x0
	.amdhsa_kernel _ZN2at6native32elementwise_kernel_manual_unrollILi128ELi4EZNS0_15gpu_kernel_implIZZZNS0_12_GLOBAL__N_117hardshrink_kernelERNS_18TensorIteratorBaseERKN3c106ScalarEENKUlvE_clEvENKUlvE_clEvEUldE_EEvS5_RKT_EUlibE0_EEviT1_
		.amdhsa_group_segment_fixed_size 0
		.amdhsa_private_segment_fixed_size 0
		.amdhsa_kernarg_size 368
		.amdhsa_user_sgpr_count 2
		.amdhsa_user_sgpr_dispatch_ptr 0
		.amdhsa_user_sgpr_queue_ptr 0
		.amdhsa_user_sgpr_kernarg_segment_ptr 1
		.amdhsa_user_sgpr_dispatch_id 0
		.amdhsa_user_sgpr_kernarg_preload_length 0
		.amdhsa_user_sgpr_kernarg_preload_offset 0
		.amdhsa_user_sgpr_private_segment_size 0
		.amdhsa_wavefront_size32 1
		.amdhsa_uses_dynamic_stack 0
		.amdhsa_enable_private_segment 0
		.amdhsa_system_sgpr_workgroup_id_x 1
		.amdhsa_system_sgpr_workgroup_id_y 0
		.amdhsa_system_sgpr_workgroup_id_z 0
		.amdhsa_system_sgpr_workgroup_info 0
		.amdhsa_system_vgpr_workitem_id 0
		.amdhsa_next_free_vgpr 20
		.amdhsa_next_free_sgpr 68
		.amdhsa_named_barrier_count 0
		.amdhsa_reserve_vcc 1
		.amdhsa_float_round_mode_32 0
		.amdhsa_float_round_mode_16_64 0
		.amdhsa_float_denorm_mode_32 3
		.amdhsa_float_denorm_mode_16_64 3
		.amdhsa_fp16_overflow 0
		.amdhsa_memory_ordered 1
		.amdhsa_forward_progress 1
		.amdhsa_inst_pref_size 255
		.amdhsa_round_robin_scheduling 0
		.amdhsa_exception_fp_ieee_invalid_op 0
		.amdhsa_exception_fp_denorm_src 0
		.amdhsa_exception_fp_ieee_div_zero 0
		.amdhsa_exception_fp_ieee_overflow 0
		.amdhsa_exception_fp_ieee_underflow 0
		.amdhsa_exception_fp_ieee_inexact 0
		.amdhsa_exception_int_div_zero 0
	.end_amdhsa_kernel
	.section	.text._ZN2at6native32elementwise_kernel_manual_unrollILi128ELi4EZNS0_15gpu_kernel_implIZZZNS0_12_GLOBAL__N_117hardshrink_kernelERNS_18TensorIteratorBaseERKN3c106ScalarEENKUlvE_clEvENKUlvE_clEvEUldE_EEvS5_RKT_EUlibE0_EEviT1_,"axG",@progbits,_ZN2at6native32elementwise_kernel_manual_unrollILi128ELi4EZNS0_15gpu_kernel_implIZZZNS0_12_GLOBAL__N_117hardshrink_kernelERNS_18TensorIteratorBaseERKN3c106ScalarEENKUlvE_clEvENKUlvE_clEvEUldE_EEvS5_RKT_EUlibE0_EEviT1_,comdat
.Lfunc_end7:
	.size	_ZN2at6native32elementwise_kernel_manual_unrollILi128ELi4EZNS0_15gpu_kernel_implIZZZNS0_12_GLOBAL__N_117hardshrink_kernelERNS_18TensorIteratorBaseERKN3c106ScalarEENKUlvE_clEvENKUlvE_clEvEUldE_EEvS5_RKT_EUlibE0_EEviT1_, .Lfunc_end7-_ZN2at6native32elementwise_kernel_manual_unrollILi128ELi4EZNS0_15gpu_kernel_implIZZZNS0_12_GLOBAL__N_117hardshrink_kernelERNS_18TensorIteratorBaseERKN3c106ScalarEENKUlvE_clEvENKUlvE_clEvEUldE_EEvS5_RKT_EUlibE0_EEviT1_
                                        ; -- End function
	.set _ZN2at6native32elementwise_kernel_manual_unrollILi128ELi4EZNS0_15gpu_kernel_implIZZZNS0_12_GLOBAL__N_117hardshrink_kernelERNS_18TensorIteratorBaseERKN3c106ScalarEENKUlvE_clEvENKUlvE_clEvEUldE_EEvS5_RKT_EUlibE0_EEviT1_.num_vgpr, 20
	.set _ZN2at6native32elementwise_kernel_manual_unrollILi128ELi4EZNS0_15gpu_kernel_implIZZZNS0_12_GLOBAL__N_117hardshrink_kernelERNS_18TensorIteratorBaseERKN3c106ScalarEENKUlvE_clEvENKUlvE_clEvEUldE_EEvS5_RKT_EUlibE0_EEviT1_.num_agpr, 0
	.set _ZN2at6native32elementwise_kernel_manual_unrollILi128ELi4EZNS0_15gpu_kernel_implIZZZNS0_12_GLOBAL__N_117hardshrink_kernelERNS_18TensorIteratorBaseERKN3c106ScalarEENKUlvE_clEvENKUlvE_clEvEUldE_EEvS5_RKT_EUlibE0_EEviT1_.numbered_sgpr, 68
	.set _ZN2at6native32elementwise_kernel_manual_unrollILi128ELi4EZNS0_15gpu_kernel_implIZZZNS0_12_GLOBAL__N_117hardshrink_kernelERNS_18TensorIteratorBaseERKN3c106ScalarEENKUlvE_clEvENKUlvE_clEvEUldE_EEvS5_RKT_EUlibE0_EEviT1_.num_named_barrier, 0
	.set _ZN2at6native32elementwise_kernel_manual_unrollILi128ELi4EZNS0_15gpu_kernel_implIZZZNS0_12_GLOBAL__N_117hardshrink_kernelERNS_18TensorIteratorBaseERKN3c106ScalarEENKUlvE_clEvENKUlvE_clEvEUldE_EEvS5_RKT_EUlibE0_EEviT1_.private_seg_size, 0
	.set _ZN2at6native32elementwise_kernel_manual_unrollILi128ELi4EZNS0_15gpu_kernel_implIZZZNS0_12_GLOBAL__N_117hardshrink_kernelERNS_18TensorIteratorBaseERKN3c106ScalarEENKUlvE_clEvENKUlvE_clEvEUldE_EEvS5_RKT_EUlibE0_EEviT1_.uses_vcc, 1
	.set _ZN2at6native32elementwise_kernel_manual_unrollILi128ELi4EZNS0_15gpu_kernel_implIZZZNS0_12_GLOBAL__N_117hardshrink_kernelERNS_18TensorIteratorBaseERKN3c106ScalarEENKUlvE_clEvENKUlvE_clEvEUldE_EEvS5_RKT_EUlibE0_EEviT1_.uses_flat_scratch, 0
	.set _ZN2at6native32elementwise_kernel_manual_unrollILi128ELi4EZNS0_15gpu_kernel_implIZZZNS0_12_GLOBAL__N_117hardshrink_kernelERNS_18TensorIteratorBaseERKN3c106ScalarEENKUlvE_clEvENKUlvE_clEvEUldE_EEvS5_RKT_EUlibE0_EEviT1_.has_dyn_sized_stack, 0
	.set _ZN2at6native32elementwise_kernel_manual_unrollILi128ELi4EZNS0_15gpu_kernel_implIZZZNS0_12_GLOBAL__N_117hardshrink_kernelERNS_18TensorIteratorBaseERKN3c106ScalarEENKUlvE_clEvENKUlvE_clEvEUldE_EEvS5_RKT_EUlibE0_EEviT1_.has_recursion, 0
	.set _ZN2at6native32elementwise_kernel_manual_unrollILi128ELi4EZNS0_15gpu_kernel_implIZZZNS0_12_GLOBAL__N_117hardshrink_kernelERNS_18TensorIteratorBaseERKN3c106ScalarEENKUlvE_clEvENKUlvE_clEvEUldE_EEvS5_RKT_EUlibE0_EEviT1_.has_indirect_call, 0
	.section	.AMDGPU.csdata,"",@progbits
; Kernel info:
; codeLenInByte = 47168
; TotalNumSgprs: 70
; NumVgprs: 20
; ScratchSize: 0
; MemoryBound: 1
; FloatMode: 240
; IeeeMode: 1
; LDSByteSize: 0 bytes/workgroup (compile time only)
; SGPRBlocks: 0
; VGPRBlocks: 1
; NumSGPRsForWavesPerEU: 70
; NumVGPRsForWavesPerEU: 20
; NamedBarCnt: 0
; Occupancy: 16
; WaveLimiterHint : 1
; COMPUTE_PGM_RSRC2:SCRATCH_EN: 0
; COMPUTE_PGM_RSRC2:USER_SGPR: 2
; COMPUTE_PGM_RSRC2:TRAP_HANDLER: 0
; COMPUTE_PGM_RSRC2:TGID_X_EN: 1
; COMPUTE_PGM_RSRC2:TGID_Y_EN: 0
; COMPUTE_PGM_RSRC2:TGID_Z_EN: 0
; COMPUTE_PGM_RSRC2:TIDIG_COMP_CNT: 0
	.section	.text._ZN2at6native29vectorized_elementwise_kernelILi16EZZZNS0_12_GLOBAL__N_117hardshrink_kernelERNS_18TensorIteratorBaseERKN3c106ScalarEENKUlvE_clEvENKUlvE0_clEvEUlfE_St5arrayIPcLm2EEEEviT0_T1_,"axG",@progbits,_ZN2at6native29vectorized_elementwise_kernelILi16EZZZNS0_12_GLOBAL__N_117hardshrink_kernelERNS_18TensorIteratorBaseERKN3c106ScalarEENKUlvE_clEvENKUlvE0_clEvEUlfE_St5arrayIPcLm2EEEEviT0_T1_,comdat
	.globl	_ZN2at6native29vectorized_elementwise_kernelILi16EZZZNS0_12_GLOBAL__N_117hardshrink_kernelERNS_18TensorIteratorBaseERKN3c106ScalarEENKUlvE_clEvENKUlvE0_clEvEUlfE_St5arrayIPcLm2EEEEviT0_T1_ ; -- Begin function _ZN2at6native29vectorized_elementwise_kernelILi16EZZZNS0_12_GLOBAL__N_117hardshrink_kernelERNS_18TensorIteratorBaseERKN3c106ScalarEENKUlvE_clEvENKUlvE0_clEvEUlfE_St5arrayIPcLm2EEEEviT0_T1_
	.p2align	8
	.type	_ZN2at6native29vectorized_elementwise_kernelILi16EZZZNS0_12_GLOBAL__N_117hardshrink_kernelERNS_18TensorIteratorBaseERKN3c106ScalarEENKUlvE_clEvENKUlvE0_clEvEUlfE_St5arrayIPcLm2EEEEviT0_T1_,@function
_ZN2at6native29vectorized_elementwise_kernelILi16EZZZNS0_12_GLOBAL__N_117hardshrink_kernelERNS_18TensorIteratorBaseERKN3c106ScalarEENKUlvE_clEvENKUlvE0_clEvEUlfE_St5arrayIPcLm2EEEEviT0_T1_: ; @_ZN2at6native29vectorized_elementwise_kernelILi16EZZZNS0_12_GLOBAL__N_117hardshrink_kernelERNS_18TensorIteratorBaseERKN3c106ScalarEENKUlvE_clEvENKUlvE0_clEvEUlfE_St5arrayIPcLm2EEEEviT0_T1_
; %bb.0:
	s_clause 0x1
	s_load_b64 s[2:3], s[0:1], 0x0
	s_load_b128 s[4:7], s[0:1], 0x8
	s_wait_xcnt 0x0
	s_bfe_u32 s0, ttmp6, 0x4000c
	s_and_b32 s1, ttmp6, 15
	s_add_co_i32 s0, s0, 1
	s_getreg_b32 s8, hwreg(HW_REG_IB_STS2, 6, 4)
	s_mul_i32 s0, ttmp9, s0
	s_delay_alu instid0(SALU_CYCLE_1) | instskip(SKIP_2) | instid1(SALU_CYCLE_1)
	s_add_co_i32 s1, s1, s0
	s_cmp_eq_u32 s8, 0
	s_cselect_b32 s0, ttmp9, s1
	s_lshl_b32 s8, s0, 10
	s_mov_b32 s0, -1
	s_wait_kmcnt 0x0
	s_sub_co_i32 s10, s2, s8
	s_delay_alu instid0(SALU_CYCLE_1)
	s_cmp_gt_i32 s10, 0x3ff
	s_cbranch_scc0 .LBB8_2
; %bb.1:
	s_ashr_i32 s9, s8, 31
	s_delay_alu instid0(SALU_CYCLE_1) | instskip(NEXT) | instid1(SALU_CYCLE_1)
	s_lshl_b64 s[12:13], s[8:9], 2
	s_add_nc_u64 s[0:1], s[6:7], s[12:13]
	s_add_nc_u64 s[12:13], s[4:5], s[12:13]
	global_load_b128 v[2:5], v0, s[0:1] scale_offset
	s_wait_loadcnt 0x0
	v_cmp_nge_f32_e64 s9, v3, -s3
	v_cmp_nge_f32_e32 vcc_lo, s3, v3
	v_cmp_nge_f32_e64 s11, v2, -s3
	v_cmp_nge_f32_e64 s0, s3, v2
	v_cmp_nge_f32_e64 s14, v5, -s3
	v_cmp_nge_f32_e64 s1, s3, v5
	s_or_b32 vcc_lo, s9, vcc_lo
	v_cmp_nge_f32_e64 s15, v4, -s3
	v_cmp_nge_f32_e64 s2, s3, v4
	v_cndmask_b32_e32 v3, 0, v3, vcc_lo
	s_or_b32 vcc_lo, s11, s0
	s_mov_b32 s0, 0
	v_cndmask_b32_e32 v2, 0, v2, vcc_lo
	s_or_b32 vcc_lo, s14, s1
	v_cndmask_b32_e32 v5, 0, v5, vcc_lo
	s_or_b32 vcc_lo, s15, s2
	v_cndmask_b32_e32 v4, 0, v4, vcc_lo
	global_store_b128 v0, v[2:5], s[12:13] scale_offset
.LBB8_2:
	s_and_not1_b32 vcc_lo, exec_lo, s0
	s_cbranch_vccnz .LBB8_16
; %bb.3:
	v_cmp_gt_i32_e32 vcc_lo, s10, v0
	s_wait_xcnt 0x0
	v_dual_mov_b32 v3, 0 :: v_dual_bitop2_b32 v1, s8, v0 bitop3:0x54
	v_or_b32_e32 v2, 0x100, v0
	v_dual_mov_b32 v4, 0 :: v_dual_mov_b32 v6, v0
	s_and_saveexec_b32 s0, vcc_lo
	s_cbranch_execz .LBB8_5
; %bb.4:
	global_load_b32 v4, v1, s[6:7] scale_offset
	v_or_b32_e32 v6, 0x100, v0
.LBB8_5:
	s_wait_xcnt 0x0
	s_or_b32 exec_lo, exec_lo, s0
	s_delay_alu instid0(SALU_CYCLE_1) | instskip(NEXT) | instid1(VALU_DEP_1)
	s_mov_b32 s1, exec_lo
	v_cmpx_gt_i32_e64 s10, v6
	s_cbranch_execz .LBB8_7
; %bb.6:
	v_add_nc_u32_e32 v3, s8, v6
	v_add_nc_u32_e32 v6, 0x100, v6
	global_load_b32 v3, v3, s[6:7] scale_offset
.LBB8_7:
	s_wait_xcnt 0x0
	s_or_b32 exec_lo, exec_lo, s1
	v_dual_mov_b32 v5, 0 :: v_dual_mov_b32 v7, 0
	s_mov_b32 s1, exec_lo
	v_cmpx_gt_i32_e64 s10, v6
	s_cbranch_execz .LBB8_9
; %bb.8:
	v_add_nc_u32_e32 v7, s8, v6
	v_add_nc_u32_e32 v6, 0x100, v6
	global_load_b32 v7, v7, s[6:7] scale_offset
.LBB8_9:
	s_wait_xcnt 0x0
	s_or_b32 exec_lo, exec_lo, s1
	s_delay_alu instid0(SALU_CYCLE_1)
	s_mov_b32 s1, exec_lo
	v_cmpx_gt_i32_e64 s10, v6
	s_cbranch_execz .LBB8_11
; %bb.10:
	v_add_nc_u32_e32 v5, s8, v6
	global_load_b32 v5, v5, s[6:7] scale_offset
.LBB8_11:
	s_wait_xcnt 0x0
	s_or_b32 exec_lo, exec_lo, s1
	s_wait_loadcnt 0x0
	v_cmp_nge_f32_e64 s2, v4, -s3
	v_cmp_nge_f32_e64 s0, s3, v4
	v_cmp_nge_f32_e64 s6, v3, -s3
	v_cmp_nge_f32_e64 s1, s3, v3
	v_or_b32_e32 v8, 0x300, v0
	s_or_b32 s0, s2, s0
	v_cmp_nge_f32_e64 s2, v7, -s3
	s_or_b32 s1, s6, s1
	s_delay_alu instid0(SALU_CYCLE_1) | instskip(SKIP_4) | instid1(SALU_CYCLE_1)
	v_dual_cndmask_b32 v4, 0, v4, s0 :: v_dual_cndmask_b32 v3, 0, v3, s1
	v_cmp_nge_f32_e64 s0, s3, v7
	v_cmp_nge_f32_e64 s6, v5, -s3
	v_cmp_nge_f32_e64 s1, s3, v5
	s_or_b32 s0, s2, s0
	v_dual_cndmask_b32 v6, 0, v4, vcc_lo :: v_dual_cndmask_b32 v7, 0, v7, s0
	s_or_b32 s0, s6, s1
	v_or_b32_e32 v4, 0x200, v0
	v_cndmask_b32_e64 v9, 0, v5, s0
	v_cmp_gt_i32_e64 s0, s10, v2
	s_delay_alu instid0(VALU_DEP_1) | instskip(NEXT) | instid1(VALU_DEP_4)
	v_cndmask_b32_e64 v5, 0, v3, s0
	v_cmp_gt_i32_e64 s0, s10, v4
	s_delay_alu instid0(VALU_DEP_1) | instskip(SKIP_1) | instid1(VALU_DEP_1)
	v_cndmask_b32_e64 v4, 0, v7, s0
	v_cmp_gt_i32_e64 s0, s10, v8
	v_cndmask_b32_e64 v3, 0, v9, s0
	s_and_saveexec_b32 s0, vcc_lo
	s_cbranch_execnz .LBB8_17
; %bb.12:
	s_or_b32 exec_lo, exec_lo, s0
	s_delay_alu instid0(SALU_CYCLE_1)
	s_mov_b32 s0, exec_lo
	v_cmpx_gt_i32_e64 s10, v0
	s_cbranch_execnz .LBB8_18
.LBB8_13:
	s_or_b32 exec_lo, exec_lo, s0
	s_delay_alu instid0(SALU_CYCLE_1)
	s_mov_b32 s0, exec_lo
	v_cmpx_gt_i32_e64 s10, v0
	s_cbranch_execnz .LBB8_19
.LBB8_14:
	s_or_b32 exec_lo, exec_lo, s0
	s_delay_alu instid0(SALU_CYCLE_1)
	s_mov_b32 s0, exec_lo
	v_cmpx_gt_i32_e64 s10, v0
	s_cbranch_execz .LBB8_16
.LBB8_15:
	v_add_nc_u32_e32 v0, s8, v0
	global_store_b32 v0, v3, s[4:5] scale_offset
.LBB8_16:
	s_endpgm
.LBB8_17:
	v_mov_b32_e32 v0, v2
	global_store_b32 v1, v6, s[4:5] scale_offset
	s_wait_xcnt 0x0
	s_or_b32 exec_lo, exec_lo, s0
	s_delay_alu instid0(SALU_CYCLE_1)
	s_mov_b32 s0, exec_lo
	v_cmpx_gt_i32_e64 s10, v0
	s_cbranch_execz .LBB8_13
.LBB8_18:
	v_add_nc_u32_e32 v1, s8, v0
	v_add_nc_u32_e32 v0, 0x100, v0
	global_store_b32 v1, v5, s[4:5] scale_offset
	s_wait_xcnt 0x0
	s_or_b32 exec_lo, exec_lo, s0
	s_delay_alu instid0(SALU_CYCLE_1)
	s_mov_b32 s0, exec_lo
	v_cmpx_gt_i32_e64 s10, v0
	s_cbranch_execz .LBB8_14
.LBB8_19:
	v_add_nc_u32_e32 v1, s8, v0
	v_add_nc_u32_e32 v0, 0x100, v0
	global_store_b32 v1, v4, s[4:5] scale_offset
	s_wait_xcnt 0x0
	s_or_b32 exec_lo, exec_lo, s0
	s_delay_alu instid0(SALU_CYCLE_1)
	s_mov_b32 s0, exec_lo
	v_cmpx_gt_i32_e64 s10, v0
	s_cbranch_execnz .LBB8_15
	s_branch .LBB8_16
	.section	.rodata,"a",@progbits
	.p2align	6, 0x0
	.amdhsa_kernel _ZN2at6native29vectorized_elementwise_kernelILi16EZZZNS0_12_GLOBAL__N_117hardshrink_kernelERNS_18TensorIteratorBaseERKN3c106ScalarEENKUlvE_clEvENKUlvE0_clEvEUlfE_St5arrayIPcLm2EEEEviT0_T1_
		.amdhsa_group_segment_fixed_size 0
		.amdhsa_private_segment_fixed_size 0
		.amdhsa_kernarg_size 24
		.amdhsa_user_sgpr_count 2
		.amdhsa_user_sgpr_dispatch_ptr 0
		.amdhsa_user_sgpr_queue_ptr 0
		.amdhsa_user_sgpr_kernarg_segment_ptr 1
		.amdhsa_user_sgpr_dispatch_id 0
		.amdhsa_user_sgpr_kernarg_preload_length 0
		.amdhsa_user_sgpr_kernarg_preload_offset 0
		.amdhsa_user_sgpr_private_segment_size 0
		.amdhsa_wavefront_size32 1
		.amdhsa_uses_dynamic_stack 0
		.amdhsa_enable_private_segment 0
		.amdhsa_system_sgpr_workgroup_id_x 1
		.amdhsa_system_sgpr_workgroup_id_y 0
		.amdhsa_system_sgpr_workgroup_id_z 0
		.amdhsa_system_sgpr_workgroup_info 0
		.amdhsa_system_vgpr_workitem_id 0
		.amdhsa_next_free_vgpr 10
		.amdhsa_next_free_sgpr 16
		.amdhsa_named_barrier_count 0
		.amdhsa_reserve_vcc 1
		.amdhsa_float_round_mode_32 0
		.amdhsa_float_round_mode_16_64 0
		.amdhsa_float_denorm_mode_32 3
		.amdhsa_float_denorm_mode_16_64 3
		.amdhsa_fp16_overflow 0
		.amdhsa_memory_ordered 1
		.amdhsa_forward_progress 1
		.amdhsa_inst_pref_size 8
		.amdhsa_round_robin_scheduling 0
		.amdhsa_exception_fp_ieee_invalid_op 0
		.amdhsa_exception_fp_denorm_src 0
		.amdhsa_exception_fp_ieee_div_zero 0
		.amdhsa_exception_fp_ieee_overflow 0
		.amdhsa_exception_fp_ieee_underflow 0
		.amdhsa_exception_fp_ieee_inexact 0
		.amdhsa_exception_int_div_zero 0
	.end_amdhsa_kernel
	.section	.text._ZN2at6native29vectorized_elementwise_kernelILi16EZZZNS0_12_GLOBAL__N_117hardshrink_kernelERNS_18TensorIteratorBaseERKN3c106ScalarEENKUlvE_clEvENKUlvE0_clEvEUlfE_St5arrayIPcLm2EEEEviT0_T1_,"axG",@progbits,_ZN2at6native29vectorized_elementwise_kernelILi16EZZZNS0_12_GLOBAL__N_117hardshrink_kernelERNS_18TensorIteratorBaseERKN3c106ScalarEENKUlvE_clEvENKUlvE0_clEvEUlfE_St5arrayIPcLm2EEEEviT0_T1_,comdat
.Lfunc_end8:
	.size	_ZN2at6native29vectorized_elementwise_kernelILi16EZZZNS0_12_GLOBAL__N_117hardshrink_kernelERNS_18TensorIteratorBaseERKN3c106ScalarEENKUlvE_clEvENKUlvE0_clEvEUlfE_St5arrayIPcLm2EEEEviT0_T1_, .Lfunc_end8-_ZN2at6native29vectorized_elementwise_kernelILi16EZZZNS0_12_GLOBAL__N_117hardshrink_kernelERNS_18TensorIteratorBaseERKN3c106ScalarEENKUlvE_clEvENKUlvE0_clEvEUlfE_St5arrayIPcLm2EEEEviT0_T1_
                                        ; -- End function
	.set _ZN2at6native29vectorized_elementwise_kernelILi16EZZZNS0_12_GLOBAL__N_117hardshrink_kernelERNS_18TensorIteratorBaseERKN3c106ScalarEENKUlvE_clEvENKUlvE0_clEvEUlfE_St5arrayIPcLm2EEEEviT0_T1_.num_vgpr, 10
	.set _ZN2at6native29vectorized_elementwise_kernelILi16EZZZNS0_12_GLOBAL__N_117hardshrink_kernelERNS_18TensorIteratorBaseERKN3c106ScalarEENKUlvE_clEvENKUlvE0_clEvEUlfE_St5arrayIPcLm2EEEEviT0_T1_.num_agpr, 0
	.set _ZN2at6native29vectorized_elementwise_kernelILi16EZZZNS0_12_GLOBAL__N_117hardshrink_kernelERNS_18TensorIteratorBaseERKN3c106ScalarEENKUlvE_clEvENKUlvE0_clEvEUlfE_St5arrayIPcLm2EEEEviT0_T1_.numbered_sgpr, 16
	.set _ZN2at6native29vectorized_elementwise_kernelILi16EZZZNS0_12_GLOBAL__N_117hardshrink_kernelERNS_18TensorIteratorBaseERKN3c106ScalarEENKUlvE_clEvENKUlvE0_clEvEUlfE_St5arrayIPcLm2EEEEviT0_T1_.num_named_barrier, 0
	.set _ZN2at6native29vectorized_elementwise_kernelILi16EZZZNS0_12_GLOBAL__N_117hardshrink_kernelERNS_18TensorIteratorBaseERKN3c106ScalarEENKUlvE_clEvENKUlvE0_clEvEUlfE_St5arrayIPcLm2EEEEviT0_T1_.private_seg_size, 0
	.set _ZN2at6native29vectorized_elementwise_kernelILi16EZZZNS0_12_GLOBAL__N_117hardshrink_kernelERNS_18TensorIteratorBaseERKN3c106ScalarEENKUlvE_clEvENKUlvE0_clEvEUlfE_St5arrayIPcLm2EEEEviT0_T1_.uses_vcc, 1
	.set _ZN2at6native29vectorized_elementwise_kernelILi16EZZZNS0_12_GLOBAL__N_117hardshrink_kernelERNS_18TensorIteratorBaseERKN3c106ScalarEENKUlvE_clEvENKUlvE0_clEvEUlfE_St5arrayIPcLm2EEEEviT0_T1_.uses_flat_scratch, 0
	.set _ZN2at6native29vectorized_elementwise_kernelILi16EZZZNS0_12_GLOBAL__N_117hardshrink_kernelERNS_18TensorIteratorBaseERKN3c106ScalarEENKUlvE_clEvENKUlvE0_clEvEUlfE_St5arrayIPcLm2EEEEviT0_T1_.has_dyn_sized_stack, 0
	.set _ZN2at6native29vectorized_elementwise_kernelILi16EZZZNS0_12_GLOBAL__N_117hardshrink_kernelERNS_18TensorIteratorBaseERKN3c106ScalarEENKUlvE_clEvENKUlvE0_clEvEUlfE_St5arrayIPcLm2EEEEviT0_T1_.has_recursion, 0
	.set _ZN2at6native29vectorized_elementwise_kernelILi16EZZZNS0_12_GLOBAL__N_117hardshrink_kernelERNS_18TensorIteratorBaseERKN3c106ScalarEENKUlvE_clEvENKUlvE0_clEvEUlfE_St5arrayIPcLm2EEEEviT0_T1_.has_indirect_call, 0
	.section	.AMDGPU.csdata,"",@progbits
; Kernel info:
; codeLenInByte = 924
; TotalNumSgprs: 18
; NumVgprs: 10
; ScratchSize: 0
; MemoryBound: 0
; FloatMode: 240
; IeeeMode: 1
; LDSByteSize: 0 bytes/workgroup (compile time only)
; SGPRBlocks: 0
; VGPRBlocks: 0
; NumSGPRsForWavesPerEU: 18
; NumVGPRsForWavesPerEU: 10
; NamedBarCnt: 0
; Occupancy: 16
; WaveLimiterHint : 0
; COMPUTE_PGM_RSRC2:SCRATCH_EN: 0
; COMPUTE_PGM_RSRC2:USER_SGPR: 2
; COMPUTE_PGM_RSRC2:TRAP_HANDLER: 0
; COMPUTE_PGM_RSRC2:TGID_X_EN: 1
; COMPUTE_PGM_RSRC2:TGID_Y_EN: 0
; COMPUTE_PGM_RSRC2:TGID_Z_EN: 0
; COMPUTE_PGM_RSRC2:TIDIG_COMP_CNT: 0
	.section	.text._ZN2at6native29vectorized_elementwise_kernelILi8EZZZNS0_12_GLOBAL__N_117hardshrink_kernelERNS_18TensorIteratorBaseERKN3c106ScalarEENKUlvE_clEvENKUlvE0_clEvEUlfE_St5arrayIPcLm2EEEEviT0_T1_,"axG",@progbits,_ZN2at6native29vectorized_elementwise_kernelILi8EZZZNS0_12_GLOBAL__N_117hardshrink_kernelERNS_18TensorIteratorBaseERKN3c106ScalarEENKUlvE_clEvENKUlvE0_clEvEUlfE_St5arrayIPcLm2EEEEviT0_T1_,comdat
	.globl	_ZN2at6native29vectorized_elementwise_kernelILi8EZZZNS0_12_GLOBAL__N_117hardshrink_kernelERNS_18TensorIteratorBaseERKN3c106ScalarEENKUlvE_clEvENKUlvE0_clEvEUlfE_St5arrayIPcLm2EEEEviT0_T1_ ; -- Begin function _ZN2at6native29vectorized_elementwise_kernelILi8EZZZNS0_12_GLOBAL__N_117hardshrink_kernelERNS_18TensorIteratorBaseERKN3c106ScalarEENKUlvE_clEvENKUlvE0_clEvEUlfE_St5arrayIPcLm2EEEEviT0_T1_
	.p2align	8
	.type	_ZN2at6native29vectorized_elementwise_kernelILi8EZZZNS0_12_GLOBAL__N_117hardshrink_kernelERNS_18TensorIteratorBaseERKN3c106ScalarEENKUlvE_clEvENKUlvE0_clEvEUlfE_St5arrayIPcLm2EEEEviT0_T1_,@function
_ZN2at6native29vectorized_elementwise_kernelILi8EZZZNS0_12_GLOBAL__N_117hardshrink_kernelERNS_18TensorIteratorBaseERKN3c106ScalarEENKUlvE_clEvENKUlvE0_clEvEUlfE_St5arrayIPcLm2EEEEviT0_T1_: ; @_ZN2at6native29vectorized_elementwise_kernelILi8EZZZNS0_12_GLOBAL__N_117hardshrink_kernelERNS_18TensorIteratorBaseERKN3c106ScalarEENKUlvE_clEvENKUlvE0_clEvEUlfE_St5arrayIPcLm2EEEEviT0_T1_
; %bb.0:
	s_clause 0x1
	s_load_b64 s[2:3], s[0:1], 0x0
	s_load_b128 s[4:7], s[0:1], 0x8
	s_wait_xcnt 0x0
	s_bfe_u32 s0, ttmp6, 0x4000c
	s_and_b32 s1, ttmp6, 15
	s_add_co_i32 s0, s0, 1
	s_getreg_b32 s8, hwreg(HW_REG_IB_STS2, 6, 4)
	s_mul_i32 s0, ttmp9, s0
	s_delay_alu instid0(SALU_CYCLE_1) | instskip(SKIP_2) | instid1(SALU_CYCLE_1)
	s_add_co_i32 s1, s1, s0
	s_cmp_eq_u32 s8, 0
	s_cselect_b32 s0, ttmp9, s1
	s_lshl_b32 s8, s0, 10
	s_mov_b32 s0, -1
	s_wait_kmcnt 0x0
	s_sub_co_i32 s10, s2, s8
	s_delay_alu instid0(SALU_CYCLE_1)
	s_cmp_gt_i32 s10, 0x3ff
	s_cbranch_scc0 .LBB9_2
; %bb.1:
	s_ashr_i32 s9, s8, 31
	s_delay_alu instid0(SALU_CYCLE_1) | instskip(NEXT) | instid1(SALU_CYCLE_1)
	s_lshl_b64 s[12:13], s[8:9], 2
	s_add_nc_u64 s[0:1], s[6:7], s[12:13]
	s_add_nc_u64 s[12:13], s[4:5], s[12:13]
	global_load_b128 v[2:5], v0, s[0:1] scale_offset
	s_wait_loadcnt 0x0
	v_cmp_nge_f32_e64 s9, v3, -s3
	v_cmp_nge_f32_e32 vcc_lo, s3, v3
	v_cmp_nge_f32_e64 s11, v2, -s3
	v_cmp_nge_f32_e64 s0, s3, v2
	v_cmp_nge_f32_e64 s14, v5, -s3
	v_cmp_nge_f32_e64 s1, s3, v5
	s_or_b32 vcc_lo, s9, vcc_lo
	v_cmp_nge_f32_e64 s15, v4, -s3
	v_cmp_nge_f32_e64 s2, s3, v4
	v_cndmask_b32_e32 v3, 0, v3, vcc_lo
	s_or_b32 vcc_lo, s11, s0
	s_mov_b32 s0, 0
	v_cndmask_b32_e32 v2, 0, v2, vcc_lo
	s_or_b32 vcc_lo, s14, s1
	v_cndmask_b32_e32 v5, 0, v5, vcc_lo
	s_or_b32 vcc_lo, s15, s2
	v_cndmask_b32_e32 v4, 0, v4, vcc_lo
	global_store_b128 v0, v[2:5], s[12:13] scale_offset
.LBB9_2:
	s_and_not1_b32 vcc_lo, exec_lo, s0
	s_cbranch_vccnz .LBB9_16
; %bb.3:
	v_cmp_gt_i32_e32 vcc_lo, s10, v0
	s_wait_xcnt 0x0
	v_dual_mov_b32 v3, 0 :: v_dual_bitop2_b32 v1, s8, v0 bitop3:0x54
	v_or_b32_e32 v2, 0x100, v0
	v_dual_mov_b32 v4, 0 :: v_dual_mov_b32 v6, v0
	s_and_saveexec_b32 s0, vcc_lo
	s_cbranch_execz .LBB9_5
; %bb.4:
	global_load_b32 v4, v1, s[6:7] scale_offset
	v_or_b32_e32 v6, 0x100, v0
.LBB9_5:
	s_wait_xcnt 0x0
	s_or_b32 exec_lo, exec_lo, s0
	s_delay_alu instid0(SALU_CYCLE_1) | instskip(NEXT) | instid1(VALU_DEP_1)
	s_mov_b32 s1, exec_lo
	v_cmpx_gt_i32_e64 s10, v6
	s_cbranch_execz .LBB9_7
; %bb.6:
	v_add_nc_u32_e32 v3, s8, v6
	v_add_nc_u32_e32 v6, 0x100, v6
	global_load_b32 v3, v3, s[6:7] scale_offset
.LBB9_7:
	s_wait_xcnt 0x0
	s_or_b32 exec_lo, exec_lo, s1
	v_dual_mov_b32 v5, 0 :: v_dual_mov_b32 v7, 0
	s_mov_b32 s1, exec_lo
	v_cmpx_gt_i32_e64 s10, v6
	s_cbranch_execz .LBB9_9
; %bb.8:
	v_add_nc_u32_e32 v7, s8, v6
	v_add_nc_u32_e32 v6, 0x100, v6
	global_load_b32 v7, v7, s[6:7] scale_offset
.LBB9_9:
	s_wait_xcnt 0x0
	s_or_b32 exec_lo, exec_lo, s1
	s_delay_alu instid0(SALU_CYCLE_1)
	s_mov_b32 s1, exec_lo
	v_cmpx_gt_i32_e64 s10, v6
	s_cbranch_execz .LBB9_11
; %bb.10:
	v_add_nc_u32_e32 v5, s8, v6
	global_load_b32 v5, v5, s[6:7] scale_offset
.LBB9_11:
	s_wait_xcnt 0x0
	s_or_b32 exec_lo, exec_lo, s1
	s_wait_loadcnt 0x0
	v_cmp_nge_f32_e64 s2, v4, -s3
	v_cmp_nge_f32_e64 s0, s3, v4
	v_cmp_nge_f32_e64 s6, v3, -s3
	v_cmp_nge_f32_e64 s1, s3, v3
	v_or_b32_e32 v8, 0x300, v0
	s_or_b32 s0, s2, s0
	v_cmp_nge_f32_e64 s2, v7, -s3
	s_or_b32 s1, s6, s1
	s_delay_alu instid0(SALU_CYCLE_1) | instskip(SKIP_4) | instid1(SALU_CYCLE_1)
	v_dual_cndmask_b32 v4, 0, v4, s0 :: v_dual_cndmask_b32 v3, 0, v3, s1
	v_cmp_nge_f32_e64 s0, s3, v7
	v_cmp_nge_f32_e64 s6, v5, -s3
	v_cmp_nge_f32_e64 s1, s3, v5
	s_or_b32 s0, s2, s0
	v_dual_cndmask_b32 v6, 0, v4, vcc_lo :: v_dual_cndmask_b32 v7, 0, v7, s0
	s_or_b32 s0, s6, s1
	v_or_b32_e32 v4, 0x200, v0
	v_cndmask_b32_e64 v9, 0, v5, s0
	v_cmp_gt_i32_e64 s0, s10, v2
	s_delay_alu instid0(VALU_DEP_1) | instskip(NEXT) | instid1(VALU_DEP_4)
	v_cndmask_b32_e64 v5, 0, v3, s0
	v_cmp_gt_i32_e64 s0, s10, v4
	s_delay_alu instid0(VALU_DEP_1) | instskip(SKIP_1) | instid1(VALU_DEP_1)
	v_cndmask_b32_e64 v4, 0, v7, s0
	v_cmp_gt_i32_e64 s0, s10, v8
	v_cndmask_b32_e64 v3, 0, v9, s0
	s_and_saveexec_b32 s0, vcc_lo
	s_cbranch_execnz .LBB9_17
; %bb.12:
	s_or_b32 exec_lo, exec_lo, s0
	s_delay_alu instid0(SALU_CYCLE_1)
	s_mov_b32 s0, exec_lo
	v_cmpx_gt_i32_e64 s10, v0
	s_cbranch_execnz .LBB9_18
.LBB9_13:
	s_or_b32 exec_lo, exec_lo, s0
	s_delay_alu instid0(SALU_CYCLE_1)
	s_mov_b32 s0, exec_lo
	v_cmpx_gt_i32_e64 s10, v0
	s_cbranch_execnz .LBB9_19
.LBB9_14:
	s_or_b32 exec_lo, exec_lo, s0
	s_delay_alu instid0(SALU_CYCLE_1)
	s_mov_b32 s0, exec_lo
	v_cmpx_gt_i32_e64 s10, v0
	s_cbranch_execz .LBB9_16
.LBB9_15:
	v_add_nc_u32_e32 v0, s8, v0
	global_store_b32 v0, v3, s[4:5] scale_offset
.LBB9_16:
	s_endpgm
.LBB9_17:
	v_mov_b32_e32 v0, v2
	global_store_b32 v1, v6, s[4:5] scale_offset
	s_wait_xcnt 0x0
	s_or_b32 exec_lo, exec_lo, s0
	s_delay_alu instid0(SALU_CYCLE_1)
	s_mov_b32 s0, exec_lo
	v_cmpx_gt_i32_e64 s10, v0
	s_cbranch_execz .LBB9_13
.LBB9_18:
	v_add_nc_u32_e32 v1, s8, v0
	v_add_nc_u32_e32 v0, 0x100, v0
	global_store_b32 v1, v5, s[4:5] scale_offset
	s_wait_xcnt 0x0
	s_or_b32 exec_lo, exec_lo, s0
	s_delay_alu instid0(SALU_CYCLE_1)
	s_mov_b32 s0, exec_lo
	v_cmpx_gt_i32_e64 s10, v0
	s_cbranch_execz .LBB9_14
.LBB9_19:
	v_add_nc_u32_e32 v1, s8, v0
	v_add_nc_u32_e32 v0, 0x100, v0
	global_store_b32 v1, v4, s[4:5] scale_offset
	s_wait_xcnt 0x0
	s_or_b32 exec_lo, exec_lo, s0
	s_delay_alu instid0(SALU_CYCLE_1)
	s_mov_b32 s0, exec_lo
	v_cmpx_gt_i32_e64 s10, v0
	s_cbranch_execnz .LBB9_15
	s_branch .LBB9_16
	.section	.rodata,"a",@progbits
	.p2align	6, 0x0
	.amdhsa_kernel _ZN2at6native29vectorized_elementwise_kernelILi8EZZZNS0_12_GLOBAL__N_117hardshrink_kernelERNS_18TensorIteratorBaseERKN3c106ScalarEENKUlvE_clEvENKUlvE0_clEvEUlfE_St5arrayIPcLm2EEEEviT0_T1_
		.amdhsa_group_segment_fixed_size 0
		.amdhsa_private_segment_fixed_size 0
		.amdhsa_kernarg_size 24
		.amdhsa_user_sgpr_count 2
		.amdhsa_user_sgpr_dispatch_ptr 0
		.amdhsa_user_sgpr_queue_ptr 0
		.amdhsa_user_sgpr_kernarg_segment_ptr 1
		.amdhsa_user_sgpr_dispatch_id 0
		.amdhsa_user_sgpr_kernarg_preload_length 0
		.amdhsa_user_sgpr_kernarg_preload_offset 0
		.amdhsa_user_sgpr_private_segment_size 0
		.amdhsa_wavefront_size32 1
		.amdhsa_uses_dynamic_stack 0
		.amdhsa_enable_private_segment 0
		.amdhsa_system_sgpr_workgroup_id_x 1
		.amdhsa_system_sgpr_workgroup_id_y 0
		.amdhsa_system_sgpr_workgroup_id_z 0
		.amdhsa_system_sgpr_workgroup_info 0
		.amdhsa_system_vgpr_workitem_id 0
		.amdhsa_next_free_vgpr 10
		.amdhsa_next_free_sgpr 16
		.amdhsa_named_barrier_count 0
		.amdhsa_reserve_vcc 1
		.amdhsa_float_round_mode_32 0
		.amdhsa_float_round_mode_16_64 0
		.amdhsa_float_denorm_mode_32 3
		.amdhsa_float_denorm_mode_16_64 3
		.amdhsa_fp16_overflow 0
		.amdhsa_memory_ordered 1
		.amdhsa_forward_progress 1
		.amdhsa_inst_pref_size 8
		.amdhsa_round_robin_scheduling 0
		.amdhsa_exception_fp_ieee_invalid_op 0
		.amdhsa_exception_fp_denorm_src 0
		.amdhsa_exception_fp_ieee_div_zero 0
		.amdhsa_exception_fp_ieee_overflow 0
		.amdhsa_exception_fp_ieee_underflow 0
		.amdhsa_exception_fp_ieee_inexact 0
		.amdhsa_exception_int_div_zero 0
	.end_amdhsa_kernel
	.section	.text._ZN2at6native29vectorized_elementwise_kernelILi8EZZZNS0_12_GLOBAL__N_117hardshrink_kernelERNS_18TensorIteratorBaseERKN3c106ScalarEENKUlvE_clEvENKUlvE0_clEvEUlfE_St5arrayIPcLm2EEEEviT0_T1_,"axG",@progbits,_ZN2at6native29vectorized_elementwise_kernelILi8EZZZNS0_12_GLOBAL__N_117hardshrink_kernelERNS_18TensorIteratorBaseERKN3c106ScalarEENKUlvE_clEvENKUlvE0_clEvEUlfE_St5arrayIPcLm2EEEEviT0_T1_,comdat
.Lfunc_end9:
	.size	_ZN2at6native29vectorized_elementwise_kernelILi8EZZZNS0_12_GLOBAL__N_117hardshrink_kernelERNS_18TensorIteratorBaseERKN3c106ScalarEENKUlvE_clEvENKUlvE0_clEvEUlfE_St5arrayIPcLm2EEEEviT0_T1_, .Lfunc_end9-_ZN2at6native29vectorized_elementwise_kernelILi8EZZZNS0_12_GLOBAL__N_117hardshrink_kernelERNS_18TensorIteratorBaseERKN3c106ScalarEENKUlvE_clEvENKUlvE0_clEvEUlfE_St5arrayIPcLm2EEEEviT0_T1_
                                        ; -- End function
	.set _ZN2at6native29vectorized_elementwise_kernelILi8EZZZNS0_12_GLOBAL__N_117hardshrink_kernelERNS_18TensorIteratorBaseERKN3c106ScalarEENKUlvE_clEvENKUlvE0_clEvEUlfE_St5arrayIPcLm2EEEEviT0_T1_.num_vgpr, 10
	.set _ZN2at6native29vectorized_elementwise_kernelILi8EZZZNS0_12_GLOBAL__N_117hardshrink_kernelERNS_18TensorIteratorBaseERKN3c106ScalarEENKUlvE_clEvENKUlvE0_clEvEUlfE_St5arrayIPcLm2EEEEviT0_T1_.num_agpr, 0
	.set _ZN2at6native29vectorized_elementwise_kernelILi8EZZZNS0_12_GLOBAL__N_117hardshrink_kernelERNS_18TensorIteratorBaseERKN3c106ScalarEENKUlvE_clEvENKUlvE0_clEvEUlfE_St5arrayIPcLm2EEEEviT0_T1_.numbered_sgpr, 16
	.set _ZN2at6native29vectorized_elementwise_kernelILi8EZZZNS0_12_GLOBAL__N_117hardshrink_kernelERNS_18TensorIteratorBaseERKN3c106ScalarEENKUlvE_clEvENKUlvE0_clEvEUlfE_St5arrayIPcLm2EEEEviT0_T1_.num_named_barrier, 0
	.set _ZN2at6native29vectorized_elementwise_kernelILi8EZZZNS0_12_GLOBAL__N_117hardshrink_kernelERNS_18TensorIteratorBaseERKN3c106ScalarEENKUlvE_clEvENKUlvE0_clEvEUlfE_St5arrayIPcLm2EEEEviT0_T1_.private_seg_size, 0
	.set _ZN2at6native29vectorized_elementwise_kernelILi8EZZZNS0_12_GLOBAL__N_117hardshrink_kernelERNS_18TensorIteratorBaseERKN3c106ScalarEENKUlvE_clEvENKUlvE0_clEvEUlfE_St5arrayIPcLm2EEEEviT0_T1_.uses_vcc, 1
	.set _ZN2at6native29vectorized_elementwise_kernelILi8EZZZNS0_12_GLOBAL__N_117hardshrink_kernelERNS_18TensorIteratorBaseERKN3c106ScalarEENKUlvE_clEvENKUlvE0_clEvEUlfE_St5arrayIPcLm2EEEEviT0_T1_.uses_flat_scratch, 0
	.set _ZN2at6native29vectorized_elementwise_kernelILi8EZZZNS0_12_GLOBAL__N_117hardshrink_kernelERNS_18TensorIteratorBaseERKN3c106ScalarEENKUlvE_clEvENKUlvE0_clEvEUlfE_St5arrayIPcLm2EEEEviT0_T1_.has_dyn_sized_stack, 0
	.set _ZN2at6native29vectorized_elementwise_kernelILi8EZZZNS0_12_GLOBAL__N_117hardshrink_kernelERNS_18TensorIteratorBaseERKN3c106ScalarEENKUlvE_clEvENKUlvE0_clEvEUlfE_St5arrayIPcLm2EEEEviT0_T1_.has_recursion, 0
	.set _ZN2at6native29vectorized_elementwise_kernelILi8EZZZNS0_12_GLOBAL__N_117hardshrink_kernelERNS_18TensorIteratorBaseERKN3c106ScalarEENKUlvE_clEvENKUlvE0_clEvEUlfE_St5arrayIPcLm2EEEEviT0_T1_.has_indirect_call, 0
	.section	.AMDGPU.csdata,"",@progbits
; Kernel info:
; codeLenInByte = 924
; TotalNumSgprs: 18
; NumVgprs: 10
; ScratchSize: 0
; MemoryBound: 0
; FloatMode: 240
; IeeeMode: 1
; LDSByteSize: 0 bytes/workgroup (compile time only)
; SGPRBlocks: 0
; VGPRBlocks: 0
; NumSGPRsForWavesPerEU: 18
; NumVGPRsForWavesPerEU: 10
; NamedBarCnt: 0
; Occupancy: 16
; WaveLimiterHint : 0
; COMPUTE_PGM_RSRC2:SCRATCH_EN: 0
; COMPUTE_PGM_RSRC2:USER_SGPR: 2
; COMPUTE_PGM_RSRC2:TRAP_HANDLER: 0
; COMPUTE_PGM_RSRC2:TGID_X_EN: 1
; COMPUTE_PGM_RSRC2:TGID_Y_EN: 0
; COMPUTE_PGM_RSRC2:TGID_Z_EN: 0
; COMPUTE_PGM_RSRC2:TIDIG_COMP_CNT: 0
	.section	.text._ZN2at6native29vectorized_elementwise_kernelILi4EZZZNS0_12_GLOBAL__N_117hardshrink_kernelERNS_18TensorIteratorBaseERKN3c106ScalarEENKUlvE_clEvENKUlvE0_clEvEUlfE_St5arrayIPcLm2EEEEviT0_T1_,"axG",@progbits,_ZN2at6native29vectorized_elementwise_kernelILi4EZZZNS0_12_GLOBAL__N_117hardshrink_kernelERNS_18TensorIteratorBaseERKN3c106ScalarEENKUlvE_clEvENKUlvE0_clEvEUlfE_St5arrayIPcLm2EEEEviT0_T1_,comdat
	.globl	_ZN2at6native29vectorized_elementwise_kernelILi4EZZZNS0_12_GLOBAL__N_117hardshrink_kernelERNS_18TensorIteratorBaseERKN3c106ScalarEENKUlvE_clEvENKUlvE0_clEvEUlfE_St5arrayIPcLm2EEEEviT0_T1_ ; -- Begin function _ZN2at6native29vectorized_elementwise_kernelILi4EZZZNS0_12_GLOBAL__N_117hardshrink_kernelERNS_18TensorIteratorBaseERKN3c106ScalarEENKUlvE_clEvENKUlvE0_clEvEUlfE_St5arrayIPcLm2EEEEviT0_T1_
	.p2align	8
	.type	_ZN2at6native29vectorized_elementwise_kernelILi4EZZZNS0_12_GLOBAL__N_117hardshrink_kernelERNS_18TensorIteratorBaseERKN3c106ScalarEENKUlvE_clEvENKUlvE0_clEvEUlfE_St5arrayIPcLm2EEEEviT0_T1_,@function
_ZN2at6native29vectorized_elementwise_kernelILi4EZZZNS0_12_GLOBAL__N_117hardshrink_kernelERNS_18TensorIteratorBaseERKN3c106ScalarEENKUlvE_clEvENKUlvE0_clEvEUlfE_St5arrayIPcLm2EEEEviT0_T1_: ; @_ZN2at6native29vectorized_elementwise_kernelILi4EZZZNS0_12_GLOBAL__N_117hardshrink_kernelERNS_18TensorIteratorBaseERKN3c106ScalarEENKUlvE_clEvENKUlvE0_clEvEUlfE_St5arrayIPcLm2EEEEviT0_T1_
; %bb.0:
	s_clause 0x1
	s_load_b64 s[2:3], s[0:1], 0x0
	s_load_b128 s[4:7], s[0:1], 0x8
	s_wait_xcnt 0x0
	s_bfe_u32 s0, ttmp6, 0x4000c
	s_and_b32 s1, ttmp6, 15
	s_add_co_i32 s0, s0, 1
	s_getreg_b32 s8, hwreg(HW_REG_IB_STS2, 6, 4)
	s_mul_i32 s0, ttmp9, s0
	s_delay_alu instid0(SALU_CYCLE_1) | instskip(SKIP_2) | instid1(SALU_CYCLE_1)
	s_add_co_i32 s1, s1, s0
	s_cmp_eq_u32 s8, 0
	s_cselect_b32 s0, ttmp9, s1
	s_lshl_b32 s8, s0, 10
	s_mov_b32 s0, -1
	s_wait_kmcnt 0x0
	s_sub_co_i32 s10, s2, s8
	s_delay_alu instid0(SALU_CYCLE_1)
	s_cmp_gt_i32 s10, 0x3ff
	s_cbranch_scc0 .LBB10_2
; %bb.1:
	s_ashr_i32 s9, s8, 31
	s_delay_alu instid0(SALU_CYCLE_1) | instskip(NEXT) | instid1(SALU_CYCLE_1)
	s_lshl_b64 s[12:13], s[8:9], 2
	s_add_nc_u64 s[0:1], s[6:7], s[12:13]
	s_add_nc_u64 s[12:13], s[4:5], s[12:13]
	global_load_b128 v[2:5], v0, s[0:1] scale_offset
	s_wait_loadcnt 0x0
	v_cmp_nge_f32_e64 s9, v3, -s3
	v_cmp_nge_f32_e32 vcc_lo, s3, v3
	v_cmp_nge_f32_e64 s11, v2, -s3
	v_cmp_nge_f32_e64 s0, s3, v2
	v_cmp_nge_f32_e64 s14, v5, -s3
	v_cmp_nge_f32_e64 s1, s3, v5
	s_or_b32 vcc_lo, s9, vcc_lo
	v_cmp_nge_f32_e64 s15, v4, -s3
	v_cmp_nge_f32_e64 s2, s3, v4
	v_cndmask_b32_e32 v3, 0, v3, vcc_lo
	s_or_b32 vcc_lo, s11, s0
	s_mov_b32 s0, 0
	v_cndmask_b32_e32 v2, 0, v2, vcc_lo
	s_or_b32 vcc_lo, s14, s1
	v_cndmask_b32_e32 v5, 0, v5, vcc_lo
	s_or_b32 vcc_lo, s15, s2
	v_cndmask_b32_e32 v4, 0, v4, vcc_lo
	global_store_b128 v0, v[2:5], s[12:13] scale_offset
.LBB10_2:
	s_and_not1_b32 vcc_lo, exec_lo, s0
	s_cbranch_vccnz .LBB10_16
; %bb.3:
	v_cmp_gt_i32_e32 vcc_lo, s10, v0
	s_wait_xcnt 0x0
	v_dual_mov_b32 v3, 0 :: v_dual_bitop2_b32 v1, s8, v0 bitop3:0x54
	v_or_b32_e32 v2, 0x100, v0
	v_dual_mov_b32 v4, 0 :: v_dual_mov_b32 v6, v0
	s_and_saveexec_b32 s0, vcc_lo
	s_cbranch_execz .LBB10_5
; %bb.4:
	global_load_b32 v4, v1, s[6:7] scale_offset
	v_or_b32_e32 v6, 0x100, v0
.LBB10_5:
	s_wait_xcnt 0x0
	s_or_b32 exec_lo, exec_lo, s0
	s_delay_alu instid0(SALU_CYCLE_1) | instskip(NEXT) | instid1(VALU_DEP_1)
	s_mov_b32 s1, exec_lo
	v_cmpx_gt_i32_e64 s10, v6
	s_cbranch_execz .LBB10_7
; %bb.6:
	v_add_nc_u32_e32 v3, s8, v6
	v_add_nc_u32_e32 v6, 0x100, v6
	global_load_b32 v3, v3, s[6:7] scale_offset
.LBB10_7:
	s_wait_xcnt 0x0
	s_or_b32 exec_lo, exec_lo, s1
	v_dual_mov_b32 v5, 0 :: v_dual_mov_b32 v7, 0
	s_mov_b32 s1, exec_lo
	v_cmpx_gt_i32_e64 s10, v6
	s_cbranch_execz .LBB10_9
; %bb.8:
	v_add_nc_u32_e32 v7, s8, v6
	v_add_nc_u32_e32 v6, 0x100, v6
	global_load_b32 v7, v7, s[6:7] scale_offset
.LBB10_9:
	s_wait_xcnt 0x0
	s_or_b32 exec_lo, exec_lo, s1
	s_delay_alu instid0(SALU_CYCLE_1)
	s_mov_b32 s1, exec_lo
	v_cmpx_gt_i32_e64 s10, v6
	s_cbranch_execz .LBB10_11
; %bb.10:
	v_add_nc_u32_e32 v5, s8, v6
	global_load_b32 v5, v5, s[6:7] scale_offset
.LBB10_11:
	s_wait_xcnt 0x0
	s_or_b32 exec_lo, exec_lo, s1
	s_wait_loadcnt 0x0
	v_cmp_nge_f32_e64 s2, v4, -s3
	v_cmp_nge_f32_e64 s0, s3, v4
	v_cmp_nge_f32_e64 s6, v3, -s3
	v_cmp_nge_f32_e64 s1, s3, v3
	v_or_b32_e32 v8, 0x300, v0
	s_or_b32 s0, s2, s0
	v_cmp_nge_f32_e64 s2, v7, -s3
	s_or_b32 s1, s6, s1
	s_delay_alu instid0(SALU_CYCLE_1) | instskip(SKIP_4) | instid1(SALU_CYCLE_1)
	v_dual_cndmask_b32 v4, 0, v4, s0 :: v_dual_cndmask_b32 v3, 0, v3, s1
	v_cmp_nge_f32_e64 s0, s3, v7
	v_cmp_nge_f32_e64 s6, v5, -s3
	v_cmp_nge_f32_e64 s1, s3, v5
	s_or_b32 s0, s2, s0
	v_dual_cndmask_b32 v6, 0, v4, vcc_lo :: v_dual_cndmask_b32 v7, 0, v7, s0
	s_or_b32 s0, s6, s1
	v_or_b32_e32 v4, 0x200, v0
	v_cndmask_b32_e64 v9, 0, v5, s0
	v_cmp_gt_i32_e64 s0, s10, v2
	s_delay_alu instid0(VALU_DEP_1) | instskip(NEXT) | instid1(VALU_DEP_4)
	v_cndmask_b32_e64 v5, 0, v3, s0
	v_cmp_gt_i32_e64 s0, s10, v4
	s_delay_alu instid0(VALU_DEP_1) | instskip(SKIP_1) | instid1(VALU_DEP_1)
	v_cndmask_b32_e64 v4, 0, v7, s0
	v_cmp_gt_i32_e64 s0, s10, v8
	v_cndmask_b32_e64 v3, 0, v9, s0
	s_and_saveexec_b32 s0, vcc_lo
	s_cbranch_execnz .LBB10_17
; %bb.12:
	s_or_b32 exec_lo, exec_lo, s0
	s_delay_alu instid0(SALU_CYCLE_1)
	s_mov_b32 s0, exec_lo
	v_cmpx_gt_i32_e64 s10, v0
	s_cbranch_execnz .LBB10_18
.LBB10_13:
	s_or_b32 exec_lo, exec_lo, s0
	s_delay_alu instid0(SALU_CYCLE_1)
	s_mov_b32 s0, exec_lo
	v_cmpx_gt_i32_e64 s10, v0
	s_cbranch_execnz .LBB10_19
.LBB10_14:
	s_or_b32 exec_lo, exec_lo, s0
	s_delay_alu instid0(SALU_CYCLE_1)
	s_mov_b32 s0, exec_lo
	v_cmpx_gt_i32_e64 s10, v0
	s_cbranch_execz .LBB10_16
.LBB10_15:
	v_add_nc_u32_e32 v0, s8, v0
	global_store_b32 v0, v3, s[4:5] scale_offset
.LBB10_16:
	s_endpgm
.LBB10_17:
	v_mov_b32_e32 v0, v2
	global_store_b32 v1, v6, s[4:5] scale_offset
	s_wait_xcnt 0x0
	s_or_b32 exec_lo, exec_lo, s0
	s_delay_alu instid0(SALU_CYCLE_1)
	s_mov_b32 s0, exec_lo
	v_cmpx_gt_i32_e64 s10, v0
	s_cbranch_execz .LBB10_13
.LBB10_18:
	v_add_nc_u32_e32 v1, s8, v0
	v_add_nc_u32_e32 v0, 0x100, v0
	global_store_b32 v1, v5, s[4:5] scale_offset
	s_wait_xcnt 0x0
	s_or_b32 exec_lo, exec_lo, s0
	s_delay_alu instid0(SALU_CYCLE_1)
	s_mov_b32 s0, exec_lo
	v_cmpx_gt_i32_e64 s10, v0
	s_cbranch_execz .LBB10_14
.LBB10_19:
	v_add_nc_u32_e32 v1, s8, v0
	v_add_nc_u32_e32 v0, 0x100, v0
	global_store_b32 v1, v4, s[4:5] scale_offset
	s_wait_xcnt 0x0
	s_or_b32 exec_lo, exec_lo, s0
	s_delay_alu instid0(SALU_CYCLE_1)
	s_mov_b32 s0, exec_lo
	v_cmpx_gt_i32_e64 s10, v0
	s_cbranch_execnz .LBB10_15
	s_branch .LBB10_16
	.section	.rodata,"a",@progbits
	.p2align	6, 0x0
	.amdhsa_kernel _ZN2at6native29vectorized_elementwise_kernelILi4EZZZNS0_12_GLOBAL__N_117hardshrink_kernelERNS_18TensorIteratorBaseERKN3c106ScalarEENKUlvE_clEvENKUlvE0_clEvEUlfE_St5arrayIPcLm2EEEEviT0_T1_
		.amdhsa_group_segment_fixed_size 0
		.amdhsa_private_segment_fixed_size 0
		.amdhsa_kernarg_size 24
		.amdhsa_user_sgpr_count 2
		.amdhsa_user_sgpr_dispatch_ptr 0
		.amdhsa_user_sgpr_queue_ptr 0
		.amdhsa_user_sgpr_kernarg_segment_ptr 1
		.amdhsa_user_sgpr_dispatch_id 0
		.amdhsa_user_sgpr_kernarg_preload_length 0
		.amdhsa_user_sgpr_kernarg_preload_offset 0
		.amdhsa_user_sgpr_private_segment_size 0
		.amdhsa_wavefront_size32 1
		.amdhsa_uses_dynamic_stack 0
		.amdhsa_enable_private_segment 0
		.amdhsa_system_sgpr_workgroup_id_x 1
		.amdhsa_system_sgpr_workgroup_id_y 0
		.amdhsa_system_sgpr_workgroup_id_z 0
		.amdhsa_system_sgpr_workgroup_info 0
		.amdhsa_system_vgpr_workitem_id 0
		.amdhsa_next_free_vgpr 10
		.amdhsa_next_free_sgpr 16
		.amdhsa_named_barrier_count 0
		.amdhsa_reserve_vcc 1
		.amdhsa_float_round_mode_32 0
		.amdhsa_float_round_mode_16_64 0
		.amdhsa_float_denorm_mode_32 3
		.amdhsa_float_denorm_mode_16_64 3
		.amdhsa_fp16_overflow 0
		.amdhsa_memory_ordered 1
		.amdhsa_forward_progress 1
		.amdhsa_inst_pref_size 8
		.amdhsa_round_robin_scheduling 0
		.amdhsa_exception_fp_ieee_invalid_op 0
		.amdhsa_exception_fp_denorm_src 0
		.amdhsa_exception_fp_ieee_div_zero 0
		.amdhsa_exception_fp_ieee_overflow 0
		.amdhsa_exception_fp_ieee_underflow 0
		.amdhsa_exception_fp_ieee_inexact 0
		.amdhsa_exception_int_div_zero 0
	.end_amdhsa_kernel
	.section	.text._ZN2at6native29vectorized_elementwise_kernelILi4EZZZNS0_12_GLOBAL__N_117hardshrink_kernelERNS_18TensorIteratorBaseERKN3c106ScalarEENKUlvE_clEvENKUlvE0_clEvEUlfE_St5arrayIPcLm2EEEEviT0_T1_,"axG",@progbits,_ZN2at6native29vectorized_elementwise_kernelILi4EZZZNS0_12_GLOBAL__N_117hardshrink_kernelERNS_18TensorIteratorBaseERKN3c106ScalarEENKUlvE_clEvENKUlvE0_clEvEUlfE_St5arrayIPcLm2EEEEviT0_T1_,comdat
.Lfunc_end10:
	.size	_ZN2at6native29vectorized_elementwise_kernelILi4EZZZNS0_12_GLOBAL__N_117hardshrink_kernelERNS_18TensorIteratorBaseERKN3c106ScalarEENKUlvE_clEvENKUlvE0_clEvEUlfE_St5arrayIPcLm2EEEEviT0_T1_, .Lfunc_end10-_ZN2at6native29vectorized_elementwise_kernelILi4EZZZNS0_12_GLOBAL__N_117hardshrink_kernelERNS_18TensorIteratorBaseERKN3c106ScalarEENKUlvE_clEvENKUlvE0_clEvEUlfE_St5arrayIPcLm2EEEEviT0_T1_
                                        ; -- End function
	.set _ZN2at6native29vectorized_elementwise_kernelILi4EZZZNS0_12_GLOBAL__N_117hardshrink_kernelERNS_18TensorIteratorBaseERKN3c106ScalarEENKUlvE_clEvENKUlvE0_clEvEUlfE_St5arrayIPcLm2EEEEviT0_T1_.num_vgpr, 10
	.set _ZN2at6native29vectorized_elementwise_kernelILi4EZZZNS0_12_GLOBAL__N_117hardshrink_kernelERNS_18TensorIteratorBaseERKN3c106ScalarEENKUlvE_clEvENKUlvE0_clEvEUlfE_St5arrayIPcLm2EEEEviT0_T1_.num_agpr, 0
	.set _ZN2at6native29vectorized_elementwise_kernelILi4EZZZNS0_12_GLOBAL__N_117hardshrink_kernelERNS_18TensorIteratorBaseERKN3c106ScalarEENKUlvE_clEvENKUlvE0_clEvEUlfE_St5arrayIPcLm2EEEEviT0_T1_.numbered_sgpr, 16
	.set _ZN2at6native29vectorized_elementwise_kernelILi4EZZZNS0_12_GLOBAL__N_117hardshrink_kernelERNS_18TensorIteratorBaseERKN3c106ScalarEENKUlvE_clEvENKUlvE0_clEvEUlfE_St5arrayIPcLm2EEEEviT0_T1_.num_named_barrier, 0
	.set _ZN2at6native29vectorized_elementwise_kernelILi4EZZZNS0_12_GLOBAL__N_117hardshrink_kernelERNS_18TensorIteratorBaseERKN3c106ScalarEENKUlvE_clEvENKUlvE0_clEvEUlfE_St5arrayIPcLm2EEEEviT0_T1_.private_seg_size, 0
	.set _ZN2at6native29vectorized_elementwise_kernelILi4EZZZNS0_12_GLOBAL__N_117hardshrink_kernelERNS_18TensorIteratorBaseERKN3c106ScalarEENKUlvE_clEvENKUlvE0_clEvEUlfE_St5arrayIPcLm2EEEEviT0_T1_.uses_vcc, 1
	.set _ZN2at6native29vectorized_elementwise_kernelILi4EZZZNS0_12_GLOBAL__N_117hardshrink_kernelERNS_18TensorIteratorBaseERKN3c106ScalarEENKUlvE_clEvENKUlvE0_clEvEUlfE_St5arrayIPcLm2EEEEviT0_T1_.uses_flat_scratch, 0
	.set _ZN2at6native29vectorized_elementwise_kernelILi4EZZZNS0_12_GLOBAL__N_117hardshrink_kernelERNS_18TensorIteratorBaseERKN3c106ScalarEENKUlvE_clEvENKUlvE0_clEvEUlfE_St5arrayIPcLm2EEEEviT0_T1_.has_dyn_sized_stack, 0
	.set _ZN2at6native29vectorized_elementwise_kernelILi4EZZZNS0_12_GLOBAL__N_117hardshrink_kernelERNS_18TensorIteratorBaseERKN3c106ScalarEENKUlvE_clEvENKUlvE0_clEvEUlfE_St5arrayIPcLm2EEEEviT0_T1_.has_recursion, 0
	.set _ZN2at6native29vectorized_elementwise_kernelILi4EZZZNS0_12_GLOBAL__N_117hardshrink_kernelERNS_18TensorIteratorBaseERKN3c106ScalarEENKUlvE_clEvENKUlvE0_clEvEUlfE_St5arrayIPcLm2EEEEviT0_T1_.has_indirect_call, 0
	.section	.AMDGPU.csdata,"",@progbits
; Kernel info:
; codeLenInByte = 924
; TotalNumSgprs: 18
; NumVgprs: 10
; ScratchSize: 0
; MemoryBound: 0
; FloatMode: 240
; IeeeMode: 1
; LDSByteSize: 0 bytes/workgroup (compile time only)
; SGPRBlocks: 0
; VGPRBlocks: 0
; NumSGPRsForWavesPerEU: 18
; NumVGPRsForWavesPerEU: 10
; NamedBarCnt: 0
; Occupancy: 16
; WaveLimiterHint : 0
; COMPUTE_PGM_RSRC2:SCRATCH_EN: 0
; COMPUTE_PGM_RSRC2:USER_SGPR: 2
; COMPUTE_PGM_RSRC2:TRAP_HANDLER: 0
; COMPUTE_PGM_RSRC2:TGID_X_EN: 1
; COMPUTE_PGM_RSRC2:TGID_Y_EN: 0
; COMPUTE_PGM_RSRC2:TGID_Z_EN: 0
; COMPUTE_PGM_RSRC2:TIDIG_COMP_CNT: 0
	.section	.text._ZN2at6native29vectorized_elementwise_kernelILi2EZZZNS0_12_GLOBAL__N_117hardshrink_kernelERNS_18TensorIteratorBaseERKN3c106ScalarEENKUlvE_clEvENKUlvE0_clEvEUlfE_St5arrayIPcLm2EEEEviT0_T1_,"axG",@progbits,_ZN2at6native29vectorized_elementwise_kernelILi2EZZZNS0_12_GLOBAL__N_117hardshrink_kernelERNS_18TensorIteratorBaseERKN3c106ScalarEENKUlvE_clEvENKUlvE0_clEvEUlfE_St5arrayIPcLm2EEEEviT0_T1_,comdat
	.globl	_ZN2at6native29vectorized_elementwise_kernelILi2EZZZNS0_12_GLOBAL__N_117hardshrink_kernelERNS_18TensorIteratorBaseERKN3c106ScalarEENKUlvE_clEvENKUlvE0_clEvEUlfE_St5arrayIPcLm2EEEEviT0_T1_ ; -- Begin function _ZN2at6native29vectorized_elementwise_kernelILi2EZZZNS0_12_GLOBAL__N_117hardshrink_kernelERNS_18TensorIteratorBaseERKN3c106ScalarEENKUlvE_clEvENKUlvE0_clEvEUlfE_St5arrayIPcLm2EEEEviT0_T1_
	.p2align	8
	.type	_ZN2at6native29vectorized_elementwise_kernelILi2EZZZNS0_12_GLOBAL__N_117hardshrink_kernelERNS_18TensorIteratorBaseERKN3c106ScalarEENKUlvE_clEvENKUlvE0_clEvEUlfE_St5arrayIPcLm2EEEEviT0_T1_,@function
_ZN2at6native29vectorized_elementwise_kernelILi2EZZZNS0_12_GLOBAL__N_117hardshrink_kernelERNS_18TensorIteratorBaseERKN3c106ScalarEENKUlvE_clEvENKUlvE0_clEvEUlfE_St5arrayIPcLm2EEEEviT0_T1_: ; @_ZN2at6native29vectorized_elementwise_kernelILi2EZZZNS0_12_GLOBAL__N_117hardshrink_kernelERNS_18TensorIteratorBaseERKN3c106ScalarEENKUlvE_clEvENKUlvE0_clEvEUlfE_St5arrayIPcLm2EEEEviT0_T1_
; %bb.0:
	s_clause 0x1
	s_load_b64 s[2:3], s[0:1], 0x0
	s_load_b128 s[4:7], s[0:1], 0x8
	s_wait_xcnt 0x0
	s_bfe_u32 s0, ttmp6, 0x4000c
	s_and_b32 s1, ttmp6, 15
	s_add_co_i32 s0, s0, 1
	s_getreg_b32 s8, hwreg(HW_REG_IB_STS2, 6, 4)
	s_mul_i32 s0, ttmp9, s0
	s_delay_alu instid0(SALU_CYCLE_1) | instskip(SKIP_2) | instid1(SALU_CYCLE_1)
	s_add_co_i32 s1, s1, s0
	s_cmp_eq_u32 s8, 0
	s_cselect_b32 s0, ttmp9, s1
	s_lshl_b32 s8, s0, 10
	s_mov_b32 s0, -1
	s_wait_kmcnt 0x0
	s_sub_co_i32 s10, s2, s8
	s_delay_alu instid0(SALU_CYCLE_1)
	s_cmp_gt_i32 s10, 0x3ff
	s_cbranch_scc0 .LBB11_2
; %bb.1:
	s_ashr_i32 s9, s8, 31
	s_delay_alu instid0(SALU_CYCLE_1) | instskip(NEXT) | instid1(SALU_CYCLE_1)
	s_lshl_b64 s[12:13], s[8:9], 2
	s_add_nc_u64 s[0:1], s[6:7], s[12:13]
	s_add_nc_u64 s[12:13], s[4:5], s[12:13]
	s_clause 0x1
	global_load_b64 v[2:3], v0, s[0:1] scale_offset
	global_load_b64 v[4:5], v0, s[0:1] offset:2048 scale_offset
	s_wait_loadcnt 0x1
	v_cmp_nge_f32_e64 s9, v3, -s3
	v_cmp_nge_f32_e32 vcc_lo, s3, v3
	v_cmp_nge_f32_e64 s11, v2, -s3
	s_wait_xcnt 0x0
	v_cmp_nge_f32_e64 s0, s3, v2
	s_wait_loadcnt 0x0
	v_cmp_nge_f32_e64 s14, v5, -s3
	v_cmp_nge_f32_e64 s1, s3, v5
	s_or_b32 vcc_lo, s9, vcc_lo
	v_cmp_nge_f32_e64 s15, v4, -s3
	v_cmp_nge_f32_e64 s2, s3, v4
	v_cndmask_b32_e32 v3, 0, v3, vcc_lo
	s_or_b32 vcc_lo, s11, s0
	s_mov_b32 s0, 0
	v_cndmask_b32_e32 v2, 0, v2, vcc_lo
	s_or_b32 vcc_lo, s14, s1
	v_cndmask_b32_e32 v5, 0, v5, vcc_lo
	s_or_b32 vcc_lo, s15, s2
	v_cndmask_b32_e32 v4, 0, v4, vcc_lo
	s_clause 0x1
	global_store_b64 v0, v[2:3], s[12:13] scale_offset
	global_store_b64 v0, v[4:5], s[12:13] offset:2048 scale_offset
.LBB11_2:
	s_and_not1_b32 vcc_lo, exec_lo, s0
	s_cbranch_vccnz .LBB11_16
; %bb.3:
	v_cmp_gt_i32_e32 vcc_lo, s10, v0
	s_wait_xcnt 0x1
	v_dual_mov_b32 v3, 0 :: v_dual_bitop2_b32 v1, s8, v0 bitop3:0x54
	v_or_b32_e32 v2, 0x100, v0
	s_wait_xcnt 0x0
	v_dual_mov_b32 v4, 0 :: v_dual_mov_b32 v6, v0
	s_and_saveexec_b32 s0, vcc_lo
	s_cbranch_execz .LBB11_5
; %bb.4:
	global_load_b32 v4, v1, s[6:7] scale_offset
	v_or_b32_e32 v6, 0x100, v0
.LBB11_5:
	s_wait_xcnt 0x0
	s_or_b32 exec_lo, exec_lo, s0
	s_delay_alu instid0(SALU_CYCLE_1) | instskip(NEXT) | instid1(VALU_DEP_1)
	s_mov_b32 s1, exec_lo
	v_cmpx_gt_i32_e64 s10, v6
	s_cbranch_execz .LBB11_7
; %bb.6:
	v_add_nc_u32_e32 v3, s8, v6
	v_add_nc_u32_e32 v6, 0x100, v6
	global_load_b32 v3, v3, s[6:7] scale_offset
.LBB11_7:
	s_wait_xcnt 0x0
	s_or_b32 exec_lo, exec_lo, s1
	v_dual_mov_b32 v5, 0 :: v_dual_mov_b32 v7, 0
	s_mov_b32 s1, exec_lo
	v_cmpx_gt_i32_e64 s10, v6
	s_cbranch_execz .LBB11_9
; %bb.8:
	v_add_nc_u32_e32 v7, s8, v6
	v_add_nc_u32_e32 v6, 0x100, v6
	global_load_b32 v7, v7, s[6:7] scale_offset
.LBB11_9:
	s_wait_xcnt 0x0
	s_or_b32 exec_lo, exec_lo, s1
	s_delay_alu instid0(SALU_CYCLE_1)
	s_mov_b32 s1, exec_lo
	v_cmpx_gt_i32_e64 s10, v6
	s_cbranch_execz .LBB11_11
; %bb.10:
	v_add_nc_u32_e32 v5, s8, v6
	global_load_b32 v5, v5, s[6:7] scale_offset
.LBB11_11:
	s_wait_xcnt 0x0
	s_or_b32 exec_lo, exec_lo, s1
	s_wait_loadcnt 0x0
	v_cmp_nge_f32_e64 s2, v4, -s3
	v_cmp_nge_f32_e64 s0, s3, v4
	v_cmp_nge_f32_e64 s6, v3, -s3
	v_cmp_nge_f32_e64 s1, s3, v3
	v_or_b32_e32 v8, 0x300, v0
	s_or_b32 s0, s2, s0
	v_cmp_nge_f32_e64 s2, v7, -s3
	s_or_b32 s1, s6, s1
	s_delay_alu instid0(SALU_CYCLE_1) | instskip(SKIP_4) | instid1(SALU_CYCLE_1)
	v_dual_cndmask_b32 v4, 0, v4, s0 :: v_dual_cndmask_b32 v3, 0, v3, s1
	v_cmp_nge_f32_e64 s0, s3, v7
	v_cmp_nge_f32_e64 s6, v5, -s3
	v_cmp_nge_f32_e64 s1, s3, v5
	s_or_b32 s0, s2, s0
	v_dual_cndmask_b32 v6, 0, v4, vcc_lo :: v_dual_cndmask_b32 v7, 0, v7, s0
	s_or_b32 s0, s6, s1
	v_or_b32_e32 v4, 0x200, v0
	v_cndmask_b32_e64 v9, 0, v5, s0
	v_cmp_gt_i32_e64 s0, s10, v2
	s_delay_alu instid0(VALU_DEP_1) | instskip(NEXT) | instid1(VALU_DEP_4)
	v_cndmask_b32_e64 v5, 0, v3, s0
	v_cmp_gt_i32_e64 s0, s10, v4
	s_delay_alu instid0(VALU_DEP_1) | instskip(SKIP_1) | instid1(VALU_DEP_1)
	v_cndmask_b32_e64 v4, 0, v7, s0
	v_cmp_gt_i32_e64 s0, s10, v8
	v_cndmask_b32_e64 v3, 0, v9, s0
	s_and_saveexec_b32 s0, vcc_lo
	s_cbranch_execnz .LBB11_17
; %bb.12:
	s_or_b32 exec_lo, exec_lo, s0
	s_delay_alu instid0(SALU_CYCLE_1)
	s_mov_b32 s0, exec_lo
	v_cmpx_gt_i32_e64 s10, v0
	s_cbranch_execnz .LBB11_18
.LBB11_13:
	s_or_b32 exec_lo, exec_lo, s0
	s_delay_alu instid0(SALU_CYCLE_1)
	s_mov_b32 s0, exec_lo
	v_cmpx_gt_i32_e64 s10, v0
	s_cbranch_execnz .LBB11_19
.LBB11_14:
	s_or_b32 exec_lo, exec_lo, s0
	s_delay_alu instid0(SALU_CYCLE_1)
	s_mov_b32 s0, exec_lo
	v_cmpx_gt_i32_e64 s10, v0
	s_cbranch_execz .LBB11_16
.LBB11_15:
	v_add_nc_u32_e32 v0, s8, v0
	global_store_b32 v0, v3, s[4:5] scale_offset
.LBB11_16:
	s_endpgm
.LBB11_17:
	v_mov_b32_e32 v0, v2
	global_store_b32 v1, v6, s[4:5] scale_offset
	s_wait_xcnt 0x0
	s_or_b32 exec_lo, exec_lo, s0
	s_delay_alu instid0(SALU_CYCLE_1)
	s_mov_b32 s0, exec_lo
	v_cmpx_gt_i32_e64 s10, v0
	s_cbranch_execz .LBB11_13
.LBB11_18:
	v_add_nc_u32_e32 v1, s8, v0
	v_add_nc_u32_e32 v0, 0x100, v0
	global_store_b32 v1, v5, s[4:5] scale_offset
	s_wait_xcnt 0x0
	s_or_b32 exec_lo, exec_lo, s0
	s_delay_alu instid0(SALU_CYCLE_1)
	s_mov_b32 s0, exec_lo
	v_cmpx_gt_i32_e64 s10, v0
	s_cbranch_execz .LBB11_14
.LBB11_19:
	v_add_nc_u32_e32 v1, s8, v0
	v_add_nc_u32_e32 v0, 0x100, v0
	global_store_b32 v1, v4, s[4:5] scale_offset
	s_wait_xcnt 0x0
	s_or_b32 exec_lo, exec_lo, s0
	s_delay_alu instid0(SALU_CYCLE_1)
	s_mov_b32 s0, exec_lo
	v_cmpx_gt_i32_e64 s10, v0
	s_cbranch_execnz .LBB11_15
	s_branch .LBB11_16
	.section	.rodata,"a",@progbits
	.p2align	6, 0x0
	.amdhsa_kernel _ZN2at6native29vectorized_elementwise_kernelILi2EZZZNS0_12_GLOBAL__N_117hardshrink_kernelERNS_18TensorIteratorBaseERKN3c106ScalarEENKUlvE_clEvENKUlvE0_clEvEUlfE_St5arrayIPcLm2EEEEviT0_T1_
		.amdhsa_group_segment_fixed_size 0
		.amdhsa_private_segment_fixed_size 0
		.amdhsa_kernarg_size 24
		.amdhsa_user_sgpr_count 2
		.amdhsa_user_sgpr_dispatch_ptr 0
		.amdhsa_user_sgpr_queue_ptr 0
		.amdhsa_user_sgpr_kernarg_segment_ptr 1
		.amdhsa_user_sgpr_dispatch_id 0
		.amdhsa_user_sgpr_kernarg_preload_length 0
		.amdhsa_user_sgpr_kernarg_preload_offset 0
		.amdhsa_user_sgpr_private_segment_size 0
		.amdhsa_wavefront_size32 1
		.amdhsa_uses_dynamic_stack 0
		.amdhsa_enable_private_segment 0
		.amdhsa_system_sgpr_workgroup_id_x 1
		.amdhsa_system_sgpr_workgroup_id_y 0
		.amdhsa_system_sgpr_workgroup_id_z 0
		.amdhsa_system_sgpr_workgroup_info 0
		.amdhsa_system_vgpr_workitem_id 0
		.amdhsa_next_free_vgpr 10
		.amdhsa_next_free_sgpr 16
		.amdhsa_named_barrier_count 0
		.amdhsa_reserve_vcc 1
		.amdhsa_float_round_mode_32 0
		.amdhsa_float_round_mode_16_64 0
		.amdhsa_float_denorm_mode_32 3
		.amdhsa_float_denorm_mode_16_64 3
		.amdhsa_fp16_overflow 0
		.amdhsa_memory_ordered 1
		.amdhsa_forward_progress 1
		.amdhsa_inst_pref_size 8
		.amdhsa_round_robin_scheduling 0
		.amdhsa_exception_fp_ieee_invalid_op 0
		.amdhsa_exception_fp_denorm_src 0
		.amdhsa_exception_fp_ieee_div_zero 0
		.amdhsa_exception_fp_ieee_overflow 0
		.amdhsa_exception_fp_ieee_underflow 0
		.amdhsa_exception_fp_ieee_inexact 0
		.amdhsa_exception_int_div_zero 0
	.end_amdhsa_kernel
	.section	.text._ZN2at6native29vectorized_elementwise_kernelILi2EZZZNS0_12_GLOBAL__N_117hardshrink_kernelERNS_18TensorIteratorBaseERKN3c106ScalarEENKUlvE_clEvENKUlvE0_clEvEUlfE_St5arrayIPcLm2EEEEviT0_T1_,"axG",@progbits,_ZN2at6native29vectorized_elementwise_kernelILi2EZZZNS0_12_GLOBAL__N_117hardshrink_kernelERNS_18TensorIteratorBaseERKN3c106ScalarEENKUlvE_clEvENKUlvE0_clEvEUlfE_St5arrayIPcLm2EEEEviT0_T1_,comdat
.Lfunc_end11:
	.size	_ZN2at6native29vectorized_elementwise_kernelILi2EZZZNS0_12_GLOBAL__N_117hardshrink_kernelERNS_18TensorIteratorBaseERKN3c106ScalarEENKUlvE_clEvENKUlvE0_clEvEUlfE_St5arrayIPcLm2EEEEviT0_T1_, .Lfunc_end11-_ZN2at6native29vectorized_elementwise_kernelILi2EZZZNS0_12_GLOBAL__N_117hardshrink_kernelERNS_18TensorIteratorBaseERKN3c106ScalarEENKUlvE_clEvENKUlvE0_clEvEUlfE_St5arrayIPcLm2EEEEviT0_T1_
                                        ; -- End function
	.set _ZN2at6native29vectorized_elementwise_kernelILi2EZZZNS0_12_GLOBAL__N_117hardshrink_kernelERNS_18TensorIteratorBaseERKN3c106ScalarEENKUlvE_clEvENKUlvE0_clEvEUlfE_St5arrayIPcLm2EEEEviT0_T1_.num_vgpr, 10
	.set _ZN2at6native29vectorized_elementwise_kernelILi2EZZZNS0_12_GLOBAL__N_117hardshrink_kernelERNS_18TensorIteratorBaseERKN3c106ScalarEENKUlvE_clEvENKUlvE0_clEvEUlfE_St5arrayIPcLm2EEEEviT0_T1_.num_agpr, 0
	.set _ZN2at6native29vectorized_elementwise_kernelILi2EZZZNS0_12_GLOBAL__N_117hardshrink_kernelERNS_18TensorIteratorBaseERKN3c106ScalarEENKUlvE_clEvENKUlvE0_clEvEUlfE_St5arrayIPcLm2EEEEviT0_T1_.numbered_sgpr, 16
	.set _ZN2at6native29vectorized_elementwise_kernelILi2EZZZNS0_12_GLOBAL__N_117hardshrink_kernelERNS_18TensorIteratorBaseERKN3c106ScalarEENKUlvE_clEvENKUlvE0_clEvEUlfE_St5arrayIPcLm2EEEEviT0_T1_.num_named_barrier, 0
	.set _ZN2at6native29vectorized_elementwise_kernelILi2EZZZNS0_12_GLOBAL__N_117hardshrink_kernelERNS_18TensorIteratorBaseERKN3c106ScalarEENKUlvE_clEvENKUlvE0_clEvEUlfE_St5arrayIPcLm2EEEEviT0_T1_.private_seg_size, 0
	.set _ZN2at6native29vectorized_elementwise_kernelILi2EZZZNS0_12_GLOBAL__N_117hardshrink_kernelERNS_18TensorIteratorBaseERKN3c106ScalarEENKUlvE_clEvENKUlvE0_clEvEUlfE_St5arrayIPcLm2EEEEviT0_T1_.uses_vcc, 1
	.set _ZN2at6native29vectorized_elementwise_kernelILi2EZZZNS0_12_GLOBAL__N_117hardshrink_kernelERNS_18TensorIteratorBaseERKN3c106ScalarEENKUlvE_clEvENKUlvE0_clEvEUlfE_St5arrayIPcLm2EEEEviT0_T1_.uses_flat_scratch, 0
	.set _ZN2at6native29vectorized_elementwise_kernelILi2EZZZNS0_12_GLOBAL__N_117hardshrink_kernelERNS_18TensorIteratorBaseERKN3c106ScalarEENKUlvE_clEvENKUlvE0_clEvEUlfE_St5arrayIPcLm2EEEEviT0_T1_.has_dyn_sized_stack, 0
	.set _ZN2at6native29vectorized_elementwise_kernelILi2EZZZNS0_12_GLOBAL__N_117hardshrink_kernelERNS_18TensorIteratorBaseERKN3c106ScalarEENKUlvE_clEvENKUlvE0_clEvEUlfE_St5arrayIPcLm2EEEEviT0_T1_.has_recursion, 0
	.set _ZN2at6native29vectorized_elementwise_kernelILi2EZZZNS0_12_GLOBAL__N_117hardshrink_kernelERNS_18TensorIteratorBaseERKN3c106ScalarEENKUlvE_clEvENKUlvE0_clEvEUlfE_St5arrayIPcLm2EEEEviT0_T1_.has_indirect_call, 0
	.section	.AMDGPU.csdata,"",@progbits
; Kernel info:
; codeLenInByte = 968
; TotalNumSgprs: 18
; NumVgprs: 10
; ScratchSize: 0
; MemoryBound: 0
; FloatMode: 240
; IeeeMode: 1
; LDSByteSize: 0 bytes/workgroup (compile time only)
; SGPRBlocks: 0
; VGPRBlocks: 0
; NumSGPRsForWavesPerEU: 18
; NumVGPRsForWavesPerEU: 10
; NamedBarCnt: 0
; Occupancy: 16
; WaveLimiterHint : 1
; COMPUTE_PGM_RSRC2:SCRATCH_EN: 0
; COMPUTE_PGM_RSRC2:USER_SGPR: 2
; COMPUTE_PGM_RSRC2:TRAP_HANDLER: 0
; COMPUTE_PGM_RSRC2:TGID_X_EN: 1
; COMPUTE_PGM_RSRC2:TGID_Y_EN: 0
; COMPUTE_PGM_RSRC2:TGID_Z_EN: 0
; COMPUTE_PGM_RSRC2:TIDIG_COMP_CNT: 0
	.section	.text._ZN2at6native27unrolled_elementwise_kernelIZZZNS0_12_GLOBAL__N_117hardshrink_kernelERNS_18TensorIteratorBaseERKN3c106ScalarEENKUlvE_clEvENKUlvE0_clEvEUlfE_St5arrayIPcLm2EELi4E23TrivialOffsetCalculatorILi1EjESG_NS0_6memory15LoadWithoutCastENSH_16StoreWithoutCastEEEviT_T0_T2_T3_T4_T5_,"axG",@progbits,_ZN2at6native27unrolled_elementwise_kernelIZZZNS0_12_GLOBAL__N_117hardshrink_kernelERNS_18TensorIteratorBaseERKN3c106ScalarEENKUlvE_clEvENKUlvE0_clEvEUlfE_St5arrayIPcLm2EELi4E23TrivialOffsetCalculatorILi1EjESG_NS0_6memory15LoadWithoutCastENSH_16StoreWithoutCastEEEviT_T0_T2_T3_T4_T5_,comdat
	.globl	_ZN2at6native27unrolled_elementwise_kernelIZZZNS0_12_GLOBAL__N_117hardshrink_kernelERNS_18TensorIteratorBaseERKN3c106ScalarEENKUlvE_clEvENKUlvE0_clEvEUlfE_St5arrayIPcLm2EELi4E23TrivialOffsetCalculatorILi1EjESG_NS0_6memory15LoadWithoutCastENSH_16StoreWithoutCastEEEviT_T0_T2_T3_T4_T5_ ; -- Begin function _ZN2at6native27unrolled_elementwise_kernelIZZZNS0_12_GLOBAL__N_117hardshrink_kernelERNS_18TensorIteratorBaseERKN3c106ScalarEENKUlvE_clEvENKUlvE0_clEvEUlfE_St5arrayIPcLm2EELi4E23TrivialOffsetCalculatorILi1EjESG_NS0_6memory15LoadWithoutCastENSH_16StoreWithoutCastEEEviT_T0_T2_T3_T4_T5_
	.p2align	8
	.type	_ZN2at6native27unrolled_elementwise_kernelIZZZNS0_12_GLOBAL__N_117hardshrink_kernelERNS_18TensorIteratorBaseERKN3c106ScalarEENKUlvE_clEvENKUlvE0_clEvEUlfE_St5arrayIPcLm2EELi4E23TrivialOffsetCalculatorILi1EjESG_NS0_6memory15LoadWithoutCastENSH_16StoreWithoutCastEEEviT_T0_T2_T3_T4_T5_,@function
_ZN2at6native27unrolled_elementwise_kernelIZZZNS0_12_GLOBAL__N_117hardshrink_kernelERNS_18TensorIteratorBaseERKN3c106ScalarEENKUlvE_clEvENKUlvE0_clEvEUlfE_St5arrayIPcLm2EELi4E23TrivialOffsetCalculatorILi1EjESG_NS0_6memory15LoadWithoutCastENSH_16StoreWithoutCastEEEviT_T0_T2_T3_T4_T5_: ; @_ZN2at6native27unrolled_elementwise_kernelIZZZNS0_12_GLOBAL__N_117hardshrink_kernelERNS_18TensorIteratorBaseERKN3c106ScalarEENKUlvE_clEvENKUlvE0_clEvEUlfE_St5arrayIPcLm2EELi4E23TrivialOffsetCalculatorILi1EjESG_NS0_6memory15LoadWithoutCastENSH_16StoreWithoutCastEEEviT_T0_T2_T3_T4_T5_
; %bb.0:
	s_clause 0x1
	s_load_b64 s[2:3], s[0:1], 0x0
	s_load_b128 s[4:7], s[0:1], 0x8
	s_bfe_u32 s8, ttmp6, 0x4000c
	s_wait_xcnt 0x0
	s_and_b32 s0, ttmp6, 15
	s_add_co_i32 s8, s8, 1
	v_dual_mov_b32 v3, 0 :: v_dual_mov_b32 v4, 0
	s_mul_i32 s1, ttmp9, s8
	s_getreg_b32 s8, hwreg(HW_REG_IB_STS2, 6, 4)
	s_add_co_i32 s0, s0, s1
	s_cmp_eq_u32 s8, 0
	v_or_b32_e32 v1, 0x100, v0
	s_cselect_b32 s0, ttmp9, s0
	v_mov_b32_e32 v7, v0
	s_lshl_b32 s8, s0, 10
	s_delay_alu instid0(SALU_CYCLE_1) | instskip(SKIP_2) | instid1(SALU_CYCLE_1)
	v_or_b32_e32 v2, s8, v0
	s_wait_kmcnt 0x0
	s_sub_co_i32 s2, s2, s8
	v_cmp_gt_i32_e32 vcc_lo, s2, v0
	s_and_saveexec_b32 s0, vcc_lo
	s_cbranch_execz .LBB12_2
; %bb.1:
	global_load_b32 v4, v2, s[6:7] scale_offset
	v_or_b32_e32 v7, 0x100, v0
.LBB12_2:
	s_wait_xcnt 0x0
	s_or_b32 exec_lo, exec_lo, s0
	s_delay_alu instid0(SALU_CYCLE_1) | instskip(NEXT) | instid1(VALU_DEP_1)
	s_mov_b32 s1, exec_lo
	v_cmpx_gt_i32_e64 s2, v7
	s_cbranch_execz .LBB12_4
; %bb.3:
	v_add_nc_u32_e32 v3, s8, v7
	v_add_nc_u32_e32 v7, 0x100, v7
	global_load_b32 v3, v3, s[6:7] scale_offset
.LBB12_4:
	s_wait_xcnt 0x0
	s_or_b32 exec_lo, exec_lo, s1
	v_dual_mov_b32 v5, 0 :: v_dual_mov_b32 v6, 0
	s_mov_b32 s1, exec_lo
	v_cmpx_gt_i32_e64 s2, v7
	s_cbranch_execz .LBB12_6
; %bb.5:
	v_add_nc_u32_e32 v6, s8, v7
	v_add_nc_u32_e32 v7, 0x100, v7
	global_load_b32 v6, v6, s[6:7] scale_offset
.LBB12_6:
	s_wait_xcnt 0x0
	s_or_b32 exec_lo, exec_lo, s1
	s_delay_alu instid0(SALU_CYCLE_1)
	s_mov_b32 s1, exec_lo
	v_cmpx_gt_i32_e64 s2, v7
	s_cbranch_execz .LBB12_8
; %bb.7:
	v_add_nc_u32_e32 v5, s8, v7
	global_load_b32 v5, v5, s[6:7] scale_offset
.LBB12_8:
	s_wait_xcnt 0x0
	s_or_b32 exec_lo, exec_lo, s1
	s_wait_loadcnt 0x0
	v_cmp_nge_f32_e64 s6, v4, -s3
	v_cmp_nge_f32_e64 s0, s3, v4
	v_cmp_nge_f32_e64 s7, v3, -s3
	v_cmp_nge_f32_e64 s1, s3, v3
	v_or_b32_e32 v8, 0x300, v0
	s_or_b32 s0, s6, s0
	v_cmp_nge_f32_e64 s6, v6, -s3
	s_or_b32 s1, s7, s1
	s_delay_alu instid0(SALU_CYCLE_1) | instskip(SKIP_4) | instid1(SALU_CYCLE_1)
	v_dual_cndmask_b32 v4, 0, v4, s0 :: v_dual_cndmask_b32 v3, 0, v3, s1
	v_cmp_nge_f32_e64 s0, s3, v6
	v_cmp_nge_f32_e64 s7, v5, -s3
	v_cmp_nge_f32_e64 s1, s3, v5
	s_or_b32 s0, s6, s0
	v_dual_cndmask_b32 v7, 0, v4, vcc_lo :: v_dual_cndmask_b32 v6, 0, v6, s0
	s_or_b32 s0, s7, s1
	v_or_b32_e32 v4, 0x200, v0
	v_cndmask_b32_e64 v9, 0, v5, s0
	v_cmp_gt_i32_e64 s0, s2, v1
	s_delay_alu instid0(VALU_DEP_1) | instskip(NEXT) | instid1(VALU_DEP_4)
	v_cndmask_b32_e64 v5, 0, v3, s0
	v_cmp_gt_i32_e64 s0, s2, v4
	s_delay_alu instid0(VALU_DEP_1) | instskip(SKIP_1) | instid1(VALU_DEP_1)
	v_cndmask_b32_e64 v4, 0, v6, s0
	v_cmp_gt_i32_e64 s0, s2, v8
	v_cndmask_b32_e64 v3, 0, v9, s0
	s_and_saveexec_b32 s0, vcc_lo
	s_cbranch_execnz .LBB12_13
; %bb.9:
	s_or_b32 exec_lo, exec_lo, s0
	s_delay_alu instid0(SALU_CYCLE_1)
	s_mov_b32 s0, exec_lo
	v_cmpx_gt_i32_e64 s2, v0
	s_cbranch_execnz .LBB12_14
.LBB12_10:
	s_or_b32 exec_lo, exec_lo, s0
	s_delay_alu instid0(SALU_CYCLE_1)
	s_mov_b32 s0, exec_lo
	v_cmpx_gt_i32_e64 s2, v0
	s_cbranch_execnz .LBB12_15
.LBB12_11:
	s_or_b32 exec_lo, exec_lo, s0
	s_delay_alu instid0(SALU_CYCLE_1)
	s_mov_b32 s0, exec_lo
	v_cmpx_gt_i32_e64 s2, v0
	s_cbranch_execnz .LBB12_16
.LBB12_12:
	s_endpgm
.LBB12_13:
	v_mov_b32_e32 v0, v1
	global_store_b32 v2, v7, s[4:5] scale_offset
	s_wait_xcnt 0x0
	s_or_b32 exec_lo, exec_lo, s0
	s_delay_alu instid0(SALU_CYCLE_1)
	s_mov_b32 s0, exec_lo
	v_cmpx_gt_i32_e64 s2, v0
	s_cbranch_execz .LBB12_10
.LBB12_14:
	v_add_nc_u32_e32 v1, 0x100, v0
	s_delay_alu instid0(VALU_DEP_1) | instskip(SKIP_3) | instid1(SALU_CYCLE_1)
	v_dual_add_nc_u32 v2, s8, v0 :: v_dual_mov_b32 v0, v1
	global_store_b32 v2, v5, s[4:5] scale_offset
	s_wait_xcnt 0x0
	s_or_b32 exec_lo, exec_lo, s0
	s_mov_b32 s0, exec_lo
	v_cmpx_gt_i32_e64 s2, v0
	s_cbranch_execz .LBB12_11
.LBB12_15:
	v_add_nc_u32_e32 v1, 0x100, v0
	s_delay_alu instid0(VALU_DEP_1) | instskip(SKIP_3) | instid1(SALU_CYCLE_1)
	v_dual_add_nc_u32 v2, s8, v0 :: v_dual_mov_b32 v0, v1
	global_store_b32 v2, v4, s[4:5] scale_offset
	s_wait_xcnt 0x0
	s_or_b32 exec_lo, exec_lo, s0
	s_mov_b32 s0, exec_lo
	v_cmpx_gt_i32_e64 s2, v0
	s_cbranch_execz .LBB12_12
.LBB12_16:
	v_add_nc_u32_e32 v0, s8, v0
	global_store_b32 v0, v3, s[4:5] scale_offset
	s_endpgm
	.section	.rodata,"a",@progbits
	.p2align	6, 0x0
	.amdhsa_kernel _ZN2at6native27unrolled_elementwise_kernelIZZZNS0_12_GLOBAL__N_117hardshrink_kernelERNS_18TensorIteratorBaseERKN3c106ScalarEENKUlvE_clEvENKUlvE0_clEvEUlfE_St5arrayIPcLm2EELi4E23TrivialOffsetCalculatorILi1EjESG_NS0_6memory15LoadWithoutCastENSH_16StoreWithoutCastEEEviT_T0_T2_T3_T4_T5_
		.amdhsa_group_segment_fixed_size 0
		.amdhsa_private_segment_fixed_size 0
		.amdhsa_kernarg_size 28
		.amdhsa_user_sgpr_count 2
		.amdhsa_user_sgpr_dispatch_ptr 0
		.amdhsa_user_sgpr_queue_ptr 0
		.amdhsa_user_sgpr_kernarg_segment_ptr 1
		.amdhsa_user_sgpr_dispatch_id 0
		.amdhsa_user_sgpr_kernarg_preload_length 0
		.amdhsa_user_sgpr_kernarg_preload_offset 0
		.amdhsa_user_sgpr_private_segment_size 0
		.amdhsa_wavefront_size32 1
		.amdhsa_uses_dynamic_stack 0
		.amdhsa_enable_private_segment 0
		.amdhsa_system_sgpr_workgroup_id_x 1
		.amdhsa_system_sgpr_workgroup_id_y 0
		.amdhsa_system_sgpr_workgroup_id_z 0
		.amdhsa_system_sgpr_workgroup_info 0
		.amdhsa_system_vgpr_workitem_id 0
		.amdhsa_next_free_vgpr 10
		.amdhsa_next_free_sgpr 9
		.amdhsa_named_barrier_count 0
		.amdhsa_reserve_vcc 1
		.amdhsa_float_round_mode_32 0
		.amdhsa_float_round_mode_16_64 0
		.amdhsa_float_denorm_mode_32 3
		.amdhsa_float_denorm_mode_16_64 3
		.amdhsa_fp16_overflow 0
		.amdhsa_memory_ordered 1
		.amdhsa_forward_progress 1
		.amdhsa_inst_pref_size 6
		.amdhsa_round_robin_scheduling 0
		.amdhsa_exception_fp_ieee_invalid_op 0
		.amdhsa_exception_fp_denorm_src 0
		.amdhsa_exception_fp_ieee_div_zero 0
		.amdhsa_exception_fp_ieee_overflow 0
		.amdhsa_exception_fp_ieee_underflow 0
		.amdhsa_exception_fp_ieee_inexact 0
		.amdhsa_exception_int_div_zero 0
	.end_amdhsa_kernel
	.section	.text._ZN2at6native27unrolled_elementwise_kernelIZZZNS0_12_GLOBAL__N_117hardshrink_kernelERNS_18TensorIteratorBaseERKN3c106ScalarEENKUlvE_clEvENKUlvE0_clEvEUlfE_St5arrayIPcLm2EELi4E23TrivialOffsetCalculatorILi1EjESG_NS0_6memory15LoadWithoutCastENSH_16StoreWithoutCastEEEviT_T0_T2_T3_T4_T5_,"axG",@progbits,_ZN2at6native27unrolled_elementwise_kernelIZZZNS0_12_GLOBAL__N_117hardshrink_kernelERNS_18TensorIteratorBaseERKN3c106ScalarEENKUlvE_clEvENKUlvE0_clEvEUlfE_St5arrayIPcLm2EELi4E23TrivialOffsetCalculatorILi1EjESG_NS0_6memory15LoadWithoutCastENSH_16StoreWithoutCastEEEviT_T0_T2_T3_T4_T5_,comdat
.Lfunc_end12:
	.size	_ZN2at6native27unrolled_elementwise_kernelIZZZNS0_12_GLOBAL__N_117hardshrink_kernelERNS_18TensorIteratorBaseERKN3c106ScalarEENKUlvE_clEvENKUlvE0_clEvEUlfE_St5arrayIPcLm2EELi4E23TrivialOffsetCalculatorILi1EjESG_NS0_6memory15LoadWithoutCastENSH_16StoreWithoutCastEEEviT_T0_T2_T3_T4_T5_, .Lfunc_end12-_ZN2at6native27unrolled_elementwise_kernelIZZZNS0_12_GLOBAL__N_117hardshrink_kernelERNS_18TensorIteratorBaseERKN3c106ScalarEENKUlvE_clEvENKUlvE0_clEvEUlfE_St5arrayIPcLm2EELi4E23TrivialOffsetCalculatorILi1EjESG_NS0_6memory15LoadWithoutCastENSH_16StoreWithoutCastEEEviT_T0_T2_T3_T4_T5_
                                        ; -- End function
	.set _ZN2at6native27unrolled_elementwise_kernelIZZZNS0_12_GLOBAL__N_117hardshrink_kernelERNS_18TensorIteratorBaseERKN3c106ScalarEENKUlvE_clEvENKUlvE0_clEvEUlfE_St5arrayIPcLm2EELi4E23TrivialOffsetCalculatorILi1EjESG_NS0_6memory15LoadWithoutCastENSH_16StoreWithoutCastEEEviT_T0_T2_T3_T4_T5_.num_vgpr, 10
	.set _ZN2at6native27unrolled_elementwise_kernelIZZZNS0_12_GLOBAL__N_117hardshrink_kernelERNS_18TensorIteratorBaseERKN3c106ScalarEENKUlvE_clEvENKUlvE0_clEvEUlfE_St5arrayIPcLm2EELi4E23TrivialOffsetCalculatorILi1EjESG_NS0_6memory15LoadWithoutCastENSH_16StoreWithoutCastEEEviT_T0_T2_T3_T4_T5_.num_agpr, 0
	.set _ZN2at6native27unrolled_elementwise_kernelIZZZNS0_12_GLOBAL__N_117hardshrink_kernelERNS_18TensorIteratorBaseERKN3c106ScalarEENKUlvE_clEvENKUlvE0_clEvEUlfE_St5arrayIPcLm2EELi4E23TrivialOffsetCalculatorILi1EjESG_NS0_6memory15LoadWithoutCastENSH_16StoreWithoutCastEEEviT_T0_T2_T3_T4_T5_.numbered_sgpr, 9
	.set _ZN2at6native27unrolled_elementwise_kernelIZZZNS0_12_GLOBAL__N_117hardshrink_kernelERNS_18TensorIteratorBaseERKN3c106ScalarEENKUlvE_clEvENKUlvE0_clEvEUlfE_St5arrayIPcLm2EELi4E23TrivialOffsetCalculatorILi1EjESG_NS0_6memory15LoadWithoutCastENSH_16StoreWithoutCastEEEviT_T0_T2_T3_T4_T5_.num_named_barrier, 0
	.set _ZN2at6native27unrolled_elementwise_kernelIZZZNS0_12_GLOBAL__N_117hardshrink_kernelERNS_18TensorIteratorBaseERKN3c106ScalarEENKUlvE_clEvENKUlvE0_clEvEUlfE_St5arrayIPcLm2EELi4E23TrivialOffsetCalculatorILi1EjESG_NS0_6memory15LoadWithoutCastENSH_16StoreWithoutCastEEEviT_T0_T2_T3_T4_T5_.private_seg_size, 0
	.set _ZN2at6native27unrolled_elementwise_kernelIZZZNS0_12_GLOBAL__N_117hardshrink_kernelERNS_18TensorIteratorBaseERKN3c106ScalarEENKUlvE_clEvENKUlvE0_clEvEUlfE_St5arrayIPcLm2EELi4E23TrivialOffsetCalculatorILi1EjESG_NS0_6memory15LoadWithoutCastENSH_16StoreWithoutCastEEEviT_T0_T2_T3_T4_T5_.uses_vcc, 1
	.set _ZN2at6native27unrolled_elementwise_kernelIZZZNS0_12_GLOBAL__N_117hardshrink_kernelERNS_18TensorIteratorBaseERKN3c106ScalarEENKUlvE_clEvENKUlvE0_clEvEUlfE_St5arrayIPcLm2EELi4E23TrivialOffsetCalculatorILi1EjESG_NS0_6memory15LoadWithoutCastENSH_16StoreWithoutCastEEEviT_T0_T2_T3_T4_T5_.uses_flat_scratch, 0
	.set _ZN2at6native27unrolled_elementwise_kernelIZZZNS0_12_GLOBAL__N_117hardshrink_kernelERNS_18TensorIteratorBaseERKN3c106ScalarEENKUlvE_clEvENKUlvE0_clEvEUlfE_St5arrayIPcLm2EELi4E23TrivialOffsetCalculatorILi1EjESG_NS0_6memory15LoadWithoutCastENSH_16StoreWithoutCastEEEviT_T0_T2_T3_T4_T5_.has_dyn_sized_stack, 0
	.set _ZN2at6native27unrolled_elementwise_kernelIZZZNS0_12_GLOBAL__N_117hardshrink_kernelERNS_18TensorIteratorBaseERKN3c106ScalarEENKUlvE_clEvENKUlvE0_clEvEUlfE_St5arrayIPcLm2EELi4E23TrivialOffsetCalculatorILi1EjESG_NS0_6memory15LoadWithoutCastENSH_16StoreWithoutCastEEEviT_T0_T2_T3_T4_T5_.has_recursion, 0
	.set _ZN2at6native27unrolled_elementwise_kernelIZZZNS0_12_GLOBAL__N_117hardshrink_kernelERNS_18TensorIteratorBaseERKN3c106ScalarEENKUlvE_clEvENKUlvE0_clEvEUlfE_St5arrayIPcLm2EELi4E23TrivialOffsetCalculatorILi1EjESG_NS0_6memory15LoadWithoutCastENSH_16StoreWithoutCastEEEviT_T0_T2_T3_T4_T5_.has_indirect_call, 0
	.section	.AMDGPU.csdata,"",@progbits
; Kernel info:
; codeLenInByte = 752
; TotalNumSgprs: 11
; NumVgprs: 10
; ScratchSize: 0
; MemoryBound: 0
; FloatMode: 240
; IeeeMode: 1
; LDSByteSize: 0 bytes/workgroup (compile time only)
; SGPRBlocks: 0
; VGPRBlocks: 0
; NumSGPRsForWavesPerEU: 11
; NumVGPRsForWavesPerEU: 10
; NamedBarCnt: 0
; Occupancy: 16
; WaveLimiterHint : 0
; COMPUTE_PGM_RSRC2:SCRATCH_EN: 0
; COMPUTE_PGM_RSRC2:USER_SGPR: 2
; COMPUTE_PGM_RSRC2:TRAP_HANDLER: 0
; COMPUTE_PGM_RSRC2:TGID_X_EN: 1
; COMPUTE_PGM_RSRC2:TGID_Y_EN: 0
; COMPUTE_PGM_RSRC2:TGID_Z_EN: 0
; COMPUTE_PGM_RSRC2:TIDIG_COMP_CNT: 0
	.section	.text._ZN2at6native32elementwise_kernel_manual_unrollILi128ELi4EZNS0_22gpu_kernel_impl_nocastIZZZNS0_12_GLOBAL__N_117hardshrink_kernelERNS_18TensorIteratorBaseERKN3c106ScalarEENKUlvE_clEvENKUlvE0_clEvEUlfE_EEvS5_RKT_EUlibE_EEviT1_,"axG",@progbits,_ZN2at6native32elementwise_kernel_manual_unrollILi128ELi4EZNS0_22gpu_kernel_impl_nocastIZZZNS0_12_GLOBAL__N_117hardshrink_kernelERNS_18TensorIteratorBaseERKN3c106ScalarEENKUlvE_clEvENKUlvE0_clEvEUlfE_EEvS5_RKT_EUlibE_EEviT1_,comdat
	.globl	_ZN2at6native32elementwise_kernel_manual_unrollILi128ELi4EZNS0_22gpu_kernel_impl_nocastIZZZNS0_12_GLOBAL__N_117hardshrink_kernelERNS_18TensorIteratorBaseERKN3c106ScalarEENKUlvE_clEvENKUlvE0_clEvEUlfE_EEvS5_RKT_EUlibE_EEviT1_ ; -- Begin function _ZN2at6native32elementwise_kernel_manual_unrollILi128ELi4EZNS0_22gpu_kernel_impl_nocastIZZZNS0_12_GLOBAL__N_117hardshrink_kernelERNS_18TensorIteratorBaseERKN3c106ScalarEENKUlvE_clEvENKUlvE0_clEvEUlfE_EEvS5_RKT_EUlibE_EEviT1_
	.p2align	8
	.type	_ZN2at6native32elementwise_kernel_manual_unrollILi128ELi4EZNS0_22gpu_kernel_impl_nocastIZZZNS0_12_GLOBAL__N_117hardshrink_kernelERNS_18TensorIteratorBaseERKN3c106ScalarEENKUlvE_clEvENKUlvE0_clEvEUlfE_EEvS5_RKT_EUlibE_EEviT1_,@function
_ZN2at6native32elementwise_kernel_manual_unrollILi128ELi4EZNS0_22gpu_kernel_impl_nocastIZZZNS0_12_GLOBAL__N_117hardshrink_kernelERNS_18TensorIteratorBaseERKN3c106ScalarEENKUlvE_clEvENKUlvE0_clEvEUlfE_EEvS5_RKT_EUlibE_EEviT1_: ; @_ZN2at6native32elementwise_kernel_manual_unrollILi128ELi4EZNS0_22gpu_kernel_impl_nocastIZZZNS0_12_GLOBAL__N_117hardshrink_kernelERNS_18TensorIteratorBaseERKN3c106ScalarEENKUlvE_clEvENKUlvE0_clEvEUlfE_EEvS5_RKT_EUlibE_EEviT1_
; %bb.0:
	s_clause 0x1
	s_load_b32 s28, s[0:1], 0x8
	s_load_b32 s35, s[0:1], 0x0
	s_bfe_u32 s2, ttmp6, 0x4000c
	s_and_b32 s3, ttmp6, 15
	s_add_co_i32 s2, s2, 1
	s_getreg_b32 s4, hwreg(HW_REG_IB_STS2, 6, 4)
	s_mul_i32 s2, ttmp9, s2
	s_add_nc_u64 s[12:13], s[0:1], 8
	s_add_co_i32 s3, s3, s2
	s_cmp_eq_u32 s4, 0
	s_mov_b32 s17, 0
	s_cselect_b32 s2, ttmp9, s3
	s_wait_xcnt 0x0
	s_mov_b32 s0, exec_lo
	v_lshl_or_b32 v0, s2, 9, v0
	s_delay_alu instid0(VALU_DEP_1) | instskip(SKIP_2) | instid1(SALU_CYCLE_1)
	v_or_b32_e32 v8, 0x180, v0
	s_wait_kmcnt 0x0
	s_add_co_i32 s29, s28, -1
	s_cmp_gt_u32 s29, 1
	s_cselect_b32 s30, -1, 0
	v_cmpx_le_i32_e64 s35, v8
	s_xor_b32 s31, exec_lo, s0
	s_cbranch_execz .LBB13_7
; %bb.1:
	s_clause 0x4
	s_load_b128 s[4:7], s[12:13], 0x4
	s_load_b64 s[14:15], s[12:13], 0x14
	s_load_b128 s[8:11], s[12:13], 0xc4
	s_load_b128 s[0:3], s[12:13], 0x148
	s_load_b32 s33, s[12:13], 0x158
	s_cmp_lg_u32 s28, 0
	s_add_nc_u64 s[20:21], s[12:13], 0xc4
	s_cselect_b32 s37, -1, 0
	s_min_u32 s36, s29, 15
	s_cmp_gt_u32 s28, 1
	s_mov_b32 s19, s17
	s_cselect_b32 s34, -1, 0
	s_wait_kmcnt 0x0
	s_mov_b32 s16, s5
	s_mov_b32 s18, s14
	s_mov_b32 s5, exec_lo
	v_cmpx_gt_i32_e64 s35, v0
	s_cbranch_execz .LBB13_14
; %bb.2:
	s_and_not1_b32 vcc_lo, exec_lo, s30
	s_cbranch_vccnz .LBB13_21
; %bb.3:
	s_and_not1_b32 vcc_lo, exec_lo, s37
	s_cbranch_vccnz .LBB13_73
; %bb.4:
	s_add_co_i32 s14, s36, 1
	s_cmp_eq_u32 s29, 2
	s_cbranch_scc1 .LBB13_75
; %bb.5:
	v_dual_mov_b32 v2, 0 :: v_dual_mov_b32 v3, 0
	v_mov_b32_e32 v1, v0
	s_and_b32 s22, s14, 28
	s_mov_b32 s23, 0
	s_mov_b64 s[24:25], s[12:13]
	s_mov_b64 s[26:27], s[20:21]
.LBB13_6:                               ; =>This Inner Loop Header: Depth=1
	s_clause 0x1
	s_load_b256 s[40:47], s[24:25], 0x4
	s_load_b128 s[56:59], s[24:25], 0x24
	s_load_b256 s[48:55], s[26:27], 0x0
	s_add_co_i32 s23, s23, 4
	s_wait_xcnt 0x0
	s_add_nc_u64 s[24:25], s[24:25], 48
	s_cmp_lg_u32 s22, s23
	s_add_nc_u64 s[26:27], s[26:27], 32
	s_wait_kmcnt 0x0
	v_mul_hi_u32 v4, s41, v1
	s_delay_alu instid0(VALU_DEP_1) | instskip(NEXT) | instid1(VALU_DEP_1)
	v_add_nc_u32_e32 v4, v1, v4
	v_lshrrev_b32_e32 v4, s42, v4
	s_delay_alu instid0(VALU_DEP_1) | instskip(NEXT) | instid1(VALU_DEP_1)
	v_mul_hi_u32 v5, s44, v4
	v_add_nc_u32_e32 v5, v4, v5
	s_delay_alu instid0(VALU_DEP_1) | instskip(NEXT) | instid1(VALU_DEP_1)
	v_lshrrev_b32_e32 v5, s45, v5
	v_mul_hi_u32 v6, s47, v5
	s_delay_alu instid0(VALU_DEP_1) | instskip(SKIP_1) | instid1(VALU_DEP_1)
	v_add_nc_u32_e32 v6, v5, v6
	v_mul_lo_u32 v7, v4, s40
	v_sub_nc_u32_e32 v1, v1, v7
	v_mul_lo_u32 v7, v5, s43
	s_delay_alu instid0(VALU_DEP_4) | instskip(NEXT) | instid1(VALU_DEP_3)
	v_lshrrev_b32_e32 v6, s56, v6
	v_mad_u32 v3, v1, s49, v3
	v_mad_u32 v1, v1, s48, v2
	s_delay_alu instid0(VALU_DEP_4) | instskip(NEXT) | instid1(VALU_DEP_4)
	v_sub_nc_u32_e32 v2, v4, v7
	v_mul_hi_u32 v8, s58, v6
	v_mul_lo_u32 v4, v6, s46
	s_delay_alu instid0(VALU_DEP_3) | instskip(SKIP_1) | instid1(VALU_DEP_4)
	v_mad_u32 v3, v2, s51, v3
	v_mad_u32 v2, v2, s50, v1
	v_add_nc_u32_e32 v7, v6, v8
	s_delay_alu instid0(VALU_DEP_1) | instskip(NEXT) | instid1(VALU_DEP_1)
	v_dual_sub_nc_u32 v4, v5, v4 :: v_dual_lshrrev_b32 v1, s59, v7
	v_mad_u32 v3, v4, s53, v3
	s_delay_alu instid0(VALU_DEP_4) | instskip(NEXT) | instid1(VALU_DEP_3)
	v_mad_u32 v2, v4, s52, v2
	v_mul_lo_u32 v5, v1, s57
	s_delay_alu instid0(VALU_DEP_1) | instskip(NEXT) | instid1(VALU_DEP_1)
	v_sub_nc_u32_e32 v4, v6, v5
	v_mad_u32 v3, v4, s55, v3
	s_delay_alu instid0(VALU_DEP_4)
	v_mad_u32 v2, v4, s54, v2
	s_cbranch_scc1 .LBB13_6
	s_branch .LBB13_76
.LBB13_7:
	s_and_not1_saveexec_b32 s0, s31
	s_cbranch_execz .LBB13_101
.LBB13_8:
	v_cndmask_b32_e64 v6, 0, 1, s30
	s_and_not1_b32 vcc_lo, exec_lo, s30
	s_cbranch_vccnz .LBB13_20
; %bb.9:
	s_cmp_lg_u32 s28, 0
	s_mov_b32 s6, 0
	s_cbranch_scc0 .LBB13_23
; %bb.10:
	s_min_u32 s1, s29, 15
	s_delay_alu instid0(SALU_CYCLE_1)
	s_add_co_i32 s1, s1, 1
	s_cmp_eq_u32 s29, 2
	s_cbranch_scc1 .LBB13_24
; %bb.11:
	v_dual_mov_b32 v2, 0 :: v_dual_mov_b32 v3, 0
	v_mov_b32_e32 v1, v0
	s_and_b32 s0, s1, 28
	s_add_nc_u64 s[2:3], s[12:13], 0xc4
	s_mov_b32 s7, 0
	s_mov_b64 s[4:5], s[12:13]
.LBB13_12:                              ; =>This Inner Loop Header: Depth=1
	s_clause 0x1
	s_load_b256 s[16:23], s[4:5], 0x4
	s_load_b128 s[8:11], s[4:5], 0x24
	s_load_b256 s[36:43], s[2:3], 0x0
	s_add_co_i32 s7, s7, 4
	s_wait_xcnt 0x0
	s_add_nc_u64 s[4:5], s[4:5], 48
	s_cmp_lg_u32 s0, s7
	s_add_nc_u64 s[2:3], s[2:3], 32
	s_wait_kmcnt 0x0
	v_mul_hi_u32 v4, s17, v1
	s_delay_alu instid0(VALU_DEP_1) | instskip(NEXT) | instid1(VALU_DEP_1)
	v_add_nc_u32_e32 v4, v1, v4
	v_lshrrev_b32_e32 v4, s18, v4
	s_delay_alu instid0(VALU_DEP_1) | instskip(NEXT) | instid1(VALU_DEP_1)
	v_mul_hi_u32 v5, s20, v4
	v_add_nc_u32_e32 v5, v4, v5
	s_delay_alu instid0(VALU_DEP_1) | instskip(NEXT) | instid1(VALU_DEP_1)
	v_lshrrev_b32_e32 v5, s21, v5
	v_mul_hi_u32 v7, s23, v5
	s_delay_alu instid0(VALU_DEP_1) | instskip(SKIP_1) | instid1(VALU_DEP_2)
	v_add_nc_u32_e32 v7, v5, v7
	v_mul_lo_u32 v9, v4, s16
	v_lshrrev_b32_e32 v7, s8, v7
	s_delay_alu instid0(VALU_DEP_1) | instskip(NEXT) | instid1(VALU_DEP_3)
	v_mul_hi_u32 v10, s10, v7
	v_sub_nc_u32_e32 v1, v1, v9
	v_mul_lo_u32 v9, v5, s19
	s_delay_alu instid0(VALU_DEP_2) | instskip(SKIP_1) | instid1(VALU_DEP_3)
	v_mad_u32 v3, v1, s37, v3
	v_mad_u32 v1, v1, s36, v2
	v_sub_nc_u32_e32 v2, v4, v9
	v_mul_lo_u32 v4, v7, s22
	v_add_nc_u32_e32 v9, v7, v10
	s_delay_alu instid0(VALU_DEP_3) | instskip(SKIP_1) | instid1(VALU_DEP_3)
	v_mad_u32 v3, v2, s39, v3
	v_mad_u32 v2, v2, s38, v1
	v_dual_sub_nc_u32 v4, v5, v4 :: v_dual_lshrrev_b32 v1, s11, v9
	s_delay_alu instid0(VALU_DEP_1) | instskip(NEXT) | instid1(VALU_DEP_2)
	v_mad_u32 v3, v4, s41, v3
	v_mul_lo_u32 v5, v1, s9
	s_delay_alu instid0(VALU_DEP_4) | instskip(NEXT) | instid1(VALU_DEP_2)
	v_mad_u32 v2, v4, s40, v2
	v_sub_nc_u32_e32 v4, v7, v5
	s_delay_alu instid0(VALU_DEP_1) | instskip(NEXT) | instid1(VALU_DEP_3)
	v_mad_u32 v3, v4, s43, v3
	v_mad_u32 v2, v4, s42, v2
	s_cbranch_scc1 .LBB13_12
; %bb.13:
	s_and_b32 s4, s1, 3
	s_mov_b32 s1, 0
	s_cmp_eq_u32 s4, 0
	s_cbranch_scc0 .LBB13_25
	s_branch .LBB13_27
.LBB13_14:
	s_or_b32 exec_lo, exec_lo, s5
	s_delay_alu instid0(SALU_CYCLE_1)
	s_mov_b32 s5, exec_lo
	v_cmpx_gt_i32_e64 s35, v0
	s_cbranch_execz .LBB13_83
.LBB13_15:
	s_and_not1_b32 vcc_lo, exec_lo, s30
	s_cbranch_vccnz .LBB13_22
; %bb.16:
	s_and_not1_b32 vcc_lo, exec_lo, s37
	s_cbranch_vccnz .LBB13_74
; %bb.17:
	s_add_co_i32 s14, s36, 1
	s_cmp_eq_u32 s29, 2
	s_cbranch_scc1 .LBB13_91
; %bb.18:
	v_dual_mov_b32 v2, 0 :: v_dual_mov_b32 v3, 0
	v_mov_b32_e32 v1, v0
	s_and_b32 s22, s14, 28
	s_mov_b32 s23, 0
	s_mov_b64 s[24:25], s[12:13]
	s_mov_b64 s[26:27], s[20:21]
.LBB13_19:                              ; =>This Inner Loop Header: Depth=1
	s_clause 0x1
	s_load_b256 s[40:47], s[24:25], 0x4
	s_load_b128 s[56:59], s[24:25], 0x24
	s_load_b256 s[48:55], s[26:27], 0x0
	s_add_co_i32 s23, s23, 4
	s_wait_xcnt 0x0
	s_add_nc_u64 s[24:25], s[24:25], 48
	s_cmp_eq_u32 s22, s23
	s_add_nc_u64 s[26:27], s[26:27], 32
	s_wait_kmcnt 0x0
	v_mul_hi_u32 v4, s41, v1
	s_delay_alu instid0(VALU_DEP_1) | instskip(NEXT) | instid1(VALU_DEP_1)
	v_add_nc_u32_e32 v4, v1, v4
	v_lshrrev_b32_e32 v4, s42, v4
	s_delay_alu instid0(VALU_DEP_1) | instskip(NEXT) | instid1(VALU_DEP_1)
	v_mul_hi_u32 v5, s44, v4
	v_add_nc_u32_e32 v5, v4, v5
	s_delay_alu instid0(VALU_DEP_1) | instskip(NEXT) | instid1(VALU_DEP_1)
	v_lshrrev_b32_e32 v5, s45, v5
	v_mul_hi_u32 v6, s47, v5
	s_delay_alu instid0(VALU_DEP_1) | instskip(SKIP_1) | instid1(VALU_DEP_1)
	v_add_nc_u32_e32 v6, v5, v6
	v_mul_lo_u32 v7, v4, s40
	v_sub_nc_u32_e32 v1, v1, v7
	v_mul_lo_u32 v7, v5, s43
	s_delay_alu instid0(VALU_DEP_4) | instskip(NEXT) | instid1(VALU_DEP_3)
	v_lshrrev_b32_e32 v6, s56, v6
	v_mad_u32 v3, v1, s49, v3
	v_mad_u32 v1, v1, s48, v2
	s_delay_alu instid0(VALU_DEP_4) | instskip(NEXT) | instid1(VALU_DEP_4)
	v_sub_nc_u32_e32 v2, v4, v7
	v_mul_hi_u32 v8, s58, v6
	v_mul_lo_u32 v4, v6, s46
	s_delay_alu instid0(VALU_DEP_3) | instskip(SKIP_1) | instid1(VALU_DEP_4)
	v_mad_u32 v3, v2, s51, v3
	v_mad_u32 v2, v2, s50, v1
	v_add_nc_u32_e32 v7, v6, v8
	s_delay_alu instid0(VALU_DEP_1) | instskip(NEXT) | instid1(VALU_DEP_1)
	v_dual_sub_nc_u32 v4, v5, v4 :: v_dual_lshrrev_b32 v1, s59, v7
	v_mad_u32 v3, v4, s53, v3
	s_delay_alu instid0(VALU_DEP_4) | instskip(NEXT) | instid1(VALU_DEP_3)
	v_mad_u32 v2, v4, s52, v2
	v_mul_lo_u32 v5, v1, s57
	s_delay_alu instid0(VALU_DEP_1) | instskip(NEXT) | instid1(VALU_DEP_1)
	v_sub_nc_u32_e32 v4, v6, v5
	v_mad_u32 v3, v4, s55, v3
	s_delay_alu instid0(VALU_DEP_4)
	v_mad_u32 v2, v4, s54, v2
	s_cbranch_scc0 .LBB13_19
	s_branch .LBB13_92
.LBB13_20:
	s_mov_b32 s6, -1
                                        ; implicit-def: $vgpr3
	s_branch .LBB13_27
.LBB13_21:
                                        ; implicit-def: $vgpr3
	s_branch .LBB13_80
.LBB13_22:
                                        ; implicit-def: $vgpr3
	s_branch .LBB13_96
.LBB13_23:
	v_dual_mov_b32 v3, 0 :: v_dual_mov_b32 v2, 0
	s_branch .LBB13_27
.LBB13_24:
	v_mov_b64_e32 v[2:3], 0
	v_mov_b32_e32 v1, v0
	s_mov_b32 s0, 0
	s_and_b32 s4, s1, 3
	s_mov_b32 s1, 0
	s_cmp_eq_u32 s4, 0
	s_cbranch_scc1 .LBB13_27
.LBB13_25:
	s_lshl_b32 s2, s0, 3
	s_mov_b32 s3, s1
	s_mul_u64 s[8:9], s[0:1], 12
	s_add_nc_u64 s[2:3], s[12:13], s[2:3]
	s_delay_alu instid0(SALU_CYCLE_1)
	s_add_nc_u64 s[0:1], s[2:3], 0xc4
	s_add_nc_u64 s[2:3], s[12:13], s[8:9]
.LBB13_26:                              ; =>This Inner Loop Header: Depth=1
	s_load_b96 s[8:10], s[2:3], 0x4
	s_add_co_i32 s4, s4, -1
	s_wait_xcnt 0x0
	s_add_nc_u64 s[2:3], s[2:3], 12
	s_cmp_lg_u32 s4, 0
	s_wait_kmcnt 0x0
	v_mul_hi_u32 v4, s9, v1
	s_delay_alu instid0(VALU_DEP_1) | instskip(NEXT) | instid1(VALU_DEP_1)
	v_add_nc_u32_e32 v4, v1, v4
	v_lshrrev_b32_e32 v4, s10, v4
	s_load_b64 s[10:11], s[0:1], 0x0
	s_wait_xcnt 0x0
	s_add_nc_u64 s[0:1], s[0:1], 8
	s_delay_alu instid0(VALU_DEP_1) | instskip(NEXT) | instid1(VALU_DEP_1)
	v_mul_lo_u32 v5, v4, s8
	v_sub_nc_u32_e32 v1, v1, v5
	s_wait_kmcnt 0x0
	s_delay_alu instid0(VALU_DEP_1)
	v_mad_u32 v3, v1, s11, v3
	v_mad_u32 v2, v1, s10, v2
	v_mov_b32_e32 v1, v4
	s_cbranch_scc1 .LBB13_26
.LBB13_27:
	s_and_not1_b32 vcc_lo, exec_lo, s6
	s_cbranch_vccnz .LBB13_30
; %bb.28:
	s_clause 0x1
	s_load_b96 s[0:2], s[12:13], 0x4
	s_load_b64 s[4:5], s[12:13], 0xc4
	s_cmp_lt_u32 s28, 2
	s_wait_kmcnt 0x0
	v_mul_hi_u32 v1, s1, v0
	s_delay_alu instid0(VALU_DEP_1) | instskip(NEXT) | instid1(VALU_DEP_1)
	v_add_nc_u32_e32 v1, v0, v1
	v_lshrrev_b32_e32 v1, s2, v1
	s_delay_alu instid0(VALU_DEP_1) | instskip(NEXT) | instid1(VALU_DEP_1)
	v_mul_lo_u32 v2, v1, s0
	v_sub_nc_u32_e32 v2, v0, v2
	s_delay_alu instid0(VALU_DEP_1)
	v_mul_lo_u32 v3, v2, s5
	v_mul_lo_u32 v2, v2, s4
	s_cbranch_scc1 .LBB13_30
; %bb.29:
	s_clause 0x1
	s_load_b96 s[0:2], s[12:13], 0x10
	s_load_b64 s[4:5], s[12:13], 0xcc
	s_wait_kmcnt 0x0
	v_mul_hi_u32 v4, s1, v1
	s_delay_alu instid0(VALU_DEP_1) | instskip(NEXT) | instid1(VALU_DEP_1)
	v_add_nc_u32_e32 v4, v1, v4
	v_lshrrev_b32_e32 v4, s2, v4
	s_delay_alu instid0(VALU_DEP_1) | instskip(NEXT) | instid1(VALU_DEP_1)
	v_mul_lo_u32 v4, v4, s0
	v_sub_nc_u32_e32 v1, v1, v4
	s_delay_alu instid0(VALU_DEP_1)
	v_mad_u32 v2, v1, s4, v2
	v_mad_u32 v3, v1, s5, v3
.LBB13_30:
	v_cmp_ne_u32_e32 vcc_lo, 1, v6
	v_add_nc_u32_e32 v1, 0x80, v0
	s_cbranch_vccnz .LBB13_36
; %bb.31:
	s_cmp_lg_u32 s28, 0
	s_mov_b32 s6, 0
	s_cbranch_scc0 .LBB13_37
; %bb.32:
	s_min_u32 s1, s29, 15
	s_delay_alu instid0(SALU_CYCLE_1)
	s_add_co_i32 s1, s1, 1
	s_cmp_eq_u32 s29, 2
	s_cbranch_scc1 .LBB13_38
; %bb.33:
	v_dual_mov_b32 v4, 0 :: v_dual_mov_b32 v5, 0
	v_mov_b32_e32 v7, v1
	s_and_b32 s0, s1, 28
	s_add_nc_u64 s[2:3], s[12:13], 0xc4
	s_mov_b32 s7, 0
	s_mov_b64 s[4:5], s[12:13]
.LBB13_34:                              ; =>This Inner Loop Header: Depth=1
	s_clause 0x1
	s_load_b256 s[16:23], s[4:5], 0x4
	s_load_b128 s[8:11], s[4:5], 0x24
	s_load_b256 s[36:43], s[2:3], 0x0
	s_add_co_i32 s7, s7, 4
	s_wait_xcnt 0x0
	s_add_nc_u64 s[4:5], s[4:5], 48
	s_cmp_lg_u32 s0, s7
	s_add_nc_u64 s[2:3], s[2:3], 32
	s_wait_kmcnt 0x0
	v_mul_hi_u32 v9, s17, v7
	s_delay_alu instid0(VALU_DEP_1) | instskip(NEXT) | instid1(VALU_DEP_1)
	v_add_nc_u32_e32 v9, v7, v9
	v_lshrrev_b32_e32 v9, s18, v9
	s_delay_alu instid0(VALU_DEP_1) | instskip(NEXT) | instid1(VALU_DEP_1)
	v_mul_hi_u32 v10, s20, v9
	v_add_nc_u32_e32 v10, v9, v10
	s_delay_alu instid0(VALU_DEP_1) | instskip(NEXT) | instid1(VALU_DEP_1)
	v_lshrrev_b32_e32 v10, s21, v10
	v_mul_hi_u32 v11, s23, v10
	s_delay_alu instid0(VALU_DEP_1) | instskip(SKIP_1) | instid1(VALU_DEP_1)
	v_add_nc_u32_e32 v11, v10, v11
	v_mul_lo_u32 v12, v9, s16
	v_sub_nc_u32_e32 v7, v7, v12
	v_mul_lo_u32 v12, v10, s19
	s_delay_alu instid0(VALU_DEP_4) | instskip(NEXT) | instid1(VALU_DEP_3)
	v_lshrrev_b32_e32 v11, s8, v11
	v_mad_u32 v5, v7, s37, v5
	v_mad_u32 v4, v7, s36, v4
	s_delay_alu instid0(VALU_DEP_4) | instskip(NEXT) | instid1(VALU_DEP_4)
	v_sub_nc_u32_e32 v7, v9, v12
	v_mul_hi_u32 v13, s10, v11
	v_mul_lo_u32 v9, v11, s22
	s_delay_alu instid0(VALU_DEP_3) | instskip(SKIP_1) | instid1(VALU_DEP_4)
	v_mad_u32 v5, v7, s39, v5
	v_mad_u32 v4, v7, s38, v4
	v_add_nc_u32_e32 v12, v11, v13
	s_delay_alu instid0(VALU_DEP_1) | instskip(NEXT) | instid1(VALU_DEP_1)
	v_dual_sub_nc_u32 v9, v10, v9 :: v_dual_lshrrev_b32 v7, s11, v12
	v_mad_u32 v5, v9, s41, v5
	s_delay_alu instid0(VALU_DEP_4) | instskip(NEXT) | instid1(VALU_DEP_3)
	v_mad_u32 v4, v9, s40, v4
	v_mul_lo_u32 v10, v7, s9
	s_delay_alu instid0(VALU_DEP_1) | instskip(NEXT) | instid1(VALU_DEP_1)
	v_sub_nc_u32_e32 v9, v11, v10
	v_mad_u32 v5, v9, s43, v5
	s_delay_alu instid0(VALU_DEP_4)
	v_mad_u32 v4, v9, s42, v4
	s_cbranch_scc1 .LBB13_34
; %bb.35:
	s_and_b32 s4, s1, 3
	s_mov_b32 s1, 0
	s_cmp_eq_u32 s4, 0
	s_cbranch_scc0 .LBB13_39
	s_branch .LBB13_41
.LBB13_36:
	s_mov_b32 s6, -1
                                        ; implicit-def: $vgpr5
	s_branch .LBB13_41
.LBB13_37:
	v_dual_mov_b32 v5, 0 :: v_dual_mov_b32 v4, 0
	s_branch .LBB13_41
.LBB13_38:
	v_mov_b64_e32 v[4:5], 0
	v_mov_b32_e32 v7, v1
	s_mov_b32 s0, 0
	s_and_b32 s4, s1, 3
	s_mov_b32 s1, 0
	s_cmp_eq_u32 s4, 0
	s_cbranch_scc1 .LBB13_41
.LBB13_39:
	s_lshl_b32 s2, s0, 3
	s_mov_b32 s3, s1
	s_mul_u64 s[8:9], s[0:1], 12
	s_add_nc_u64 s[2:3], s[12:13], s[2:3]
	s_delay_alu instid0(SALU_CYCLE_1)
	s_add_nc_u64 s[0:1], s[2:3], 0xc4
	s_add_nc_u64 s[2:3], s[12:13], s[8:9]
.LBB13_40:                              ; =>This Inner Loop Header: Depth=1
	s_load_b96 s[8:10], s[2:3], 0x4
	s_add_co_i32 s4, s4, -1
	s_wait_xcnt 0x0
	s_add_nc_u64 s[2:3], s[2:3], 12
	s_cmp_lg_u32 s4, 0
	s_wait_kmcnt 0x0
	v_mul_hi_u32 v9, s9, v7
	s_delay_alu instid0(VALU_DEP_1) | instskip(NEXT) | instid1(VALU_DEP_1)
	v_add_nc_u32_e32 v9, v7, v9
	v_lshrrev_b32_e32 v9, s10, v9
	s_load_b64 s[10:11], s[0:1], 0x0
	s_wait_xcnt 0x0
	s_add_nc_u64 s[0:1], s[0:1], 8
	s_delay_alu instid0(VALU_DEP_1) | instskip(NEXT) | instid1(VALU_DEP_1)
	v_mul_lo_u32 v10, v9, s8
	v_sub_nc_u32_e32 v7, v7, v10
	s_wait_kmcnt 0x0
	s_delay_alu instid0(VALU_DEP_1)
	v_mad_u32 v5, v7, s11, v5
	v_mad_u32 v4, v7, s10, v4
	v_mov_b32_e32 v7, v9
	s_cbranch_scc1 .LBB13_40
.LBB13_41:
	s_and_not1_b32 vcc_lo, exec_lo, s6
	s_cbranch_vccnz .LBB13_44
; %bb.42:
	s_clause 0x1
	s_load_b96 s[0:2], s[12:13], 0x4
	s_load_b64 s[4:5], s[12:13], 0xc4
	s_cmp_lt_u32 s28, 2
	s_wait_kmcnt 0x0
	v_mul_hi_u32 v4, s1, v1
	s_delay_alu instid0(VALU_DEP_1) | instskip(NEXT) | instid1(VALU_DEP_1)
	v_add_nc_u32_e32 v4, v1, v4
	v_lshrrev_b32_e32 v7, s2, v4
	s_delay_alu instid0(VALU_DEP_1) | instskip(NEXT) | instid1(VALU_DEP_1)
	v_mul_lo_u32 v4, v7, s0
	v_sub_nc_u32_e32 v1, v1, v4
	s_delay_alu instid0(VALU_DEP_1)
	v_mul_lo_u32 v5, v1, s5
	v_mul_lo_u32 v4, v1, s4
	s_cbranch_scc1 .LBB13_44
; %bb.43:
	s_clause 0x1
	s_load_b96 s[0:2], s[12:13], 0x10
	s_load_b64 s[4:5], s[12:13], 0xcc
	s_wait_kmcnt 0x0
	v_mul_hi_u32 v1, s1, v7
	s_delay_alu instid0(VALU_DEP_1) | instskip(NEXT) | instid1(VALU_DEP_1)
	v_add_nc_u32_e32 v1, v7, v1
	v_lshrrev_b32_e32 v1, s2, v1
	s_delay_alu instid0(VALU_DEP_1) | instskip(NEXT) | instid1(VALU_DEP_1)
	v_mul_lo_u32 v1, v1, s0
	v_sub_nc_u32_e32 v1, v7, v1
	s_delay_alu instid0(VALU_DEP_1)
	v_mad_u32 v4, v1, s4, v4
	v_mad_u32 v5, v1, s5, v5
.LBB13_44:
	v_cmp_ne_u32_e32 vcc_lo, 1, v6
	v_add_nc_u32_e32 v7, 0x100, v0
	s_cbranch_vccnz .LBB13_50
; %bb.45:
	s_cmp_lg_u32 s28, 0
	s_mov_b32 s6, 0
	s_cbranch_scc0 .LBB13_51
; %bb.46:
	s_min_u32 s1, s29, 15
	s_delay_alu instid0(SALU_CYCLE_1)
	s_add_co_i32 s1, s1, 1
	s_cmp_eq_u32 s29, 2
	s_cbranch_scc1 .LBB13_52
; %bb.47:
	v_dual_mov_b32 v0, 0 :: v_dual_mov_b32 v1, 0
	v_mov_b32_e32 v9, v7
	s_and_b32 s0, s1, 28
	s_add_nc_u64 s[2:3], s[12:13], 0xc4
	s_mov_b32 s7, 0
	s_mov_b64 s[4:5], s[12:13]
.LBB13_48:                              ; =>This Inner Loop Header: Depth=1
	s_clause 0x1
	s_load_b256 s[16:23], s[4:5], 0x4
	s_load_b128 s[8:11], s[4:5], 0x24
	s_load_b256 s[36:43], s[2:3], 0x0
	s_add_co_i32 s7, s7, 4
	s_wait_xcnt 0x0
	s_add_nc_u64 s[4:5], s[4:5], 48
	s_cmp_lg_u32 s0, s7
	s_add_nc_u64 s[2:3], s[2:3], 32
	s_wait_kmcnt 0x0
	v_mul_hi_u32 v10, s17, v9
	s_delay_alu instid0(VALU_DEP_1) | instskip(NEXT) | instid1(VALU_DEP_1)
	v_add_nc_u32_e32 v10, v9, v10
	v_lshrrev_b32_e32 v10, s18, v10
	s_delay_alu instid0(VALU_DEP_1) | instskip(NEXT) | instid1(VALU_DEP_1)
	v_mul_hi_u32 v11, s20, v10
	v_add_nc_u32_e32 v11, v10, v11
	s_delay_alu instid0(VALU_DEP_1) | instskip(NEXT) | instid1(VALU_DEP_1)
	v_lshrrev_b32_e32 v11, s21, v11
	v_mul_hi_u32 v12, s23, v11
	s_delay_alu instid0(VALU_DEP_1) | instskip(SKIP_1) | instid1(VALU_DEP_1)
	v_add_nc_u32_e32 v12, v11, v12
	v_mul_lo_u32 v13, v10, s16
	v_sub_nc_u32_e32 v9, v9, v13
	v_mul_lo_u32 v13, v11, s19
	s_delay_alu instid0(VALU_DEP_4) | instskip(NEXT) | instid1(VALU_DEP_3)
	v_lshrrev_b32_e32 v12, s8, v12
	v_mad_u32 v1, v9, s37, v1
	v_mad_u32 v0, v9, s36, v0
	s_delay_alu instid0(VALU_DEP_4) | instskip(NEXT) | instid1(VALU_DEP_4)
	v_sub_nc_u32_e32 v9, v10, v13
	v_mul_hi_u32 v14, s10, v12
	v_mul_lo_u32 v10, v12, s22
	s_delay_alu instid0(VALU_DEP_3) | instskip(SKIP_1) | instid1(VALU_DEP_4)
	v_mad_u32 v1, v9, s39, v1
	v_mad_u32 v0, v9, s38, v0
	v_add_nc_u32_e32 v13, v12, v14
	s_delay_alu instid0(VALU_DEP_1) | instskip(NEXT) | instid1(VALU_DEP_1)
	v_dual_sub_nc_u32 v10, v11, v10 :: v_dual_lshrrev_b32 v9, s11, v13
	v_mad_u32 v1, v10, s41, v1
	s_delay_alu instid0(VALU_DEP_4) | instskip(NEXT) | instid1(VALU_DEP_3)
	v_mad_u32 v0, v10, s40, v0
	v_mul_lo_u32 v11, v9, s9
	s_delay_alu instid0(VALU_DEP_1) | instskip(NEXT) | instid1(VALU_DEP_1)
	v_sub_nc_u32_e32 v10, v12, v11
	v_mad_u32 v1, v10, s43, v1
	s_delay_alu instid0(VALU_DEP_4)
	v_mad_u32 v0, v10, s42, v0
	s_cbranch_scc1 .LBB13_48
; %bb.49:
	s_and_b32 s4, s1, 3
	s_mov_b32 s1, 0
	s_cmp_eq_u32 s4, 0
	s_cbranch_scc0 .LBB13_53
	s_branch .LBB13_55
.LBB13_50:
	s_mov_b32 s6, -1
                                        ; implicit-def: $vgpr1
	s_branch .LBB13_55
.LBB13_51:
	v_dual_mov_b32 v1, 0 :: v_dual_mov_b32 v0, 0
	s_branch .LBB13_55
.LBB13_52:
	v_mov_b64_e32 v[0:1], 0
	v_mov_b32_e32 v9, v7
	s_mov_b32 s0, 0
	s_and_b32 s4, s1, 3
	s_mov_b32 s1, 0
	s_cmp_eq_u32 s4, 0
	s_cbranch_scc1 .LBB13_55
.LBB13_53:
	s_lshl_b32 s2, s0, 3
	s_mov_b32 s3, s1
	s_mul_u64 s[8:9], s[0:1], 12
	s_add_nc_u64 s[2:3], s[12:13], s[2:3]
	s_delay_alu instid0(SALU_CYCLE_1)
	s_add_nc_u64 s[0:1], s[2:3], 0xc4
	s_add_nc_u64 s[2:3], s[12:13], s[8:9]
.LBB13_54:                              ; =>This Inner Loop Header: Depth=1
	s_load_b96 s[8:10], s[2:3], 0x4
	s_add_co_i32 s4, s4, -1
	s_wait_xcnt 0x0
	s_add_nc_u64 s[2:3], s[2:3], 12
	s_cmp_lg_u32 s4, 0
	s_wait_kmcnt 0x0
	v_mul_hi_u32 v10, s9, v9
	s_delay_alu instid0(VALU_DEP_1) | instskip(NEXT) | instid1(VALU_DEP_1)
	v_add_nc_u32_e32 v10, v9, v10
	v_lshrrev_b32_e32 v10, s10, v10
	s_load_b64 s[10:11], s[0:1], 0x0
	s_wait_xcnt 0x0
	s_add_nc_u64 s[0:1], s[0:1], 8
	s_delay_alu instid0(VALU_DEP_1) | instskip(NEXT) | instid1(VALU_DEP_1)
	v_mul_lo_u32 v11, v10, s8
	v_sub_nc_u32_e32 v9, v9, v11
	s_wait_kmcnt 0x0
	s_delay_alu instid0(VALU_DEP_1)
	v_mad_u32 v1, v9, s11, v1
	v_mad_u32 v0, v9, s10, v0
	v_mov_b32_e32 v9, v10
	s_cbranch_scc1 .LBB13_54
.LBB13_55:
	s_and_not1_b32 vcc_lo, exec_lo, s6
	s_cbranch_vccnz .LBB13_58
; %bb.56:
	s_clause 0x1
	s_load_b96 s[0:2], s[12:13], 0x4
	s_load_b64 s[4:5], s[12:13], 0xc4
	s_cmp_lt_u32 s28, 2
	s_wait_kmcnt 0x0
	v_mul_hi_u32 v0, s1, v7
	s_delay_alu instid0(VALU_DEP_1) | instskip(NEXT) | instid1(VALU_DEP_1)
	v_add_nc_u32_e32 v0, v7, v0
	v_lshrrev_b32_e32 v9, s2, v0
	s_delay_alu instid0(VALU_DEP_1) | instskip(NEXT) | instid1(VALU_DEP_1)
	v_mul_lo_u32 v0, v9, s0
	v_sub_nc_u32_e32 v0, v7, v0
	s_delay_alu instid0(VALU_DEP_1)
	v_mul_lo_u32 v1, v0, s5
	v_mul_lo_u32 v0, v0, s4
	s_cbranch_scc1 .LBB13_58
; %bb.57:
	s_clause 0x1
	s_load_b96 s[0:2], s[12:13], 0x10
	s_load_b64 s[4:5], s[12:13], 0xcc
	s_wait_kmcnt 0x0
	v_mul_hi_u32 v7, s1, v9
	s_delay_alu instid0(VALU_DEP_1) | instskip(NEXT) | instid1(VALU_DEP_1)
	v_add_nc_u32_e32 v7, v9, v7
	v_lshrrev_b32_e32 v7, s2, v7
	s_delay_alu instid0(VALU_DEP_1) | instskip(NEXT) | instid1(VALU_DEP_1)
	v_mul_lo_u32 v7, v7, s0
	v_sub_nc_u32_e32 v7, v9, v7
	s_delay_alu instid0(VALU_DEP_1)
	v_mad_u32 v0, v7, s4, v0
	v_mad_u32 v1, v7, s5, v1
.LBB13_58:
	v_cmp_ne_u32_e32 vcc_lo, 1, v6
	s_cbranch_vccnz .LBB13_64
; %bb.59:
	s_cmp_lg_u32 s28, 0
	s_mov_b32 s6, 0
	s_cbranch_scc0 .LBB13_65
; %bb.60:
	s_min_u32 s1, s29, 15
	s_delay_alu instid0(SALU_CYCLE_1)
	s_add_co_i32 s1, s1, 1
	s_cmp_eq_u32 s29, 2
	s_cbranch_scc1 .LBB13_66
; %bb.61:
	v_dual_mov_b32 v6, 0 :: v_dual_mov_b32 v7, 0
	v_mov_b32_e32 v9, v8
	s_and_b32 s0, s1, 28
	s_add_nc_u64 s[2:3], s[12:13], 0xc4
	s_mov_b32 s7, 0
	s_mov_b64 s[4:5], s[12:13]
.LBB13_62:                              ; =>This Inner Loop Header: Depth=1
	s_clause 0x1
	s_load_b256 s[16:23], s[4:5], 0x4
	s_load_b128 s[8:11], s[4:5], 0x24
	s_load_b256 s[36:43], s[2:3], 0x0
	s_add_co_i32 s7, s7, 4
	s_wait_xcnt 0x0
	s_add_nc_u64 s[4:5], s[4:5], 48
	s_cmp_lg_u32 s0, s7
	s_add_nc_u64 s[2:3], s[2:3], 32
	s_wait_kmcnt 0x0
	v_mul_hi_u32 v10, s17, v9
	s_delay_alu instid0(VALU_DEP_1) | instskip(NEXT) | instid1(VALU_DEP_1)
	v_add_nc_u32_e32 v10, v9, v10
	v_lshrrev_b32_e32 v10, s18, v10
	s_delay_alu instid0(VALU_DEP_1) | instskip(NEXT) | instid1(VALU_DEP_1)
	v_mul_hi_u32 v11, s20, v10
	v_add_nc_u32_e32 v11, v10, v11
	s_delay_alu instid0(VALU_DEP_1) | instskip(NEXT) | instid1(VALU_DEP_1)
	v_lshrrev_b32_e32 v11, s21, v11
	v_mul_hi_u32 v12, s23, v11
	s_delay_alu instid0(VALU_DEP_1) | instskip(SKIP_1) | instid1(VALU_DEP_1)
	v_add_nc_u32_e32 v12, v11, v12
	v_mul_lo_u32 v13, v10, s16
	v_sub_nc_u32_e32 v9, v9, v13
	v_mul_lo_u32 v13, v11, s19
	s_delay_alu instid0(VALU_DEP_4) | instskip(NEXT) | instid1(VALU_DEP_3)
	v_lshrrev_b32_e32 v12, s8, v12
	v_mad_u32 v7, v9, s37, v7
	v_mad_u32 v6, v9, s36, v6
	s_delay_alu instid0(VALU_DEP_4) | instskip(NEXT) | instid1(VALU_DEP_4)
	v_sub_nc_u32_e32 v9, v10, v13
	v_mul_hi_u32 v14, s10, v12
	v_mul_lo_u32 v10, v12, s22
	s_delay_alu instid0(VALU_DEP_3) | instskip(SKIP_1) | instid1(VALU_DEP_4)
	v_mad_u32 v7, v9, s39, v7
	v_mad_u32 v6, v9, s38, v6
	v_add_nc_u32_e32 v13, v12, v14
	s_delay_alu instid0(VALU_DEP_1) | instskip(NEXT) | instid1(VALU_DEP_1)
	v_dual_sub_nc_u32 v10, v11, v10 :: v_dual_lshrrev_b32 v9, s11, v13
	v_mad_u32 v7, v10, s41, v7
	s_delay_alu instid0(VALU_DEP_4) | instskip(NEXT) | instid1(VALU_DEP_3)
	v_mad_u32 v6, v10, s40, v6
	v_mul_lo_u32 v11, v9, s9
	s_delay_alu instid0(VALU_DEP_1) | instskip(NEXT) | instid1(VALU_DEP_1)
	v_sub_nc_u32_e32 v10, v12, v11
	v_mad_u32 v7, v10, s43, v7
	s_delay_alu instid0(VALU_DEP_4)
	v_mad_u32 v6, v10, s42, v6
	s_cbranch_scc1 .LBB13_62
; %bb.63:
	s_and_b32 s4, s1, 3
	s_mov_b32 s1, 0
	s_cmp_eq_u32 s4, 0
	s_cbranch_scc0 .LBB13_67
	s_branch .LBB13_69
.LBB13_64:
	s_mov_b32 s6, -1
                                        ; implicit-def: $vgpr7
	s_branch .LBB13_69
.LBB13_65:
	v_dual_mov_b32 v7, 0 :: v_dual_mov_b32 v6, 0
	s_branch .LBB13_69
.LBB13_66:
	v_mov_b64_e32 v[6:7], 0
	v_mov_b32_e32 v9, v8
	s_mov_b32 s0, 0
	s_and_b32 s4, s1, 3
	s_mov_b32 s1, 0
	s_cmp_eq_u32 s4, 0
	s_cbranch_scc1 .LBB13_69
.LBB13_67:
	s_lshl_b32 s2, s0, 3
	s_mov_b32 s3, s1
	s_mul_u64 s[8:9], s[0:1], 12
	s_add_nc_u64 s[2:3], s[12:13], s[2:3]
	s_delay_alu instid0(SALU_CYCLE_1)
	s_add_nc_u64 s[0:1], s[2:3], 0xc4
	s_add_nc_u64 s[2:3], s[12:13], s[8:9]
.LBB13_68:                              ; =>This Inner Loop Header: Depth=1
	s_load_b96 s[8:10], s[2:3], 0x4
	s_add_co_i32 s4, s4, -1
	s_wait_xcnt 0x0
	s_add_nc_u64 s[2:3], s[2:3], 12
	s_cmp_lg_u32 s4, 0
	s_wait_kmcnt 0x0
	v_mul_hi_u32 v10, s9, v9
	s_delay_alu instid0(VALU_DEP_1) | instskip(NEXT) | instid1(VALU_DEP_1)
	v_add_nc_u32_e32 v10, v9, v10
	v_lshrrev_b32_e32 v10, s10, v10
	s_load_b64 s[10:11], s[0:1], 0x0
	s_wait_xcnt 0x0
	s_add_nc_u64 s[0:1], s[0:1], 8
	s_delay_alu instid0(VALU_DEP_1) | instskip(NEXT) | instid1(VALU_DEP_1)
	v_mul_lo_u32 v11, v10, s8
	v_sub_nc_u32_e32 v9, v9, v11
	s_wait_kmcnt 0x0
	s_delay_alu instid0(VALU_DEP_1)
	v_mad_u32 v7, v9, s11, v7
	v_mad_u32 v6, v9, s10, v6
	v_mov_b32_e32 v9, v10
	s_cbranch_scc1 .LBB13_68
.LBB13_69:
	s_and_not1_b32 vcc_lo, exec_lo, s6
	s_cbranch_vccnz .LBB13_72
; %bb.70:
	s_clause 0x1
	s_load_b96 s[0:2], s[12:13], 0x4
	s_load_b64 s[4:5], s[12:13], 0xc4
	s_cmp_lt_u32 s28, 2
	s_wait_kmcnt 0x0
	v_mul_hi_u32 v6, s1, v8
	s_delay_alu instid0(VALU_DEP_1) | instskip(NEXT) | instid1(VALU_DEP_1)
	v_add_nc_u32_e32 v6, v8, v6
	v_lshrrev_b32_e32 v9, s2, v6
	s_delay_alu instid0(VALU_DEP_1) | instskip(NEXT) | instid1(VALU_DEP_1)
	v_mul_lo_u32 v6, v9, s0
	v_sub_nc_u32_e32 v6, v8, v6
	s_delay_alu instid0(VALU_DEP_1)
	v_mul_lo_u32 v7, v6, s5
	v_mul_lo_u32 v6, v6, s4
	s_cbranch_scc1 .LBB13_72
; %bb.71:
	s_clause 0x1
	s_load_b96 s[0:2], s[12:13], 0x10
	s_load_b64 s[4:5], s[12:13], 0xcc
	s_wait_kmcnt 0x0
	v_mul_hi_u32 v8, s1, v9
	s_delay_alu instid0(VALU_DEP_1) | instskip(NEXT) | instid1(VALU_DEP_1)
	v_add_nc_u32_e32 v8, v9, v8
	v_lshrrev_b32_e32 v8, s2, v8
	s_delay_alu instid0(VALU_DEP_1) | instskip(NEXT) | instid1(VALU_DEP_1)
	v_mul_lo_u32 v8, v8, s0
	v_sub_nc_u32_e32 v8, v9, v8
	s_delay_alu instid0(VALU_DEP_1)
	v_mad_u32 v6, v8, s4, v6
	v_mad_u32 v7, v8, s5, v7
.LBB13_72:
	s_clause 0x1
	s_load_b128 s[4:7], s[12:13], 0x148
	s_load_b32 s2, s[12:13], 0x158
	s_wait_kmcnt 0x0
	s_clause 0x3
	global_load_b32 v8, v3, s[6:7]
	global_load_b32 v9, v5, s[6:7]
	;; [unrolled: 1-line block ×4, first 2 shown]
	s_wait_loadcnt 0x3
	v_cmp_nge_f32_e64 s3, v8, -s2
	v_cmp_nge_f32_e32 vcc_lo, s2, v8
	s_wait_loadcnt 0x2
	s_wait_xcnt 0x0
	v_cmp_nge_f32_e64 s6, v9, -s2
	v_cmp_nge_f32_e64 s0, s2, v9
	s_wait_loadcnt 0x1
	v_cmp_nge_f32_e64 s7, v10, -s2
	v_cmp_nge_f32_e64 s1, s2, v10
	s_or_b32 vcc_lo, s3, vcc_lo
	s_wait_loadcnt 0x0
	v_cmp_nge_f32_e64 s8, v11, -s2
	v_cmp_nge_f32_e64 s2, s2, v11
	v_cndmask_b32_e32 v1, 0, v8, vcc_lo
	s_or_b32 vcc_lo, s6, s0
	v_cndmask_b32_e32 v3, 0, v9, vcc_lo
	s_or_b32 vcc_lo, s7, s1
	;; [unrolled: 2-line block ×3, first 2 shown]
	v_cndmask_b32_e32 v7, 0, v11, vcc_lo
	s_clause 0x3
	global_store_b32 v2, v1, s[4:5]
	global_store_b32 v4, v3, s[4:5]
	global_store_b32 v0, v5, s[4:5]
	global_store_b32 v6, v7, s[4:5]
	s_endpgm
.LBB13_73:
	v_dual_mov_b32 v3, 0 :: v_dual_mov_b32 v2, 0
	s_branch .LBB13_79
.LBB13_74:
	v_dual_mov_b32 v3, 0 :: v_dual_mov_b32 v2, 0
	s_branch .LBB13_95
.LBB13_75:
	v_mov_b64_e32 v[2:3], 0
	v_mov_b32_e32 v1, v0
	s_mov_b32 s22, 0
.LBB13_76:
	s_and_b32 s14, s14, 3
	s_mov_b32 s23, 0
	s_cmp_eq_u32 s14, 0
	s_cbranch_scc1 .LBB13_79
; %bb.77:
	s_lshl_b32 s24, s22, 3
	s_mov_b32 s25, s23
	s_mul_u64 s[26:27], s[22:23], 12
	s_add_nc_u64 s[24:25], s[12:13], s[24:25]
	s_delay_alu instid0(SALU_CYCLE_1)
	s_add_nc_u64 s[22:23], s[24:25], 0xc4
	s_add_nc_u64 s[24:25], s[12:13], s[26:27]
.LBB13_78:                              ; =>This Inner Loop Header: Depth=1
	s_load_b96 s[40:42], s[24:25], 0x4
	s_load_b64 s[26:27], s[22:23], 0x0
	s_add_co_i32 s14, s14, -1
	s_wait_xcnt 0x0
	s_add_nc_u64 s[24:25], s[24:25], 12
	s_cmp_lg_u32 s14, 0
	s_add_nc_u64 s[22:23], s[22:23], 8
	s_wait_kmcnt 0x0
	v_mul_hi_u32 v4, s41, v1
	s_delay_alu instid0(VALU_DEP_1) | instskip(NEXT) | instid1(VALU_DEP_1)
	v_add_nc_u32_e32 v4, v1, v4
	v_lshrrev_b32_e32 v4, s42, v4
	s_delay_alu instid0(VALU_DEP_1) | instskip(NEXT) | instid1(VALU_DEP_1)
	v_mul_lo_u32 v5, v4, s40
	v_sub_nc_u32_e32 v1, v1, v5
	s_delay_alu instid0(VALU_DEP_1)
	v_mad_u32 v3, v1, s27, v3
	v_mad_u32 v2, v1, s26, v2
	v_mov_b32_e32 v1, v4
	s_cbranch_scc1 .LBB13_78
.LBB13_79:
	s_cbranch_execnz .LBB13_82
.LBB13_80:
	v_mov_b32_e32 v1, 0
	s_and_not1_b32 vcc_lo, exec_lo, s34
	s_delay_alu instid0(VALU_DEP_1) | instskip(NEXT) | instid1(VALU_DEP_1)
	v_mul_u64_e32 v[2:3], s[16:17], v[0:1]
	v_add_nc_u32_e32 v2, v0, v3
	s_delay_alu instid0(VALU_DEP_1) | instskip(NEXT) | instid1(VALU_DEP_1)
	v_lshrrev_b32_e32 v4, s6, v2
	v_mul_lo_u32 v2, v4, s4
	s_delay_alu instid0(VALU_DEP_1) | instskip(NEXT) | instid1(VALU_DEP_1)
	v_sub_nc_u32_e32 v2, v0, v2
	v_mul_lo_u32 v3, v2, s9
	v_mul_lo_u32 v2, v2, s8
	s_cbranch_vccnz .LBB13_82
; %bb.81:
	v_mov_b32_e32 v5, v1
	s_delay_alu instid0(VALU_DEP_1) | instskip(NEXT) | instid1(VALU_DEP_1)
	v_mul_u64_e32 v[6:7], s[18:19], v[4:5]
	v_add_nc_u32_e32 v1, v4, v7
	s_delay_alu instid0(VALU_DEP_1) | instskip(NEXT) | instid1(VALU_DEP_1)
	v_lshrrev_b32_e32 v1, s15, v1
	v_mul_lo_u32 v1, v1, s7
	s_delay_alu instid0(VALU_DEP_1) | instskip(NEXT) | instid1(VALU_DEP_1)
	v_sub_nc_u32_e32 v1, v4, v1
	v_mad_u32 v2, v1, s10, v2
	v_mad_u32 v3, v1, s11, v3
.LBB13_82:
	global_load_b32 v1, v3, s[2:3]
	v_add_nc_u32_e32 v0, 0x80, v0
	s_wait_loadcnt 0x0
	v_cmp_nge_f32_e64 s14, v1, -s33
	v_cmp_nge_f32_e32 vcc_lo, s33, v1
	s_or_b32 vcc_lo, s14, vcc_lo
	v_cndmask_b32_e32 v1, 0, v1, vcc_lo
	global_store_b32 v2, v1, s[0:1]
	s_wait_xcnt 0x0
	s_or_b32 exec_lo, exec_lo, s5
	s_delay_alu instid0(SALU_CYCLE_1)
	s_mov_b32 s5, exec_lo
	v_cmpx_gt_i32_e64 s35, v0
	s_cbranch_execnz .LBB13_15
.LBB13_83:
	s_or_b32 exec_lo, exec_lo, s5
	s_delay_alu instid0(SALU_CYCLE_1)
	s_mov_b32 s5, exec_lo
	v_cmpx_gt_i32_e64 s35, v0
	s_cbranch_execz .LBB13_99
.LBB13_84:
	s_and_not1_b32 vcc_lo, exec_lo, s30
	s_cbranch_vccnz .LBB13_89
; %bb.85:
	s_and_not1_b32 vcc_lo, exec_lo, s37
	s_cbranch_vccnz .LBB13_90
; %bb.86:
	s_add_co_i32 s14, s36, 1
	s_cmp_eq_u32 s29, 2
	s_cbranch_scc1 .LBB13_102
; %bb.87:
	v_dual_mov_b32 v2, 0 :: v_dual_mov_b32 v3, 0
	v_mov_b32_e32 v1, v0
	s_and_b32 s22, s14, 28
	s_mov_b32 s23, 0
	s_mov_b64 s[24:25], s[12:13]
	s_mov_b64 s[26:27], s[20:21]
.LBB13_88:                              ; =>This Inner Loop Header: Depth=1
	s_clause 0x1
	s_load_b256 s[40:47], s[24:25], 0x4
	s_load_b128 s[56:59], s[24:25], 0x24
	s_load_b256 s[48:55], s[26:27], 0x0
	s_add_co_i32 s23, s23, 4
	s_wait_xcnt 0x0
	s_add_nc_u64 s[24:25], s[24:25], 48
	s_cmp_eq_u32 s22, s23
	s_add_nc_u64 s[26:27], s[26:27], 32
	s_wait_kmcnt 0x0
	v_mul_hi_u32 v4, s41, v1
	s_delay_alu instid0(VALU_DEP_1) | instskip(NEXT) | instid1(VALU_DEP_1)
	v_add_nc_u32_e32 v4, v1, v4
	v_lshrrev_b32_e32 v4, s42, v4
	s_delay_alu instid0(VALU_DEP_1) | instskip(NEXT) | instid1(VALU_DEP_1)
	v_mul_hi_u32 v5, s44, v4
	v_add_nc_u32_e32 v5, v4, v5
	s_delay_alu instid0(VALU_DEP_1) | instskip(NEXT) | instid1(VALU_DEP_1)
	v_lshrrev_b32_e32 v5, s45, v5
	v_mul_hi_u32 v6, s47, v5
	s_delay_alu instid0(VALU_DEP_1) | instskip(SKIP_1) | instid1(VALU_DEP_1)
	v_add_nc_u32_e32 v6, v5, v6
	v_mul_lo_u32 v7, v4, s40
	v_sub_nc_u32_e32 v1, v1, v7
	v_mul_lo_u32 v7, v5, s43
	s_delay_alu instid0(VALU_DEP_4) | instskip(NEXT) | instid1(VALU_DEP_3)
	v_lshrrev_b32_e32 v6, s56, v6
	v_mad_u32 v3, v1, s49, v3
	v_mad_u32 v1, v1, s48, v2
	s_delay_alu instid0(VALU_DEP_4) | instskip(NEXT) | instid1(VALU_DEP_4)
	v_sub_nc_u32_e32 v2, v4, v7
	v_mul_hi_u32 v8, s58, v6
	v_mul_lo_u32 v4, v6, s46
	s_delay_alu instid0(VALU_DEP_3) | instskip(SKIP_1) | instid1(VALU_DEP_4)
	v_mad_u32 v3, v2, s51, v3
	v_mad_u32 v2, v2, s50, v1
	v_add_nc_u32_e32 v7, v6, v8
	s_delay_alu instid0(VALU_DEP_1) | instskip(NEXT) | instid1(VALU_DEP_1)
	v_dual_sub_nc_u32 v4, v5, v4 :: v_dual_lshrrev_b32 v1, s59, v7
	v_mad_u32 v3, v4, s53, v3
	s_delay_alu instid0(VALU_DEP_4) | instskip(NEXT) | instid1(VALU_DEP_3)
	v_mad_u32 v2, v4, s52, v2
	v_mul_lo_u32 v5, v1, s57
	s_delay_alu instid0(VALU_DEP_1) | instskip(NEXT) | instid1(VALU_DEP_1)
	v_sub_nc_u32_e32 v4, v6, v5
	v_mad_u32 v3, v4, s55, v3
	s_delay_alu instid0(VALU_DEP_4)
	v_mad_u32 v2, v4, s54, v2
	s_cbranch_scc0 .LBB13_88
	s_branch .LBB13_103
.LBB13_89:
                                        ; implicit-def: $vgpr3
	s_branch .LBB13_107
.LBB13_90:
	v_dual_mov_b32 v3, 0 :: v_dual_mov_b32 v2, 0
	s_branch .LBB13_106
.LBB13_91:
	v_mov_b64_e32 v[2:3], 0
	v_mov_b32_e32 v1, v0
	s_mov_b32 s22, 0
.LBB13_92:
	s_and_b32 s14, s14, 3
	s_mov_b32 s23, 0
	s_cmp_eq_u32 s14, 0
	s_cbranch_scc1 .LBB13_95
; %bb.93:
	s_lshl_b32 s24, s22, 3
	s_mov_b32 s25, s23
	s_mul_u64 s[26:27], s[22:23], 12
	s_add_nc_u64 s[24:25], s[12:13], s[24:25]
	s_delay_alu instid0(SALU_CYCLE_1)
	s_add_nc_u64 s[22:23], s[24:25], 0xc4
	s_add_nc_u64 s[24:25], s[12:13], s[26:27]
.LBB13_94:                              ; =>This Inner Loop Header: Depth=1
	s_load_b96 s[40:42], s[24:25], 0x4
	s_load_b64 s[26:27], s[22:23], 0x0
	s_add_co_i32 s14, s14, -1
	s_wait_xcnt 0x0
	s_add_nc_u64 s[24:25], s[24:25], 12
	s_cmp_lg_u32 s14, 0
	s_add_nc_u64 s[22:23], s[22:23], 8
	s_wait_kmcnt 0x0
	v_mul_hi_u32 v4, s41, v1
	s_delay_alu instid0(VALU_DEP_1) | instskip(NEXT) | instid1(VALU_DEP_1)
	v_add_nc_u32_e32 v4, v1, v4
	v_lshrrev_b32_e32 v4, s42, v4
	s_delay_alu instid0(VALU_DEP_1) | instskip(NEXT) | instid1(VALU_DEP_1)
	v_mul_lo_u32 v5, v4, s40
	v_sub_nc_u32_e32 v1, v1, v5
	s_delay_alu instid0(VALU_DEP_1)
	v_mad_u32 v3, v1, s27, v3
	v_mad_u32 v2, v1, s26, v2
	v_mov_b32_e32 v1, v4
	s_cbranch_scc1 .LBB13_94
.LBB13_95:
	s_cbranch_execnz .LBB13_98
.LBB13_96:
	v_mov_b32_e32 v1, 0
	s_and_not1_b32 vcc_lo, exec_lo, s34
	s_delay_alu instid0(VALU_DEP_1) | instskip(NEXT) | instid1(VALU_DEP_1)
	v_mul_u64_e32 v[2:3], s[16:17], v[0:1]
	v_add_nc_u32_e32 v2, v0, v3
	s_delay_alu instid0(VALU_DEP_1) | instskip(NEXT) | instid1(VALU_DEP_1)
	v_lshrrev_b32_e32 v4, s6, v2
	v_mul_lo_u32 v2, v4, s4
	s_delay_alu instid0(VALU_DEP_1) | instskip(NEXT) | instid1(VALU_DEP_1)
	v_sub_nc_u32_e32 v2, v0, v2
	v_mul_lo_u32 v3, v2, s9
	v_mul_lo_u32 v2, v2, s8
	s_cbranch_vccnz .LBB13_98
; %bb.97:
	v_mov_b32_e32 v5, v1
	s_delay_alu instid0(VALU_DEP_1) | instskip(NEXT) | instid1(VALU_DEP_1)
	v_mul_u64_e32 v[6:7], s[18:19], v[4:5]
	v_add_nc_u32_e32 v1, v4, v7
	s_delay_alu instid0(VALU_DEP_1) | instskip(NEXT) | instid1(VALU_DEP_1)
	v_lshrrev_b32_e32 v1, s15, v1
	v_mul_lo_u32 v1, v1, s7
	s_delay_alu instid0(VALU_DEP_1) | instskip(NEXT) | instid1(VALU_DEP_1)
	v_sub_nc_u32_e32 v1, v4, v1
	v_mad_u32 v2, v1, s10, v2
	v_mad_u32 v3, v1, s11, v3
.LBB13_98:
	global_load_b32 v1, v3, s[2:3]
	v_add_nc_u32_e32 v0, 0x80, v0
	s_wait_loadcnt 0x0
	v_cmp_nge_f32_e64 s14, v1, -s33
	v_cmp_nge_f32_e32 vcc_lo, s33, v1
	s_or_b32 vcc_lo, s14, vcc_lo
	v_cndmask_b32_e32 v1, 0, v1, vcc_lo
	global_store_b32 v2, v1, s[0:1]
	s_wait_xcnt 0x0
	s_or_b32 exec_lo, exec_lo, s5
	s_delay_alu instid0(SALU_CYCLE_1)
	s_mov_b32 s5, exec_lo
	v_cmpx_gt_i32_e64 s35, v0
	s_cbranch_execnz .LBB13_84
.LBB13_99:
	s_or_b32 exec_lo, exec_lo, s5
	s_delay_alu instid0(SALU_CYCLE_1)
	s_mov_b32 s5, exec_lo
	v_cmpx_gt_i32_e64 s35, v0
	s_cbranch_execnz .LBB13_110
.LBB13_100:
	s_or_b32 exec_lo, exec_lo, s5
                                        ; implicit-def: $vgpr8
                                        ; implicit-def: $vgpr0
	s_and_not1_saveexec_b32 s0, s31
	s_cbranch_execnz .LBB13_8
.LBB13_101:
	s_endpgm
.LBB13_102:
	v_mov_b64_e32 v[2:3], 0
	v_mov_b32_e32 v1, v0
	s_mov_b32 s22, 0
.LBB13_103:
	s_and_b32 s14, s14, 3
	s_mov_b32 s23, 0
	s_cmp_eq_u32 s14, 0
	s_cbranch_scc1 .LBB13_106
; %bb.104:
	s_lshl_b32 s24, s22, 3
	s_mov_b32 s25, s23
	s_mul_u64 s[26:27], s[22:23], 12
	s_add_nc_u64 s[24:25], s[12:13], s[24:25]
	s_delay_alu instid0(SALU_CYCLE_1)
	s_add_nc_u64 s[22:23], s[24:25], 0xc4
	s_add_nc_u64 s[24:25], s[12:13], s[26:27]
.LBB13_105:                             ; =>This Inner Loop Header: Depth=1
	s_load_b96 s[40:42], s[24:25], 0x4
	s_load_b64 s[26:27], s[22:23], 0x0
	s_add_co_i32 s14, s14, -1
	s_wait_xcnt 0x0
	s_add_nc_u64 s[24:25], s[24:25], 12
	s_cmp_lg_u32 s14, 0
	s_add_nc_u64 s[22:23], s[22:23], 8
	s_wait_kmcnt 0x0
	v_mul_hi_u32 v4, s41, v1
	s_delay_alu instid0(VALU_DEP_1) | instskip(NEXT) | instid1(VALU_DEP_1)
	v_add_nc_u32_e32 v4, v1, v4
	v_lshrrev_b32_e32 v4, s42, v4
	s_delay_alu instid0(VALU_DEP_1) | instskip(NEXT) | instid1(VALU_DEP_1)
	v_mul_lo_u32 v5, v4, s40
	v_sub_nc_u32_e32 v1, v1, v5
	s_delay_alu instid0(VALU_DEP_1)
	v_mad_u32 v3, v1, s27, v3
	v_mad_u32 v2, v1, s26, v2
	v_mov_b32_e32 v1, v4
	s_cbranch_scc1 .LBB13_105
.LBB13_106:
	s_cbranch_execnz .LBB13_109
.LBB13_107:
	v_mov_b32_e32 v1, 0
	s_and_not1_b32 vcc_lo, exec_lo, s34
	s_delay_alu instid0(VALU_DEP_1) | instskip(NEXT) | instid1(VALU_DEP_1)
	v_mul_u64_e32 v[2:3], s[16:17], v[0:1]
	v_add_nc_u32_e32 v2, v0, v3
	s_delay_alu instid0(VALU_DEP_1) | instskip(NEXT) | instid1(VALU_DEP_1)
	v_lshrrev_b32_e32 v4, s6, v2
	v_mul_lo_u32 v2, v4, s4
	s_delay_alu instid0(VALU_DEP_1) | instskip(NEXT) | instid1(VALU_DEP_1)
	v_sub_nc_u32_e32 v2, v0, v2
	v_mul_lo_u32 v3, v2, s9
	v_mul_lo_u32 v2, v2, s8
	s_cbranch_vccnz .LBB13_109
; %bb.108:
	v_mov_b32_e32 v5, v1
	s_delay_alu instid0(VALU_DEP_1) | instskip(NEXT) | instid1(VALU_DEP_1)
	v_mul_u64_e32 v[6:7], s[18:19], v[4:5]
	v_add_nc_u32_e32 v1, v4, v7
	s_delay_alu instid0(VALU_DEP_1) | instskip(NEXT) | instid1(VALU_DEP_1)
	v_lshrrev_b32_e32 v1, s15, v1
	v_mul_lo_u32 v1, v1, s7
	s_delay_alu instid0(VALU_DEP_1) | instskip(NEXT) | instid1(VALU_DEP_1)
	v_sub_nc_u32_e32 v1, v4, v1
	v_mad_u32 v2, v1, s10, v2
	v_mad_u32 v3, v1, s11, v3
.LBB13_109:
	global_load_b32 v1, v3, s[2:3]
	v_add_nc_u32_e32 v0, 0x80, v0
	s_wait_loadcnt 0x0
	v_cmp_nge_f32_e64 s14, v1, -s33
	v_cmp_nge_f32_e32 vcc_lo, s33, v1
	s_or_b32 vcc_lo, s14, vcc_lo
	v_cndmask_b32_e32 v1, 0, v1, vcc_lo
	global_store_b32 v2, v1, s[0:1]
	s_wait_xcnt 0x0
	s_or_b32 exec_lo, exec_lo, s5
	s_delay_alu instid0(SALU_CYCLE_1)
	s_mov_b32 s5, exec_lo
	v_cmpx_gt_i32_e64 s35, v0
	s_cbranch_execz .LBB13_100
.LBB13_110:
	s_and_not1_b32 vcc_lo, exec_lo, s30
	s_cbranch_vccnz .LBB13_115
; %bb.111:
	s_and_not1_b32 vcc_lo, exec_lo, s37
	s_cbranch_vccnz .LBB13_116
; %bb.112:
	s_add_co_i32 s36, s36, 1
	s_cmp_eq_u32 s29, 2
	s_cbranch_scc1 .LBB13_117
; %bb.113:
	v_dual_mov_b32 v2, 0 :: v_dual_mov_b32 v3, 0
	v_mov_b32_e32 v1, v0
	s_and_b32 s22, s36, 28
	s_mov_b32 s14, 0
	s_mov_b64 s[24:25], s[12:13]
.LBB13_114:                             ; =>This Inner Loop Header: Depth=1
	s_clause 0x1
	s_load_b256 s[40:47], s[24:25], 0x4
	s_load_b128 s[56:59], s[24:25], 0x24
	s_load_b256 s[48:55], s[20:21], 0x0
	s_add_co_i32 s14, s14, 4
	s_wait_xcnt 0x0
	s_add_nc_u64 s[24:25], s[24:25], 48
	s_cmp_eq_u32 s22, s14
	s_add_nc_u64 s[20:21], s[20:21], 32
	s_wait_kmcnt 0x0
	v_mul_hi_u32 v4, s41, v1
	s_delay_alu instid0(VALU_DEP_1) | instskip(NEXT) | instid1(VALU_DEP_1)
	v_add_nc_u32_e32 v4, v1, v4
	v_lshrrev_b32_e32 v4, s42, v4
	s_delay_alu instid0(VALU_DEP_1) | instskip(NEXT) | instid1(VALU_DEP_1)
	v_mul_hi_u32 v5, s44, v4
	v_add_nc_u32_e32 v5, v4, v5
	s_delay_alu instid0(VALU_DEP_1) | instskip(NEXT) | instid1(VALU_DEP_1)
	v_lshrrev_b32_e32 v5, s45, v5
	v_mul_hi_u32 v6, s47, v5
	s_delay_alu instid0(VALU_DEP_1) | instskip(SKIP_1) | instid1(VALU_DEP_1)
	v_add_nc_u32_e32 v6, v5, v6
	v_mul_lo_u32 v7, v4, s40
	v_sub_nc_u32_e32 v1, v1, v7
	v_mul_lo_u32 v7, v5, s43
	s_delay_alu instid0(VALU_DEP_4) | instskip(NEXT) | instid1(VALU_DEP_3)
	v_lshrrev_b32_e32 v6, s56, v6
	v_mad_u32 v3, v1, s49, v3
	v_mad_u32 v1, v1, s48, v2
	s_delay_alu instid0(VALU_DEP_4) | instskip(NEXT) | instid1(VALU_DEP_4)
	v_sub_nc_u32_e32 v2, v4, v7
	v_mul_hi_u32 v8, s58, v6
	v_mul_lo_u32 v4, v6, s46
	s_delay_alu instid0(VALU_DEP_3) | instskip(SKIP_1) | instid1(VALU_DEP_4)
	v_mad_u32 v3, v2, s51, v3
	v_mad_u32 v2, v2, s50, v1
	v_add_nc_u32_e32 v7, v6, v8
	s_delay_alu instid0(VALU_DEP_1) | instskip(NEXT) | instid1(VALU_DEP_1)
	v_dual_sub_nc_u32 v4, v5, v4 :: v_dual_lshrrev_b32 v1, s59, v7
	v_mad_u32 v3, v4, s53, v3
	s_delay_alu instid0(VALU_DEP_4) | instskip(NEXT) | instid1(VALU_DEP_3)
	v_mad_u32 v2, v4, s52, v2
	v_mul_lo_u32 v5, v1, s57
	s_delay_alu instid0(VALU_DEP_1) | instskip(NEXT) | instid1(VALU_DEP_1)
	v_sub_nc_u32_e32 v4, v6, v5
	v_mad_u32 v3, v4, s55, v3
	s_delay_alu instid0(VALU_DEP_4)
	v_mad_u32 v2, v4, s54, v2
	s_cbranch_scc0 .LBB13_114
	s_branch .LBB13_118
.LBB13_115:
                                        ; implicit-def: $vgpr3
	s_branch .LBB13_122
.LBB13_116:
	v_dual_mov_b32 v3, 0 :: v_dual_mov_b32 v2, 0
	s_branch .LBB13_121
.LBB13_117:
	v_mov_b64_e32 v[2:3], 0
	v_mov_b32_e32 v1, v0
	s_mov_b32 s22, 0
.LBB13_118:
	s_and_b32 s14, s36, 3
	s_mov_b32 s23, 0
	s_cmp_eq_u32 s14, 0
	s_cbranch_scc1 .LBB13_121
; %bb.119:
	s_lshl_b32 s20, s22, 3
	s_mov_b32 s21, s23
	s_mul_u64 s[22:23], s[22:23], 12
	s_add_nc_u64 s[20:21], s[12:13], s[20:21]
	s_add_nc_u64 s[22:23], s[12:13], s[22:23]
	;; [unrolled: 1-line block ×3, first 2 shown]
.LBB13_120:                             ; =>This Inner Loop Header: Depth=1
	s_load_b96 s[24:26], s[22:23], 0x4
	s_add_co_i32 s14, s14, -1
	s_wait_xcnt 0x0
	s_add_nc_u64 s[22:23], s[22:23], 12
	s_cmp_lg_u32 s14, 0
	s_wait_kmcnt 0x0
	v_mul_hi_u32 v4, s25, v1
	s_delay_alu instid0(VALU_DEP_1) | instskip(NEXT) | instid1(VALU_DEP_1)
	v_add_nc_u32_e32 v4, v1, v4
	v_lshrrev_b32_e32 v4, s26, v4
	s_load_b64 s[26:27], s[20:21], 0x0
	s_wait_xcnt 0x0
	s_add_nc_u64 s[20:21], s[20:21], 8
	s_delay_alu instid0(VALU_DEP_1) | instskip(NEXT) | instid1(VALU_DEP_1)
	v_mul_lo_u32 v5, v4, s24
	v_sub_nc_u32_e32 v1, v1, v5
	s_wait_kmcnt 0x0
	s_delay_alu instid0(VALU_DEP_1)
	v_mad_u32 v3, v1, s27, v3
	v_mad_u32 v2, v1, s26, v2
	v_mov_b32_e32 v1, v4
	s_cbranch_scc1 .LBB13_120
.LBB13_121:
	s_cbranch_execnz .LBB13_124
.LBB13_122:
	v_mov_b32_e32 v1, 0
	s_and_not1_b32 vcc_lo, exec_lo, s34
	s_delay_alu instid0(VALU_DEP_1) | instskip(NEXT) | instid1(VALU_DEP_1)
	v_mul_u64_e32 v[2:3], s[16:17], v[0:1]
	v_add_nc_u32_e32 v2, v0, v3
	s_delay_alu instid0(VALU_DEP_1) | instskip(NEXT) | instid1(VALU_DEP_1)
	v_lshrrev_b32_e32 v4, s6, v2
	v_mul_lo_u32 v2, v4, s4
	s_delay_alu instid0(VALU_DEP_1) | instskip(NEXT) | instid1(VALU_DEP_1)
	v_sub_nc_u32_e32 v0, v0, v2
	v_mul_lo_u32 v3, v0, s9
	v_mul_lo_u32 v2, v0, s8
	s_cbranch_vccnz .LBB13_124
; %bb.123:
	v_mov_b32_e32 v5, v1
	s_delay_alu instid0(VALU_DEP_1) | instskip(NEXT) | instid1(VALU_DEP_1)
	v_mul_u64_e32 v[0:1], s[18:19], v[4:5]
	v_add_nc_u32_e32 v0, v4, v1
	s_delay_alu instid0(VALU_DEP_1) | instskip(NEXT) | instid1(VALU_DEP_1)
	v_lshrrev_b32_e32 v0, s15, v0
	v_mul_lo_u32 v0, v0, s7
	s_delay_alu instid0(VALU_DEP_1) | instskip(NEXT) | instid1(VALU_DEP_1)
	v_sub_nc_u32_e32 v0, v4, v0
	v_mad_u32 v2, v0, s10, v2
	v_mad_u32 v3, v0, s11, v3
.LBB13_124:
	global_load_b32 v0, v3, s[2:3]
	s_wait_loadcnt 0x0
	v_cmp_nge_f32_e64 s2, v0, -s33
	v_cmp_nge_f32_e32 vcc_lo, s33, v0
	s_or_b32 vcc_lo, s2, vcc_lo
	v_cndmask_b32_e32 v0, 0, v0, vcc_lo
	global_store_b32 v2, v0, s[0:1]
	s_wait_xcnt 0x0
	s_or_b32 exec_lo, exec_lo, s5
                                        ; implicit-def: $vgpr8
                                        ; implicit-def: $vgpr0
	s_and_not1_saveexec_b32 s0, s31
	s_cbranch_execz .LBB13_101
	s_branch .LBB13_8
	.section	.rodata,"a",@progbits
	.p2align	6, 0x0
	.amdhsa_kernel _ZN2at6native32elementwise_kernel_manual_unrollILi128ELi4EZNS0_22gpu_kernel_impl_nocastIZZZNS0_12_GLOBAL__N_117hardshrink_kernelERNS_18TensorIteratorBaseERKN3c106ScalarEENKUlvE_clEvENKUlvE0_clEvEUlfE_EEvS5_RKT_EUlibE_EEviT1_
		.amdhsa_group_segment_fixed_size 0
		.amdhsa_private_segment_fixed_size 0
		.amdhsa_kernarg_size 360
		.amdhsa_user_sgpr_count 2
		.amdhsa_user_sgpr_dispatch_ptr 0
		.amdhsa_user_sgpr_queue_ptr 0
		.amdhsa_user_sgpr_kernarg_segment_ptr 1
		.amdhsa_user_sgpr_dispatch_id 0
		.amdhsa_user_sgpr_kernarg_preload_length 0
		.amdhsa_user_sgpr_kernarg_preload_offset 0
		.amdhsa_user_sgpr_private_segment_size 0
		.amdhsa_wavefront_size32 1
		.amdhsa_uses_dynamic_stack 0
		.amdhsa_enable_private_segment 0
		.amdhsa_system_sgpr_workgroup_id_x 1
		.amdhsa_system_sgpr_workgroup_id_y 0
		.amdhsa_system_sgpr_workgroup_id_z 0
		.amdhsa_system_sgpr_workgroup_info 0
		.amdhsa_system_vgpr_workitem_id 0
		.amdhsa_next_free_vgpr 15
		.amdhsa_next_free_sgpr 60
		.amdhsa_named_barrier_count 0
		.amdhsa_reserve_vcc 1
		.amdhsa_float_round_mode_32 0
		.amdhsa_float_round_mode_16_64 0
		.amdhsa_float_denorm_mode_32 3
		.amdhsa_float_denorm_mode_16_64 3
		.amdhsa_fp16_overflow 0
		.amdhsa_memory_ordered 1
		.amdhsa_forward_progress 1
		.amdhsa_inst_pref_size 51
		.amdhsa_round_robin_scheduling 0
		.amdhsa_exception_fp_ieee_invalid_op 0
		.amdhsa_exception_fp_denorm_src 0
		.amdhsa_exception_fp_ieee_div_zero 0
		.amdhsa_exception_fp_ieee_overflow 0
		.amdhsa_exception_fp_ieee_underflow 0
		.amdhsa_exception_fp_ieee_inexact 0
		.amdhsa_exception_int_div_zero 0
	.end_amdhsa_kernel
	.section	.text._ZN2at6native32elementwise_kernel_manual_unrollILi128ELi4EZNS0_22gpu_kernel_impl_nocastIZZZNS0_12_GLOBAL__N_117hardshrink_kernelERNS_18TensorIteratorBaseERKN3c106ScalarEENKUlvE_clEvENKUlvE0_clEvEUlfE_EEvS5_RKT_EUlibE_EEviT1_,"axG",@progbits,_ZN2at6native32elementwise_kernel_manual_unrollILi128ELi4EZNS0_22gpu_kernel_impl_nocastIZZZNS0_12_GLOBAL__N_117hardshrink_kernelERNS_18TensorIteratorBaseERKN3c106ScalarEENKUlvE_clEvENKUlvE0_clEvEUlfE_EEvS5_RKT_EUlibE_EEviT1_,comdat
.Lfunc_end13:
	.size	_ZN2at6native32elementwise_kernel_manual_unrollILi128ELi4EZNS0_22gpu_kernel_impl_nocastIZZZNS0_12_GLOBAL__N_117hardshrink_kernelERNS_18TensorIteratorBaseERKN3c106ScalarEENKUlvE_clEvENKUlvE0_clEvEUlfE_EEvS5_RKT_EUlibE_EEviT1_, .Lfunc_end13-_ZN2at6native32elementwise_kernel_manual_unrollILi128ELi4EZNS0_22gpu_kernel_impl_nocastIZZZNS0_12_GLOBAL__N_117hardshrink_kernelERNS_18TensorIteratorBaseERKN3c106ScalarEENKUlvE_clEvENKUlvE0_clEvEUlfE_EEvS5_RKT_EUlibE_EEviT1_
                                        ; -- End function
	.set _ZN2at6native32elementwise_kernel_manual_unrollILi128ELi4EZNS0_22gpu_kernel_impl_nocastIZZZNS0_12_GLOBAL__N_117hardshrink_kernelERNS_18TensorIteratorBaseERKN3c106ScalarEENKUlvE_clEvENKUlvE0_clEvEUlfE_EEvS5_RKT_EUlibE_EEviT1_.num_vgpr, 15
	.set _ZN2at6native32elementwise_kernel_manual_unrollILi128ELi4EZNS0_22gpu_kernel_impl_nocastIZZZNS0_12_GLOBAL__N_117hardshrink_kernelERNS_18TensorIteratorBaseERKN3c106ScalarEENKUlvE_clEvENKUlvE0_clEvEUlfE_EEvS5_RKT_EUlibE_EEviT1_.num_agpr, 0
	.set _ZN2at6native32elementwise_kernel_manual_unrollILi128ELi4EZNS0_22gpu_kernel_impl_nocastIZZZNS0_12_GLOBAL__N_117hardshrink_kernelERNS_18TensorIteratorBaseERKN3c106ScalarEENKUlvE_clEvENKUlvE0_clEvEUlfE_EEvS5_RKT_EUlibE_EEviT1_.numbered_sgpr, 60
	.set _ZN2at6native32elementwise_kernel_manual_unrollILi128ELi4EZNS0_22gpu_kernel_impl_nocastIZZZNS0_12_GLOBAL__N_117hardshrink_kernelERNS_18TensorIteratorBaseERKN3c106ScalarEENKUlvE_clEvENKUlvE0_clEvEUlfE_EEvS5_RKT_EUlibE_EEviT1_.num_named_barrier, 0
	.set _ZN2at6native32elementwise_kernel_manual_unrollILi128ELi4EZNS0_22gpu_kernel_impl_nocastIZZZNS0_12_GLOBAL__N_117hardshrink_kernelERNS_18TensorIteratorBaseERKN3c106ScalarEENKUlvE_clEvENKUlvE0_clEvEUlfE_EEvS5_RKT_EUlibE_EEviT1_.private_seg_size, 0
	.set _ZN2at6native32elementwise_kernel_manual_unrollILi128ELi4EZNS0_22gpu_kernel_impl_nocastIZZZNS0_12_GLOBAL__N_117hardshrink_kernelERNS_18TensorIteratorBaseERKN3c106ScalarEENKUlvE_clEvENKUlvE0_clEvEUlfE_EEvS5_RKT_EUlibE_EEviT1_.uses_vcc, 1
	.set _ZN2at6native32elementwise_kernel_manual_unrollILi128ELi4EZNS0_22gpu_kernel_impl_nocastIZZZNS0_12_GLOBAL__N_117hardshrink_kernelERNS_18TensorIteratorBaseERKN3c106ScalarEENKUlvE_clEvENKUlvE0_clEvEUlfE_EEvS5_RKT_EUlibE_EEviT1_.uses_flat_scratch, 0
	.set _ZN2at6native32elementwise_kernel_manual_unrollILi128ELi4EZNS0_22gpu_kernel_impl_nocastIZZZNS0_12_GLOBAL__N_117hardshrink_kernelERNS_18TensorIteratorBaseERKN3c106ScalarEENKUlvE_clEvENKUlvE0_clEvEUlfE_EEvS5_RKT_EUlibE_EEviT1_.has_dyn_sized_stack, 0
	.set _ZN2at6native32elementwise_kernel_manual_unrollILi128ELi4EZNS0_22gpu_kernel_impl_nocastIZZZNS0_12_GLOBAL__N_117hardshrink_kernelERNS_18TensorIteratorBaseERKN3c106ScalarEENKUlvE_clEvENKUlvE0_clEvEUlfE_EEvS5_RKT_EUlibE_EEviT1_.has_recursion, 0
	.set _ZN2at6native32elementwise_kernel_manual_unrollILi128ELi4EZNS0_22gpu_kernel_impl_nocastIZZZNS0_12_GLOBAL__N_117hardshrink_kernelERNS_18TensorIteratorBaseERKN3c106ScalarEENKUlvE_clEvENKUlvE0_clEvEUlfE_EEvS5_RKT_EUlibE_EEviT1_.has_indirect_call, 0
	.section	.AMDGPU.csdata,"",@progbits
; Kernel info:
; codeLenInByte = 6444
; TotalNumSgprs: 62
; NumVgprs: 15
; ScratchSize: 0
; MemoryBound: 0
; FloatMode: 240
; IeeeMode: 1
; LDSByteSize: 0 bytes/workgroup (compile time only)
; SGPRBlocks: 0
; VGPRBlocks: 0
; NumSGPRsForWavesPerEU: 62
; NumVGPRsForWavesPerEU: 15
; NamedBarCnt: 0
; Occupancy: 16
; WaveLimiterHint : 1
; COMPUTE_PGM_RSRC2:SCRATCH_EN: 0
; COMPUTE_PGM_RSRC2:USER_SGPR: 2
; COMPUTE_PGM_RSRC2:TRAP_HANDLER: 0
; COMPUTE_PGM_RSRC2:TGID_X_EN: 1
; COMPUTE_PGM_RSRC2:TGID_Y_EN: 0
; COMPUTE_PGM_RSRC2:TGID_Z_EN: 0
; COMPUTE_PGM_RSRC2:TIDIG_COMP_CNT: 0
	.section	.text._ZN2at6native32elementwise_kernel_manual_unrollILi128ELi4EZNS0_15gpu_kernel_implIZZZNS0_12_GLOBAL__N_117hardshrink_kernelERNS_18TensorIteratorBaseERKN3c106ScalarEENKUlvE_clEvENKUlvE0_clEvEUlfE_EEvS5_RKT_EUlibE_EEviT1_,"axG",@progbits,_ZN2at6native32elementwise_kernel_manual_unrollILi128ELi4EZNS0_15gpu_kernel_implIZZZNS0_12_GLOBAL__N_117hardshrink_kernelERNS_18TensorIteratorBaseERKN3c106ScalarEENKUlvE_clEvENKUlvE0_clEvEUlfE_EEvS5_RKT_EUlibE_EEviT1_,comdat
	.globl	_ZN2at6native32elementwise_kernel_manual_unrollILi128ELi4EZNS0_15gpu_kernel_implIZZZNS0_12_GLOBAL__N_117hardshrink_kernelERNS_18TensorIteratorBaseERKN3c106ScalarEENKUlvE_clEvENKUlvE0_clEvEUlfE_EEvS5_RKT_EUlibE_EEviT1_ ; -- Begin function _ZN2at6native32elementwise_kernel_manual_unrollILi128ELi4EZNS0_15gpu_kernel_implIZZZNS0_12_GLOBAL__N_117hardshrink_kernelERNS_18TensorIteratorBaseERKN3c106ScalarEENKUlvE_clEvENKUlvE0_clEvEUlfE_EEvS5_RKT_EUlibE_EEviT1_
	.p2align	8
	.type	_ZN2at6native32elementwise_kernel_manual_unrollILi128ELi4EZNS0_15gpu_kernel_implIZZZNS0_12_GLOBAL__N_117hardshrink_kernelERNS_18TensorIteratorBaseERKN3c106ScalarEENKUlvE_clEvENKUlvE0_clEvEUlfE_EEvS5_RKT_EUlibE_EEviT1_,@function
_ZN2at6native32elementwise_kernel_manual_unrollILi128ELi4EZNS0_15gpu_kernel_implIZZZNS0_12_GLOBAL__N_117hardshrink_kernelERNS_18TensorIteratorBaseERKN3c106ScalarEENKUlvE_clEvENKUlvE0_clEvEUlfE_EEvS5_RKT_EUlibE_EEviT1_: ; @_ZN2at6native32elementwise_kernel_manual_unrollILi128ELi4EZNS0_15gpu_kernel_implIZZZNS0_12_GLOBAL__N_117hardshrink_kernelERNS_18TensorIteratorBaseERKN3c106ScalarEENKUlvE_clEvENKUlvE0_clEvEUlfE_EEvS5_RKT_EUlibE_EEviT1_
; %bb.0:
	s_load_b256 s[4:11], s[0:1], 0x8
	s_bfe_u32 s2, ttmp6, 0x4000c
	s_load_b32 s13, s[0:1], 0x0
	s_add_co_i32 s2, s2, 1
	s_and_b32 s3, ttmp6, 15
	s_wait_xcnt 0x0
	s_mul_i32 s1, ttmp9, s2
	s_getreg_b32 s0, hwreg(HW_REG_IB_STS2, 6, 4)
	s_add_co_i32 s3, s3, s1
	s_mov_b32 s1, 0
	s_mov_b32 s12, 0
	s_wait_kmcnt 0x0
	s_bfe_u32 s2, s11, 0x80008
	s_cmp_eq_u32 s0, 0
	s_cselect_b32 s0, ttmp9, s3
	s_delay_alu instid0(SALU_CYCLE_1) | instskip(SKIP_1) | instid1(VALU_DEP_1)
	v_lshl_or_b32 v4, s0, 9, v0
	s_mov_b32 s0, exec_lo
	v_or_b32_e32 v0, 0x180, v4
	s_delay_alu instid0(VALU_DEP_1)
	v_cmpx_le_i32_e64 s13, v0
	s_xor_b32 s3, exec_lo, s0
	s_cbranch_execz .LBB14_1028
; %bb.1:
	s_mov_b32 s18, -1
	s_mov_b32 s16, 0
	s_mov_b32 s14, 0
	s_mov_b32 s15, exec_lo
	v_cmpx_gt_i32_e64 s13, v4
	s_cbranch_execz .LBB14_252
; %bb.2:
	v_mul_lo_u32 v0, v4, s9
	s_and_b32 s0, 0xffff, s2
	s_delay_alu instid0(SALU_CYCLE_1) | instskip(NEXT) | instid1(VALU_DEP_1)
	s_cmp_lt_i32 s0, 11
	v_ashrrev_i32_e32 v1, 31, v0
	s_delay_alu instid0(VALU_DEP_1)
	v_add_nc_u64_e32 v[0:1], s[6:7], v[0:1]
	s_cbranch_scc1 .LBB14_9
; %bb.3:
	s_cmp_gt_i32 s0, 25
	s_cbranch_scc0 .LBB14_57
; %bb.4:
	s_cmp_gt_i32 s0, 28
	s_cbranch_scc0 .LBB14_58
	;; [unrolled: 3-line block ×4, first 2 shown]
; %bb.7:
	s_cmp_eq_u32 s0, 46
	s_mov_b32 s17, 0
	s_cbranch_scc0 .LBB14_64
; %bb.8:
	global_load_b32 v2, v[0:1], off
	s_mov_b32 s12, -1
	s_wait_loadcnt 0x0
	v_lshlrev_b32_e32 v2, 16, v2
	s_branch .LBB14_66
.LBB14_9:
                                        ; implicit-def: $vgpr2
	s_cbranch_execnz .LBB14_202
.LBB14_10:
	s_and_not1_b32 vcc_lo, exec_lo, s12
	s_cbranch_vccnz .LBB14_249
.LBB14_11:
	s_wait_xcnt 0x0
	v_mul_lo_u32 v0, v4, s8
	s_wait_loadcnt 0x0
	s_delay_alu instid0(VALU_DEP_2)
	v_cmp_nge_f32_e64 s12, v2, -s10
	v_cmp_nge_f32_e32 vcc_lo, s10, v2
	s_mov_b32 s0, 0
	s_mov_b32 s17, -1
	s_mov_b32 s18, 0
	s_or_b32 vcc_lo, s12, vcc_lo
	s_and_b32 s12, s11, 0xff
	v_cndmask_b32_e32 v2, 0, v2, vcc_lo
	s_cmp_lt_i32 s12, 11
	v_ashrrev_i32_e32 v1, 31, v0
	s_delay_alu instid0(VALU_DEP_1)
	v_add_nc_u64_e32 v[0:1], s[4:5], v[0:1]
	s_cbranch_scc1 .LBB14_18
; %bb.12:
	s_and_b32 s17, 0xffff, s12
	s_delay_alu instid0(SALU_CYCLE_1)
	s_cmp_gt_i32 s17, 25
	s_cbranch_scc0 .LBB14_59
; %bb.13:
	s_cmp_gt_i32 s17, 28
	s_cbranch_scc0 .LBB14_61
; %bb.14:
	;; [unrolled: 3-line block ×4, first 2 shown]
	s_mov_b32 s19, 0
	s_mov_b32 s0, -1
	s_cmp_eq_u32 s17, 46
	s_cbranch_scc0 .LBB14_70
; %bb.17:
	v_bfe_u32 v3, v2, 16, 1
	v_cmp_o_f32_e32 vcc_lo, v2, v2
	s_mov_b32 s18, -1
	s_mov_b32 s0, 0
	s_delay_alu instid0(VALU_DEP_2) | instskip(NEXT) | instid1(VALU_DEP_1)
	v_add3_u32 v3, v2, v3, 0x7fff
	v_lshrrev_b32_e32 v3, 16, v3
	s_delay_alu instid0(VALU_DEP_1)
	v_cndmask_b32_e32 v3, 0x7fc0, v3, vcc_lo
	global_store_b32 v[0:1], v3, off
	s_branch .LBB14_70
.LBB14_18:
	s_and_b32 vcc_lo, exec_lo, s17
	s_cbranch_vccz .LBB14_139
; %bb.19:
	s_and_b32 s12, 0xffff, s12
	s_mov_b32 s17, -1
	s_cmp_lt_i32 s12, 5
	s_cbranch_scc1 .LBB14_40
; %bb.20:
	s_cmp_lt_i32 s12, 8
	s_cbranch_scc1 .LBB14_30
; %bb.21:
	;; [unrolled: 3-line block ×3, first 2 shown]
	s_cmp_gt_i32 s12, 9
	s_cbranch_scc0 .LBB14_24
; %bb.23:
	s_wait_xcnt 0x0
	v_cvt_f64_f32_e32 v[6:7], v2
	v_mov_b32_e32 v8, 0
	s_mov_b32 s17, 0
	s_delay_alu instid0(VALU_DEP_1)
	v_mov_b32_e32 v9, v8
	global_store_b128 v[0:1], v[6:9], off
.LBB14_24:
	s_and_not1_b32 vcc_lo, exec_lo, s17
	s_cbranch_vccnz .LBB14_26
; %bb.25:
	s_wait_xcnt 0x0
	v_mov_b32_e32 v3, 0
	global_store_b64 v[0:1], v[2:3], off
.LBB14_26:
	s_mov_b32 s17, 0
.LBB14_27:
	s_delay_alu instid0(SALU_CYCLE_1)
	s_and_not1_b32 vcc_lo, exec_lo, s17
	s_cbranch_vccnz .LBB14_29
; %bb.28:
	s_wait_xcnt 0x0
	v_cvt_f16_f32_e32 v3, v2
	s_delay_alu instid0(VALU_DEP_1)
	v_and_b32_e32 v3, 0xffff, v3
	global_store_b32 v[0:1], v3, off
.LBB14_29:
	s_mov_b32 s17, 0
.LBB14_30:
	s_delay_alu instid0(SALU_CYCLE_1)
	s_and_not1_b32 vcc_lo, exec_lo, s17
	s_cbranch_vccnz .LBB14_39
; %bb.31:
	s_cmp_lt_i32 s12, 6
	s_mov_b32 s17, -1
	s_cbranch_scc1 .LBB14_37
; %bb.32:
	s_cmp_gt_i32 s12, 6
	s_cbranch_scc0 .LBB14_34
; %bb.33:
	s_wait_xcnt 0x0
	v_cvt_f64_f32_e32 v[6:7], v2
	s_mov_b32 s17, 0
	global_store_b64 v[0:1], v[6:7], off
.LBB14_34:
	s_and_not1_b32 vcc_lo, exec_lo, s17
	s_cbranch_vccnz .LBB14_36
; %bb.35:
	global_store_b32 v[0:1], v2, off
.LBB14_36:
	s_mov_b32 s17, 0
.LBB14_37:
	s_delay_alu instid0(SALU_CYCLE_1)
	s_and_not1_b32 vcc_lo, exec_lo, s17
	s_cbranch_vccnz .LBB14_39
; %bb.38:
	s_wait_xcnt 0x0
	v_cvt_f16_f32_e32 v3, v2
	global_store_b16 v[0:1], v3, off
.LBB14_39:
	s_mov_b32 s17, 0
.LBB14_40:
	s_delay_alu instid0(SALU_CYCLE_1)
	s_and_not1_b32 vcc_lo, exec_lo, s17
	s_cbranch_vccnz .LBB14_56
; %bb.41:
	s_cmp_lt_i32 s12, 2
	s_mov_b32 s17, -1
	s_cbranch_scc1 .LBB14_51
; %bb.42:
	s_cmp_lt_i32 s12, 3
	s_cbranch_scc1 .LBB14_48
; %bb.43:
	s_cmp_gt_i32 s12, 3
	s_cbranch_scc0 .LBB14_45
; %bb.44:
	s_wait_xcnt 0x0
	v_trunc_f32_e32 v3, v2
	s_mov_b32 s17, 0
	s_delay_alu instid0(VALU_DEP_1) | instskip(SKIP_1) | instid1(VALU_DEP_2)
	v_mul_f32_e64 v5, 0x2f800000, |v3|
	v_ashrrev_i32_e32 v6, 31, v3
	v_floor_f32_e32 v5, v5
	s_delay_alu instid0(VALU_DEP_1) | instskip(SKIP_1) | instid1(VALU_DEP_2)
	v_fma_f32 v7, 0xcf800000, v5, |v3|
	v_cvt_u32_f32_e32 v3, v5
	v_cvt_u32_f32_e32 v5, v7
	s_delay_alu instid0(VALU_DEP_2) | instskip(NEXT) | instid1(VALU_DEP_2)
	v_dual_mov_b32 v7, v6 :: v_dual_bitop2_b32 v9, v3, v6 bitop3:0x14
	v_xor_b32_e32 v8, v5, v6
	s_delay_alu instid0(VALU_DEP_1)
	v_sub_nc_u64_e32 v[6:7], v[8:9], v[6:7]
	global_store_b64 v[0:1], v[6:7], off
.LBB14_45:
	s_and_not1_b32 vcc_lo, exec_lo, s17
	s_cbranch_vccnz .LBB14_47
; %bb.46:
	s_wait_xcnt 0x0
	v_cvt_i32_f32_e32 v3, v2
	global_store_b32 v[0:1], v3, off
.LBB14_47:
	s_mov_b32 s17, 0
.LBB14_48:
	s_delay_alu instid0(SALU_CYCLE_1)
	s_and_not1_b32 vcc_lo, exec_lo, s17
	s_cbranch_vccnz .LBB14_50
; %bb.49:
	s_wait_xcnt 0x0
	v_cvt_i32_f32_e32 v3, v2
	global_store_b16 v[0:1], v3, off
.LBB14_50:
	s_mov_b32 s17, 0
.LBB14_51:
	s_delay_alu instid0(SALU_CYCLE_1)
	s_and_not1_b32 vcc_lo, exec_lo, s17
	s_cbranch_vccnz .LBB14_56
; %bb.52:
	s_cmp_gt_i32 s12, 0
	s_mov_b32 s12, -1
	s_cbranch_scc0 .LBB14_54
; %bb.53:
	s_wait_xcnt 0x0
	v_cvt_i32_f32_e32 v3, v2
	s_mov_b32 s12, 0
	global_store_b8 v[0:1], v3, off
.LBB14_54:
	s_and_not1_b32 vcc_lo, exec_lo, s12
	s_cbranch_vccnz .LBB14_56
; %bb.55:
	s_wait_xcnt 0x0
	v_trunc_f32_e32 v2, v2
	s_delay_alu instid0(VALU_DEP_1) | instskip(NEXT) | instid1(VALU_DEP_1)
	v_mul_f32_e64 v3, 0x2f800000, |v2|
	v_floor_f32_e32 v3, v3
	s_delay_alu instid0(VALU_DEP_1) | instskip(SKIP_1) | instid1(VALU_DEP_2)
	v_fma_f32 v3, 0xcf800000, v3, |v2|
	v_ashrrev_i32_e32 v2, 31, v2
	v_cvt_u32_f32_e32 v3, v3
	s_delay_alu instid0(VALU_DEP_1) | instskip(NEXT) | instid1(VALU_DEP_1)
	v_xor_b32_e32 v3, v3, v2
	v_sub_nc_u32_e32 v2, v3, v2
	global_store_b8 v[0:1], v2, off
.LBB14_56:
	s_branch .LBB14_140
.LBB14_57:
                                        ; implicit-def: $vgpr2
	s_cbranch_execnz .LBB14_167
	s_branch .LBB14_201
.LBB14_58:
	s_mov_b32 s17, -1
                                        ; implicit-def: $vgpr2
	s_branch .LBB14_148
.LBB14_59:
	s_mov_b32 s19, -1
	s_branch .LBB14_97
.LBB14_60:
	s_mov_b32 s17, -1
                                        ; implicit-def: $vgpr2
	s_branch .LBB14_143
.LBB14_61:
	s_mov_b32 s19, -1
	s_branch .LBB14_80
.LBB14_62:
	s_mov_b32 s17, -1
	s_branch .LBB14_65
.LBB14_63:
	s_mov_b32 s19, -1
	s_branch .LBB14_76
.LBB14_64:
	s_mov_b32 s14, -1
.LBB14_65:
                                        ; implicit-def: $vgpr2
.LBB14_66:
	s_and_b32 vcc_lo, exec_lo, s17
	s_cbranch_vccz .LBB14_142
; %bb.67:
	s_cmp_eq_u32 s0, 44
	s_cbranch_scc0 .LBB14_141
; %bb.68:
	global_load_u8 v2, v[0:1], off
	s_mov_b32 s14, 0
	s_mov_b32 s12, -1
	s_wait_loadcnt 0x0
	v_lshlrev_b32_e32 v3, 23, v2
	v_cmp_ne_u32_e32 vcc_lo, 0xff, v2
	s_delay_alu instid0(VALU_DEP_2) | instskip(SKIP_1) | instid1(VALU_DEP_2)
	v_cndmask_b32_e32 v3, 0x7f800001, v3, vcc_lo
	v_cmp_ne_u32_e32 vcc_lo, 0, v2
	v_cndmask_b32_e32 v2, 0x400000, v3, vcc_lo
	s_branch .LBB14_142
.LBB14_69:
	s_mov_b32 s19, -1
.LBB14_70:
	s_delay_alu instid0(SALU_CYCLE_1)
	s_and_b32 vcc_lo, exec_lo, s19
	s_cbranch_vccz .LBB14_75
; %bb.71:
	s_cmp_eq_u32 s17, 44
	s_mov_b32 s0, -1
	s_cbranch_scc0 .LBB14_75
; %bb.72:
	v_bfe_u32 v5, v2, 23, 8
	s_wait_xcnt 0x0
	v_mov_b32_e32 v3, 0xff
	s_mov_b32 s18, exec_lo
	s_delay_alu instid0(VALU_DEP_2)
	v_cmpx_ne_u32_e32 0xff, v5
	s_cbranch_execz .LBB14_74
; %bb.73:
	v_and_b32_e32 v3, 0x400000, v2
	v_and_or_b32 v5, 0x3fffff, v2, v5
	s_delay_alu instid0(VALU_DEP_2) | instskip(NEXT) | instid1(VALU_DEP_2)
	v_cmp_ne_u32_e32 vcc_lo, 0, v3
	v_cmp_ne_u32_e64 s0, 0, v5
	v_lshrrev_b32_e32 v3, 23, v2
	s_and_b32 s0, vcc_lo, s0
	s_delay_alu instid0(SALU_CYCLE_1) | instskip(NEXT) | instid1(VALU_DEP_1)
	v_cndmask_b32_e64 v5, 0, 1, s0
	v_add_nc_u32_e32 v3, v3, v5
.LBB14_74:
	s_or_b32 exec_lo, exec_lo, s18
	s_mov_b32 s18, -1
	s_mov_b32 s0, 0
	global_store_b8 v[0:1], v3, off
.LBB14_75:
	s_mov_b32 s19, 0
.LBB14_76:
	s_delay_alu instid0(SALU_CYCLE_1)
	s_and_b32 vcc_lo, exec_lo, s19
	s_cbranch_vccz .LBB14_79
; %bb.77:
	s_cmp_eq_u32 s17, 29
	s_mov_b32 s0, -1
	s_cbranch_scc0 .LBB14_79
; %bb.78:
	s_wait_xcnt 0x0
	v_trunc_f32_e32 v3, v2
	s_mov_b32 s18, -1
	s_mov_b32 s0, 0
	s_mov_b32 s19, 0
	s_delay_alu instid0(VALU_DEP_1) | instskip(NEXT) | instid1(VALU_DEP_1)
	v_mul_f32_e32 v5, 0x2f800000, v3
	v_floor_f32_e32 v5, v5
	s_delay_alu instid0(VALU_DEP_1) | instskip(SKIP_1) | instid1(VALU_DEP_2)
	v_fmamk_f32 v3, v5, 0xcf800000, v3
	v_cvt_u32_f32_e32 v7, v5
	v_cvt_u32_f32_e32 v6, v3
	global_store_b64 v[0:1], v[6:7], off
	s_branch .LBB14_80
.LBB14_79:
	s_mov_b32 s19, 0
.LBB14_80:
	s_delay_alu instid0(SALU_CYCLE_1)
	s_and_b32 vcc_lo, exec_lo, s19
	s_cbranch_vccz .LBB14_96
; %bb.81:
	s_cmp_lt_i32 s17, 27
	s_mov_b32 s18, -1
	s_cbranch_scc1 .LBB14_87
; %bb.82:
	s_wait_xcnt 0x0
	v_cvt_u32_f32_e32 v3, v2
	s_cmp_gt_i32 s17, 27
	s_cbranch_scc0 .LBB14_84
; %bb.83:
	s_mov_b32 s18, 0
	global_store_b32 v[0:1], v3, off
.LBB14_84:
	s_and_not1_b32 vcc_lo, exec_lo, s18
	s_cbranch_vccnz .LBB14_86
; %bb.85:
	global_store_b16 v[0:1], v3, off
.LBB14_86:
	s_mov_b32 s18, 0
.LBB14_87:
	s_delay_alu instid0(SALU_CYCLE_1)
	s_and_not1_b32 vcc_lo, exec_lo, s18
	s_cbranch_vccnz .LBB14_95
; %bb.88:
	s_wait_xcnt 0x0
	v_and_b32_e32 v3, 0x7fffffff, v2
	v_mov_b32_e32 v5, 0x80
	s_mov_b32 s18, exec_lo
	s_delay_alu instid0(VALU_DEP_2)
	v_cmpx_gt_u32_e32 0x43800000, v3
	s_cbranch_execz .LBB14_94
; %bb.89:
	v_cmp_lt_u32_e32 vcc_lo, 0x3bffffff, v3
	s_mov_b32 s19, 0
                                        ; implicit-def: $vgpr3
	s_and_saveexec_b32 s20, vcc_lo
	s_delay_alu instid0(SALU_CYCLE_1)
	s_xor_b32 s20, exec_lo, s20
	s_cbranch_execz .LBB14_318
; %bb.90:
	v_bfe_u32 v3, v2, 20, 1
	s_mov_b32 s19, exec_lo
	s_delay_alu instid0(VALU_DEP_1) | instskip(NEXT) | instid1(VALU_DEP_1)
	v_add3_u32 v3, v2, v3, 0x487ffff
	v_lshrrev_b32_e32 v3, 20, v3
	s_and_not1_saveexec_b32 s20, s20
	s_cbranch_execnz .LBB14_319
.LBB14_91:
	s_or_b32 exec_lo, exec_lo, s20
	v_mov_b32_e32 v5, 0
	s_and_saveexec_b32 s20, s19
.LBB14_92:
	v_lshrrev_b32_e32 v5, 24, v2
	s_delay_alu instid0(VALU_DEP_1)
	v_and_or_b32 v5, 0x80, v5, v3
.LBB14_93:
	s_or_b32 exec_lo, exec_lo, s20
.LBB14_94:
	s_delay_alu instid0(SALU_CYCLE_1)
	s_or_b32 exec_lo, exec_lo, s18
	global_store_b8 v[0:1], v5, off
.LBB14_95:
	s_mov_b32 s18, -1
.LBB14_96:
	s_mov_b32 s19, 0
.LBB14_97:
	s_delay_alu instid0(SALU_CYCLE_1)
	s_and_b32 vcc_lo, exec_lo, s19
	s_cbranch_vccz .LBB14_138
; %bb.98:
	s_cmp_gt_i32 s17, 22
	s_mov_b32 s19, -1
	s_cbranch_scc0 .LBB14_130
; %bb.99:
	s_cmp_lt_i32 s17, 24
	s_mov_b32 s18, -1
	s_cbranch_scc1 .LBB14_119
; %bb.100:
	s_cmp_gt_i32 s17, 24
	s_cbranch_scc0 .LBB14_108
; %bb.101:
	s_wait_xcnt 0x0
	v_and_b32_e32 v3, 0x7fffffff, v2
	v_mov_b32_e32 v5, 0x80
	s_mov_b32 s18, exec_lo
	s_delay_alu instid0(VALU_DEP_2)
	v_cmpx_gt_u32_e32 0x47800000, v3
	s_cbranch_execz .LBB14_107
; %bb.102:
	v_cmp_lt_u32_e32 vcc_lo, 0x37ffffff, v3
	s_mov_b32 s19, 0
                                        ; implicit-def: $vgpr3
	s_and_saveexec_b32 s20, vcc_lo
	s_delay_alu instid0(SALU_CYCLE_1)
	s_xor_b32 s20, exec_lo, s20
	s_cbranch_execz .LBB14_322
; %bb.103:
	v_bfe_u32 v3, v2, 21, 1
	s_mov_b32 s19, exec_lo
	s_delay_alu instid0(VALU_DEP_1) | instskip(NEXT) | instid1(VALU_DEP_1)
	v_add3_u32 v3, v2, v3, 0x88fffff
	v_lshrrev_b32_e32 v3, 21, v3
	s_and_not1_saveexec_b32 s20, s20
	s_cbranch_execnz .LBB14_323
.LBB14_104:
	s_or_b32 exec_lo, exec_lo, s20
	v_mov_b32_e32 v5, 0
	s_and_saveexec_b32 s20, s19
.LBB14_105:
	v_lshrrev_b32_e32 v5, 24, v2
	s_delay_alu instid0(VALU_DEP_1)
	v_and_or_b32 v5, 0x80, v5, v3
.LBB14_106:
	s_or_b32 exec_lo, exec_lo, s20
.LBB14_107:
	s_delay_alu instid0(SALU_CYCLE_1)
	s_or_b32 exec_lo, exec_lo, s18
	s_mov_b32 s18, 0
	global_store_b8 v[0:1], v5, off
.LBB14_108:
	s_and_b32 vcc_lo, exec_lo, s18
	s_cbranch_vccz .LBB14_118
; %bb.109:
	s_wait_xcnt 0x0
	v_and_b32_e32 v5, 0x7fffffff, v2
	s_mov_b32 s18, exec_lo
                                        ; implicit-def: $vgpr3
	s_delay_alu instid0(VALU_DEP_1)
	v_cmpx_gt_u32_e32 0x43f00000, v5
	s_xor_b32 s18, exec_lo, s18
	s_cbranch_execz .LBB14_115
; %bb.110:
	s_mov_b32 s19, exec_lo
                                        ; implicit-def: $vgpr3
	v_cmpx_lt_u32_e32 0x3c7fffff, v5
	s_xor_b32 s19, exec_lo, s19
; %bb.111:
	v_bfe_u32 v3, v2, 20, 1
	s_delay_alu instid0(VALU_DEP_1) | instskip(NEXT) | instid1(VALU_DEP_1)
	v_add3_u32 v3, v2, v3, 0x407ffff
	v_and_b32_e32 v5, 0xff00000, v3
	v_lshrrev_b32_e32 v3, 20, v3
	s_delay_alu instid0(VALU_DEP_2) | instskip(NEXT) | instid1(VALU_DEP_2)
	v_cmp_ne_u32_e32 vcc_lo, 0x7f00000, v5
	v_cndmask_b32_e32 v3, 0x7e, v3, vcc_lo
; %bb.112:
	s_and_not1_saveexec_b32 s19, s19
; %bb.113:
	v_add_f32_e64 v3, 0x46800000, |v2|
; %bb.114:
	s_or_b32 exec_lo, exec_lo, s19
                                        ; implicit-def: $vgpr5
.LBB14_115:
	s_and_not1_saveexec_b32 s18, s18
; %bb.116:
	v_mov_b32_e32 v3, 0x7f
	v_cmp_lt_u32_e32 vcc_lo, 0x7f800000, v5
	s_delay_alu instid0(VALU_DEP_2)
	v_cndmask_b32_e32 v3, 0x7e, v3, vcc_lo
; %bb.117:
	s_or_b32 exec_lo, exec_lo, s18
	v_lshrrev_b32_e32 v5, 24, v2
	s_delay_alu instid0(VALU_DEP_1)
	v_and_or_b32 v3, 0x80, v5, v3
	global_store_b8 v[0:1], v3, off
.LBB14_118:
	s_mov_b32 s18, 0
.LBB14_119:
	s_delay_alu instid0(SALU_CYCLE_1)
	s_and_not1_b32 vcc_lo, exec_lo, s18
	s_cbranch_vccnz .LBB14_129
; %bb.120:
	s_wait_xcnt 0x0
	v_and_b32_e32 v5, 0x7fffffff, v2
	s_mov_b32 s18, exec_lo
                                        ; implicit-def: $vgpr3
	s_delay_alu instid0(VALU_DEP_1)
	v_cmpx_gt_u32_e32 0x47800000, v5
	s_xor_b32 s18, exec_lo, s18
	s_cbranch_execz .LBB14_126
; %bb.121:
	s_mov_b32 s19, exec_lo
                                        ; implicit-def: $vgpr3
	v_cmpx_lt_u32_e32 0x387fffff, v5
	s_xor_b32 s19, exec_lo, s19
; %bb.122:
	v_bfe_u32 v3, v2, 21, 1
	s_delay_alu instid0(VALU_DEP_1) | instskip(NEXT) | instid1(VALU_DEP_1)
	v_add3_u32 v3, v2, v3, 0x80fffff
	v_lshrrev_b32_e32 v3, 21, v3
; %bb.123:
	s_and_not1_saveexec_b32 s19, s19
; %bb.124:
	v_add_f32_e64 v3, 0x43000000, |v2|
; %bb.125:
	s_or_b32 exec_lo, exec_lo, s19
                                        ; implicit-def: $vgpr5
.LBB14_126:
	s_and_not1_saveexec_b32 s18, s18
; %bb.127:
	v_mov_b32_e32 v3, 0x7f
	v_cmp_lt_u32_e32 vcc_lo, 0x7f800000, v5
	s_delay_alu instid0(VALU_DEP_2)
	v_cndmask_b32_e32 v3, 0x7c, v3, vcc_lo
; %bb.128:
	s_or_b32 exec_lo, exec_lo, s18
	v_lshrrev_b32_e32 v5, 24, v2
	s_delay_alu instid0(VALU_DEP_1)
	v_and_or_b32 v3, 0x80, v5, v3
	global_store_b8 v[0:1], v3, off
.LBB14_129:
	s_mov_b32 s19, 0
	s_mov_b32 s18, -1
.LBB14_130:
	s_and_not1_b32 vcc_lo, exec_lo, s19
	s_cbranch_vccnz .LBB14_138
; %bb.131:
	s_cmp_gt_i32 s17, 14
	s_mov_b32 s19, -1
	s_cbranch_scc0 .LBB14_135
; %bb.132:
	s_cmp_eq_u32 s17, 15
	s_mov_b32 s0, -1
	s_cbranch_scc0 .LBB14_134
; %bb.133:
	s_wait_xcnt 0x0
	v_bfe_u32 v3, v2, 16, 1
	v_cmp_o_f32_e32 vcc_lo, v2, v2
	s_mov_b32 s18, -1
	s_mov_b32 s0, 0
	s_delay_alu instid0(VALU_DEP_2) | instskip(NEXT) | instid1(VALU_DEP_1)
	v_add3_u32 v3, v2, v3, 0x7fff
	v_lshrrev_b32_e32 v3, 16, v3
	s_delay_alu instid0(VALU_DEP_1)
	v_cndmask_b32_e32 v3, 0x7fc0, v3, vcc_lo
	global_store_b16 v[0:1], v3, off
.LBB14_134:
	s_mov_b32 s19, 0
.LBB14_135:
	s_delay_alu instid0(SALU_CYCLE_1)
	s_and_b32 vcc_lo, exec_lo, s19
	s_cbranch_vccz .LBB14_138
; %bb.136:
	s_cmp_eq_u32 s17, 11
	s_mov_b32 s0, -1
	s_cbranch_scc0 .LBB14_138
; %bb.137:
	v_cmp_neq_f32_e32 vcc_lo, 0, v2
	s_mov_b32 s0, 0
	s_mov_b32 s18, -1
	s_wait_xcnt 0x0
	v_cndmask_b32_e64 v3, 0, 1, vcc_lo
	global_store_b8 v[0:1], v3, off
.LBB14_138:
.LBB14_139:
	s_and_not1_b32 vcc_lo, exec_lo, s18
	s_cbranch_vccnz .LBB14_250
.LBB14_140:
	v_add_nc_u32_e32 v4, 0x80, v4
	s_mov_b32 s17, -1
	s_branch .LBB14_251
.LBB14_141:
	s_mov_b32 s14, -1
                                        ; implicit-def: $vgpr2
.LBB14_142:
	s_mov_b32 s17, 0
.LBB14_143:
	s_delay_alu instid0(SALU_CYCLE_1)
	s_and_b32 vcc_lo, exec_lo, s17
	s_cbranch_vccz .LBB14_147
; %bb.144:
	s_cmp_eq_u32 s0, 29
	s_cbranch_scc0 .LBB14_146
; %bb.145:
	global_load_b64 v[2:3], v[0:1], off
	s_mov_b32 s12, -1
	s_mov_b32 s14, 0
	s_mov_b32 s17, 0
	s_wait_loadcnt 0x0
	v_clz_i32_u32_e32 v5, v3
	s_delay_alu instid0(VALU_DEP_1) | instskip(NEXT) | instid1(VALU_DEP_1)
	v_min_u32_e32 v5, 32, v5
	v_lshlrev_b64_e32 v[2:3], v5, v[2:3]
	s_delay_alu instid0(VALU_DEP_1) | instskip(NEXT) | instid1(VALU_DEP_1)
	v_min_u32_e32 v2, 1, v2
	v_dual_sub_nc_u32 v3, 32, v5 :: v_dual_bitop2_b32 v2, v3, v2 bitop3:0x54
	s_delay_alu instid0(VALU_DEP_1) | instskip(NEXT) | instid1(VALU_DEP_1)
	v_cvt_f32_u32_e32 v2, v2
	v_ldexp_f32 v2, v2, v3
	s_branch .LBB14_148
.LBB14_146:
	s_mov_b32 s14, -1
                                        ; implicit-def: $vgpr2
.LBB14_147:
	s_mov_b32 s17, 0
.LBB14_148:
	s_delay_alu instid0(SALU_CYCLE_1)
	s_and_b32 vcc_lo, exec_lo, s17
	s_cbranch_vccz .LBB14_166
; %bb.149:
	s_cmp_lt_i32 s0, 27
	s_cbranch_scc1 .LBB14_152
; %bb.150:
	s_cmp_gt_i32 s0, 27
	s_cbranch_scc0 .LBB14_153
; %bb.151:
	global_load_b32 v2, v[0:1], off
	s_mov_b32 s12, 0
	s_wait_loadcnt 0x0
	v_cvt_f32_u32_e32 v2, v2
	s_branch .LBB14_154
.LBB14_152:
	s_mov_b32 s12, -1
                                        ; implicit-def: $vgpr2
	s_branch .LBB14_157
.LBB14_153:
	s_mov_b32 s12, -1
                                        ; implicit-def: $vgpr2
.LBB14_154:
	s_delay_alu instid0(SALU_CYCLE_1)
	s_and_not1_b32 vcc_lo, exec_lo, s12
	s_cbranch_vccnz .LBB14_156
; %bb.155:
	global_load_u16 v2, v[0:1], off
	s_wait_loadcnt 0x0
	v_cvt_f32_u32_e32 v2, v2
.LBB14_156:
	s_mov_b32 s12, 0
.LBB14_157:
	s_delay_alu instid0(SALU_CYCLE_1)
	s_and_not1_b32 vcc_lo, exec_lo, s12
	s_cbranch_vccnz .LBB14_165
; %bb.158:
	global_load_u8 v3, v[0:1], off
	s_mov_b32 s12, 0
	s_mov_b32 s17, exec_lo
	s_wait_loadcnt 0x0
	v_cmpx_lt_i16_e32 0x7f, v3
	s_xor_b32 s17, exec_lo, s17
	s_cbranch_execz .LBB14_178
; %bb.159:
	s_mov_b32 s12, -1
	s_mov_b32 s18, exec_lo
	v_cmpx_eq_u16_e32 0x80, v3
; %bb.160:
	s_xor_b32 s12, exec_lo, -1
; %bb.161:
	s_or_b32 exec_lo, exec_lo, s18
	s_delay_alu instid0(SALU_CYCLE_1)
	s_and_b32 s12, s12, exec_lo
	s_or_saveexec_b32 s17, s17
	v_mov_b32_e32 v2, 0x7f800001
	s_xor_b32 exec_lo, exec_lo, s17
	s_cbranch_execnz .LBB14_179
.LBB14_162:
	s_or_b32 exec_lo, exec_lo, s17
	s_and_saveexec_b32 s17, s12
	s_cbranch_execz .LBB14_164
.LBB14_163:
	v_and_b32_e32 v2, 0xffff, v3
	s_delay_alu instid0(VALU_DEP_1) | instskip(SKIP_1) | instid1(VALU_DEP_2)
	v_dual_lshlrev_b32 v3, 24, v3 :: v_dual_bitop2_b32 v5, 7, v2 bitop3:0x40
	v_bfe_u32 v8, v2, 3, 4
	v_and_b32_e32 v3, 0x80000000, v3
	s_delay_alu instid0(VALU_DEP_3) | instskip(NEXT) | instid1(VALU_DEP_3)
	v_clz_i32_u32_e32 v6, v5
	v_cmp_eq_u32_e32 vcc_lo, 0, v8
	s_delay_alu instid0(VALU_DEP_2) | instskip(NEXT) | instid1(VALU_DEP_1)
	v_min_u32_e32 v6, 32, v6
	v_subrev_nc_u32_e32 v7, 28, v6
	v_sub_nc_u32_e32 v6, 29, v6
	s_delay_alu instid0(VALU_DEP_2) | instskip(NEXT) | instid1(VALU_DEP_2)
	v_lshlrev_b32_e32 v2, v7, v2
	v_cndmask_b32_e32 v6, v8, v6, vcc_lo
	s_delay_alu instid0(VALU_DEP_2) | instskip(NEXT) | instid1(VALU_DEP_1)
	v_and_b32_e32 v2, 7, v2
	v_cndmask_b32_e32 v2, v5, v2, vcc_lo
	s_delay_alu instid0(VALU_DEP_3) | instskip(NEXT) | instid1(VALU_DEP_2)
	v_lshl_add_u32 v5, v6, 23, 0x3b800000
	v_lshlrev_b32_e32 v2, 20, v2
	s_delay_alu instid0(VALU_DEP_1)
	v_or3_b32 v2, v3, v5, v2
.LBB14_164:
	s_or_b32 exec_lo, exec_lo, s17
.LBB14_165:
	s_mov_b32 s12, -1
.LBB14_166:
	s_branch .LBB14_201
.LBB14_167:
	s_cmp_gt_i32 s0, 22
	s_cbranch_scc0 .LBB14_177
; %bb.168:
	s_cmp_lt_i32 s0, 24
	s_cbranch_scc1 .LBB14_180
; %bb.169:
	s_cmp_gt_i32 s0, 24
	s_cbranch_scc0 .LBB14_181
; %bb.170:
	global_load_u8 v3, v[0:1], off
	s_mov_b32 s12, 0
	s_mov_b32 s17, exec_lo
	s_wait_loadcnt 0x0
	v_cmpx_lt_i16_e32 0x7f, v3
	s_xor_b32 s17, exec_lo, s17
	s_cbranch_execz .LBB14_193
; %bb.171:
	s_mov_b32 s12, -1
	s_mov_b32 s18, exec_lo
	v_cmpx_eq_u16_e32 0x80, v3
; %bb.172:
	s_xor_b32 s12, exec_lo, -1
; %bb.173:
	s_or_b32 exec_lo, exec_lo, s18
	s_delay_alu instid0(SALU_CYCLE_1)
	s_and_b32 s12, s12, exec_lo
	s_or_saveexec_b32 s17, s17
	v_mov_b32_e32 v2, 0x7f800001
	s_xor_b32 exec_lo, exec_lo, s17
	s_cbranch_execnz .LBB14_194
.LBB14_174:
	s_or_b32 exec_lo, exec_lo, s17
	s_and_saveexec_b32 s17, s12
	s_cbranch_execz .LBB14_176
.LBB14_175:
	v_and_b32_e32 v2, 0xffff, v3
	s_delay_alu instid0(VALU_DEP_1) | instskip(SKIP_1) | instid1(VALU_DEP_2)
	v_dual_lshlrev_b32 v3, 24, v3 :: v_dual_bitop2_b32 v5, 3, v2 bitop3:0x40
	v_bfe_u32 v8, v2, 2, 5
	v_and_b32_e32 v3, 0x80000000, v3
	s_delay_alu instid0(VALU_DEP_3) | instskip(NEXT) | instid1(VALU_DEP_3)
	v_clz_i32_u32_e32 v6, v5
	v_cmp_eq_u32_e32 vcc_lo, 0, v8
	s_delay_alu instid0(VALU_DEP_2) | instskip(NEXT) | instid1(VALU_DEP_1)
	v_min_u32_e32 v6, 32, v6
	v_subrev_nc_u32_e32 v7, 29, v6
	v_sub_nc_u32_e32 v6, 30, v6
	s_delay_alu instid0(VALU_DEP_2) | instskip(NEXT) | instid1(VALU_DEP_2)
	v_lshlrev_b32_e32 v2, v7, v2
	v_cndmask_b32_e32 v6, v8, v6, vcc_lo
	s_delay_alu instid0(VALU_DEP_2) | instskip(NEXT) | instid1(VALU_DEP_1)
	v_and_b32_e32 v2, 3, v2
	v_cndmask_b32_e32 v2, v5, v2, vcc_lo
	s_delay_alu instid0(VALU_DEP_3) | instskip(NEXT) | instid1(VALU_DEP_2)
	v_lshl_add_u32 v5, v6, 23, 0x37800000
	v_lshlrev_b32_e32 v2, 21, v2
	s_delay_alu instid0(VALU_DEP_1)
	v_or3_b32 v2, v3, v5, v2
.LBB14_176:
	s_or_b32 exec_lo, exec_lo, s17
	s_mov_b32 s12, 0
	s_branch .LBB14_182
.LBB14_177:
	s_mov_b32 s17, -1
                                        ; implicit-def: $vgpr2
	s_branch .LBB14_188
.LBB14_178:
	s_or_saveexec_b32 s17, s17
	v_mov_b32_e32 v2, 0x7f800001
	s_xor_b32 exec_lo, exec_lo, s17
	s_cbranch_execz .LBB14_162
.LBB14_179:
	v_cmp_ne_u16_e32 vcc_lo, 0, v3
	v_mov_b32_e32 v2, 0
	s_and_not1_b32 s12, s12, exec_lo
	s_and_b32 s18, vcc_lo, exec_lo
	s_delay_alu instid0(SALU_CYCLE_1)
	s_or_b32 s12, s12, s18
	s_or_b32 exec_lo, exec_lo, s17
	s_and_saveexec_b32 s17, s12
	s_cbranch_execnz .LBB14_163
	s_branch .LBB14_164
.LBB14_180:
	s_mov_b32 s12, -1
                                        ; implicit-def: $vgpr2
	s_branch .LBB14_185
.LBB14_181:
	s_mov_b32 s12, -1
                                        ; implicit-def: $vgpr2
.LBB14_182:
	s_delay_alu instid0(SALU_CYCLE_1)
	s_and_b32 vcc_lo, exec_lo, s12
	s_cbranch_vccz .LBB14_184
; %bb.183:
	global_load_u8 v2, v[0:1], off
	s_wait_loadcnt 0x0
	v_lshlrev_b32_e32 v2, 24, v2
	s_delay_alu instid0(VALU_DEP_1) | instskip(NEXT) | instid1(VALU_DEP_1)
	v_and_b32_e32 v3, 0x7f000000, v2
	v_clz_i32_u32_e32 v5, v3
	v_add_nc_u32_e32 v7, 0x1000000, v3
	v_cmp_ne_u32_e32 vcc_lo, 0, v3
	s_delay_alu instid0(VALU_DEP_3) | instskip(NEXT) | instid1(VALU_DEP_1)
	v_min_u32_e32 v5, 32, v5
	v_sub_nc_u32_e64 v5, v5, 4 clamp
	s_delay_alu instid0(VALU_DEP_1) | instskip(NEXT) | instid1(VALU_DEP_1)
	v_dual_lshlrev_b32 v6, v5, v3 :: v_dual_lshlrev_b32 v5, 23, v5
	v_lshrrev_b32_e32 v6, 4, v6
	s_delay_alu instid0(VALU_DEP_1) | instskip(NEXT) | instid1(VALU_DEP_1)
	v_dual_sub_nc_u32 v5, v6, v5 :: v_dual_ashrrev_i32 v6, 8, v7
	v_add_nc_u32_e32 v5, 0x3c000000, v5
	s_delay_alu instid0(VALU_DEP_1) | instskip(NEXT) | instid1(VALU_DEP_1)
	v_and_or_b32 v5, 0x7f800000, v6, v5
	v_cndmask_b32_e32 v3, 0, v5, vcc_lo
	s_delay_alu instid0(VALU_DEP_1)
	v_and_or_b32 v2, 0x80000000, v2, v3
.LBB14_184:
	s_mov_b32 s12, 0
.LBB14_185:
	s_delay_alu instid0(SALU_CYCLE_1)
	s_and_not1_b32 vcc_lo, exec_lo, s12
	s_cbranch_vccnz .LBB14_187
; %bb.186:
	global_load_u8 v2, v[0:1], off
	s_wait_loadcnt 0x0
	v_lshlrev_b32_e32 v3, 25, v2
	v_lshlrev_b16 v2, 8, v2
	s_delay_alu instid0(VALU_DEP_2) | instskip(NEXT) | instid1(VALU_DEP_2)
	v_cmp_gt_u32_e32 vcc_lo, 0x8000000, v3
	v_and_or_b32 v6, 0x7f00, v2, 0.5
	v_lshrrev_b32_e32 v5, 4, v3
	v_bfe_i32 v2, v2, 0, 16
	s_delay_alu instid0(VALU_DEP_3) | instskip(NEXT) | instid1(VALU_DEP_3)
	v_add_f32_e32 v6, -0.5, v6
	v_or_b32_e32 v5, 0x70000000, v5
	s_delay_alu instid0(VALU_DEP_1) | instskip(NEXT) | instid1(VALU_DEP_1)
	v_mul_f32_e32 v5, 0x7800000, v5
	v_cndmask_b32_e32 v3, v5, v6, vcc_lo
	s_delay_alu instid0(VALU_DEP_1)
	v_and_or_b32 v2, 0x80000000, v2, v3
.LBB14_187:
	s_mov_b32 s17, 0
	s_mov_b32 s12, -1
.LBB14_188:
	s_and_not1_b32 vcc_lo, exec_lo, s17
	s_cbranch_vccnz .LBB14_201
; %bb.189:
	s_cmp_gt_i32 s0, 14
	s_cbranch_scc0 .LBB14_192
; %bb.190:
	s_cmp_eq_u32 s0, 15
	s_cbranch_scc0 .LBB14_195
; %bb.191:
	global_load_u16 v2, v[0:1], off
	s_mov_b32 s12, -1
	s_mov_b32 s14, 0
	s_wait_loadcnt 0x0
	v_lshlrev_b32_e32 v2, 16, v2
	s_branch .LBB14_196
.LBB14_192:
	s_mov_b32 s17, -1
                                        ; implicit-def: $vgpr2
	s_branch .LBB14_197
.LBB14_193:
	s_or_saveexec_b32 s17, s17
	v_mov_b32_e32 v2, 0x7f800001
	s_xor_b32 exec_lo, exec_lo, s17
	s_cbranch_execz .LBB14_174
.LBB14_194:
	v_cmp_ne_u16_e32 vcc_lo, 0, v3
	v_mov_b32_e32 v2, 0
	s_and_not1_b32 s12, s12, exec_lo
	s_and_b32 s18, vcc_lo, exec_lo
	s_delay_alu instid0(SALU_CYCLE_1)
	s_or_b32 s12, s12, s18
	s_or_b32 exec_lo, exec_lo, s17
	s_and_saveexec_b32 s17, s12
	s_cbranch_execnz .LBB14_175
	s_branch .LBB14_176
.LBB14_195:
	s_mov_b32 s14, -1
                                        ; implicit-def: $vgpr2
.LBB14_196:
	s_mov_b32 s17, 0
.LBB14_197:
	s_delay_alu instid0(SALU_CYCLE_1)
	s_and_b32 vcc_lo, exec_lo, s17
	s_cbranch_vccz .LBB14_201
; %bb.198:
	s_cmp_eq_u32 s0, 11
	s_cbranch_scc0 .LBB14_200
; %bb.199:
	global_load_u8 v2, v[0:1], off
	s_mov_b32 s14, 0
	s_mov_b32 s12, -1
	s_wait_loadcnt 0x0
	v_cmp_ne_u16_e32 vcc_lo, 0, v2
	v_cndmask_b32_e64 v2, 0, 1.0, vcc_lo
	s_branch .LBB14_201
.LBB14_200:
	s_mov_b32 s14, -1
                                        ; implicit-def: $vgpr2
.LBB14_201:
	s_branch .LBB14_10
.LBB14_202:
	s_cmp_lt_i32 s0, 5
	s_cbranch_scc1 .LBB14_207
; %bb.203:
	s_cmp_lt_i32 s0, 8
	s_cbranch_scc1 .LBB14_208
; %bb.204:
	s_cmp_lt_i32 s0, 9
	s_cbranch_scc1 .LBB14_209
; %bb.205:
	s_cmp_gt_i32 s0, 9
	s_cbranch_scc0 .LBB14_210
; %bb.206:
	global_load_b64 v[2:3], v[0:1], off
	s_mov_b32 s12, 0
	s_wait_loadcnt 0x0
	v_cvt_f32_f64_e32 v2, v[2:3]
	s_branch .LBB14_211
.LBB14_207:
                                        ; implicit-def: $vgpr2
	s_branch .LBB14_229
.LBB14_208:
	s_mov_b32 s12, -1
                                        ; implicit-def: $vgpr2
	s_branch .LBB14_217
.LBB14_209:
	s_mov_b32 s12, -1
                                        ; implicit-def: $vgpr2
	s_branch .LBB14_214
.LBB14_210:
	s_mov_b32 s12, -1
                                        ; implicit-def: $vgpr2
.LBB14_211:
	s_delay_alu instid0(SALU_CYCLE_1)
	s_and_not1_b32 vcc_lo, exec_lo, s12
	s_cbranch_vccnz .LBB14_213
; %bb.212:
	global_load_b32 v2, v[0:1], off
.LBB14_213:
	s_mov_b32 s12, 0
.LBB14_214:
	s_delay_alu instid0(SALU_CYCLE_1)
	s_and_not1_b32 vcc_lo, exec_lo, s12
	s_cbranch_vccnz .LBB14_216
; %bb.215:
	s_wait_loadcnt 0x0
	global_load_b32 v2, v[0:1], off
	s_wait_loadcnt 0x0
	v_cvt_f32_f16_e32 v2, v2
.LBB14_216:
	s_mov_b32 s12, 0
.LBB14_217:
	s_delay_alu instid0(SALU_CYCLE_1)
	s_and_not1_b32 vcc_lo, exec_lo, s12
	s_cbranch_vccnz .LBB14_228
; %bb.218:
	s_cmp_lt_i32 s0, 6
	s_cbranch_scc1 .LBB14_221
; %bb.219:
	s_cmp_gt_i32 s0, 6
	s_cbranch_scc0 .LBB14_222
; %bb.220:
	s_wait_loadcnt 0x0
	global_load_b64 v[2:3], v[0:1], off
	s_mov_b32 s12, 0
	s_wait_loadcnt 0x0
	v_cvt_f32_f64_e32 v2, v[2:3]
	s_branch .LBB14_223
.LBB14_221:
	s_mov_b32 s12, -1
                                        ; implicit-def: $vgpr2
	s_branch .LBB14_226
.LBB14_222:
	s_mov_b32 s12, -1
                                        ; implicit-def: $vgpr2
.LBB14_223:
	s_delay_alu instid0(SALU_CYCLE_1)
	s_and_not1_b32 vcc_lo, exec_lo, s12
	s_cbranch_vccnz .LBB14_225
; %bb.224:
	s_wait_loadcnt 0x0
	global_load_b32 v2, v[0:1], off
.LBB14_225:
	s_mov_b32 s12, 0
.LBB14_226:
	s_delay_alu instid0(SALU_CYCLE_1)
	s_and_not1_b32 vcc_lo, exec_lo, s12
	s_cbranch_vccnz .LBB14_228
; %bb.227:
	s_wait_loadcnt 0x0
	global_load_u16 v2, v[0:1], off
	s_wait_loadcnt 0x0
	v_cvt_f32_f16_e32 v2, v2
.LBB14_228:
	s_cbranch_execnz .LBB14_248
.LBB14_229:
	s_cmp_lt_i32 s0, 2
	s_cbranch_scc1 .LBB14_233
; %bb.230:
	s_cmp_lt_i32 s0, 3
	s_cbranch_scc1 .LBB14_234
; %bb.231:
	s_cmp_gt_i32 s0, 3
	s_cbranch_scc0 .LBB14_235
; %bb.232:
	s_wait_loadcnt 0x0
	global_load_b64 v[2:3], v[0:1], off
	s_mov_b32 s12, 0
	s_wait_loadcnt 0x0
	v_xor_b32_e32 v5, v2, v3
	v_cls_i32_e32 v6, v3
	s_delay_alu instid0(VALU_DEP_2) | instskip(NEXT) | instid1(VALU_DEP_1)
	v_ashrrev_i32_e32 v5, 31, v5
	v_add_nc_u32_e32 v5, 32, v5
	s_delay_alu instid0(VALU_DEP_1) | instskip(NEXT) | instid1(VALU_DEP_1)
	v_add_min_u32_e64 v5, v6, -1, v5
	v_lshlrev_b64_e32 v[2:3], v5, v[2:3]
	s_delay_alu instid0(VALU_DEP_1) | instskip(NEXT) | instid1(VALU_DEP_1)
	v_min_u32_e32 v2, 1, v2
	v_dual_sub_nc_u32 v3, 32, v5 :: v_dual_bitop2_b32 v2, v3, v2 bitop3:0x54
	s_delay_alu instid0(VALU_DEP_1) | instskip(NEXT) | instid1(VALU_DEP_1)
	v_cvt_f32_i32_e32 v2, v2
	v_ldexp_f32 v2, v2, v3
	s_branch .LBB14_236
.LBB14_233:
	s_mov_b32 s12, -1
                                        ; implicit-def: $vgpr2
	s_branch .LBB14_242
.LBB14_234:
	s_mov_b32 s12, -1
                                        ; implicit-def: $vgpr2
	s_branch .LBB14_239
.LBB14_235:
	s_mov_b32 s12, -1
                                        ; implicit-def: $vgpr2
.LBB14_236:
	s_delay_alu instid0(SALU_CYCLE_1)
	s_and_not1_b32 vcc_lo, exec_lo, s12
	s_cbranch_vccnz .LBB14_238
; %bb.237:
	s_wait_loadcnt 0x0
	global_load_b32 v2, v[0:1], off
	s_wait_loadcnt 0x0
	v_cvt_f32_i32_e32 v2, v2
.LBB14_238:
	s_mov_b32 s12, 0
.LBB14_239:
	s_delay_alu instid0(SALU_CYCLE_1)
	s_and_not1_b32 vcc_lo, exec_lo, s12
	s_cbranch_vccnz .LBB14_241
; %bb.240:
	s_wait_loadcnt 0x0
	global_load_i16 v2, v[0:1], off
	s_wait_loadcnt 0x0
	v_cvt_f32_i32_e32 v2, v2
.LBB14_241:
	s_mov_b32 s12, 0
.LBB14_242:
	s_delay_alu instid0(SALU_CYCLE_1)
	s_and_not1_b32 vcc_lo, exec_lo, s12
	s_cbranch_vccnz .LBB14_248
; %bb.243:
	s_cmp_gt_i32 s0, 0
	s_mov_b32 s0, 0
	s_cbranch_scc0 .LBB14_245
; %bb.244:
	s_wait_loadcnt 0x0
	global_load_i8 v2, v[0:1], off
	s_wait_loadcnt 0x0
	v_cvt_f32_i32_e32 v2, v2
	s_branch .LBB14_246
.LBB14_245:
	s_mov_b32 s0, -1
                                        ; implicit-def: $vgpr2
.LBB14_246:
	s_delay_alu instid0(SALU_CYCLE_1)
	s_and_not1_b32 vcc_lo, exec_lo, s0
	s_cbranch_vccnz .LBB14_248
; %bb.247:
	global_load_u8 v0, v[0:1], off
	s_wait_loadcnt 0x0
	v_cvt_f32_ubyte0_e32 v2, v0
.LBB14_248:
	s_branch .LBB14_11
.LBB14_249:
	s_mov_b32 s0, 0
.LBB14_250:
	s_mov_b32 s17, 0
                                        ; implicit-def: $vgpr4
.LBB14_251:
	s_and_b32 s12, s0, exec_lo
	s_and_b32 s14, s14, exec_lo
	s_or_not1_b32 s18, s17, exec_lo
.LBB14_252:
	s_wait_xcnt 0x0
	s_or_b32 exec_lo, exec_lo, s15
	s_mov_b32 s17, 0
	s_mov_b32 s0, 0
                                        ; implicit-def: $vgpr0_vgpr1
                                        ; implicit-def: $vgpr3
	s_and_saveexec_b32 s15, s18
	s_cbranch_execz .LBB14_261
; %bb.253:
	s_mov_b32 s0, -1
	s_mov_b32 s16, s14
	s_mov_b32 s17, s12
	s_mov_b32 s18, exec_lo
	v_cmpx_gt_i32_e64 s13, v4
	s_cbranch_execz .LBB14_514
; %bb.254:
	v_mul_lo_u32 v0, v4, s9
	s_and_b32 s0, 0xffff, s2
	s_delay_alu instid0(SALU_CYCLE_1) | instskip(NEXT) | instid1(VALU_DEP_1)
	s_cmp_lt_i32 s0, 11
	v_ashrrev_i32_e32 v1, 31, v0
	s_delay_alu instid0(VALU_DEP_1)
	v_add_nc_u64_e32 v[0:1], s[6:7], v[0:1]
	s_cbranch_scc1 .LBB14_264
; %bb.255:
	s_cmp_gt_i32 s0, 25
	s_cbranch_scc0 .LBB14_313
; %bb.256:
	s_cmp_gt_i32 s0, 28
	s_cbranch_scc0 .LBB14_314
	;; [unrolled: 3-line block ×4, first 2 shown]
; %bb.259:
	s_cmp_eq_u32 s0, 46
	s_mov_b32 s19, 0
	s_cbranch_scc0 .LBB14_324
; %bb.260:
	s_wait_loadcnt 0x0
	global_load_b32 v2, v[0:1], off
	s_mov_b32 s17, -1
	s_mov_b32 s16, 0
	s_wait_loadcnt 0x0
	v_lshlrev_b32_e32 v2, 16, v2
	s_branch .LBB14_326
.LBB14_261:
	s_or_b32 exec_lo, exec_lo, s15
	s_mov_b32 s13, 0
	s_and_saveexec_b32 s15, s14
	s_cbranch_execnz .LBB14_861
.LBB14_262:
	s_or_b32 exec_lo, exec_lo, s15
	s_and_saveexec_b32 s14, s16
	s_delay_alu instid0(SALU_CYCLE_1)
	s_xor_b32 s14, exec_lo, s14
	s_cbranch_execz .LBB14_862
.LBB14_263:
	s_wait_loadcnt 0x0
	global_load_u8 v2, v[0:1], off
	s_or_b32 s0, s0, exec_lo
	s_wait_loadcnt 0x0
	v_cmp_ne_u16_e32 vcc_lo, 0, v2
	v_cndmask_b32_e64 v3, 0, 1.0, vcc_lo
	s_wait_xcnt 0x0
	s_or_b32 exec_lo, exec_lo, s14
	s_and_saveexec_b32 s14, s17
	s_cbranch_execz .LBB14_908
	s_branch .LBB14_863
.LBB14_264:
	s_mov_b32 s17, 0
	s_mov_b32 s16, s14
                                        ; implicit-def: $vgpr2
	s_cbranch_execnz .LBB14_463
.LBB14_265:
	s_and_not1_b32 vcc_lo, exec_lo, s17
	s_cbranch_vccnz .LBB14_511
.LBB14_266:
	s_wait_xcnt 0x0
	v_mul_lo_u32 v0, v4, s8
	s_wait_loadcnt 0x0
	s_delay_alu instid0(VALU_DEP_2)
	v_cmp_nge_f32_e64 s0, v2, -s10
	v_cmp_nge_f32_e32 vcc_lo, s10, v2
	s_and_b32 s17, s11, 0xff
	s_mov_b32 s20, 0
	s_mov_b32 s19, -1
	s_or_b32 vcc_lo, s0, vcc_lo
	s_cmp_lt_i32 s17, 11
	s_mov_b32 s0, s12
	v_dual_cndmask_b32 v2, 0, v2 :: v_dual_ashrrev_i32 v1, 31, v0
	s_delay_alu instid0(VALU_DEP_1)
	v_add_nc_u64_e32 v[0:1], s[4:5], v[0:1]
	s_cbranch_scc1 .LBB14_273
; %bb.267:
	s_and_b32 s19, 0xffff, s17
	s_delay_alu instid0(SALU_CYCLE_1)
	s_cmp_gt_i32 s19, 25
	s_cbranch_scc0 .LBB14_315
; %bb.268:
	s_cmp_gt_i32 s19, 28
	s_cbranch_scc0 .LBB14_317
; %bb.269:
	;; [unrolled: 3-line block ×4, first 2 shown]
	s_mov_b32 s21, 0
	s_mov_b32 s0, -1
	s_cmp_eq_u32 s19, 46
	s_cbranch_scc0 .LBB14_330
; %bb.272:
	v_bfe_u32 v3, v2, 16, 1
	v_cmp_o_f32_e32 vcc_lo, v2, v2
	s_mov_b32 s20, -1
	s_mov_b32 s0, 0
	s_delay_alu instid0(VALU_DEP_2) | instskip(NEXT) | instid1(VALU_DEP_1)
	v_add3_u32 v3, v2, v3, 0x7fff
	v_lshrrev_b32_e32 v3, 16, v3
	s_delay_alu instid0(VALU_DEP_1)
	v_cndmask_b32_e32 v3, 0x7fc0, v3, vcc_lo
	global_store_b32 v[0:1], v3, off
	s_branch .LBB14_330
.LBB14_273:
	s_and_b32 vcc_lo, exec_lo, s19
	s_cbranch_vccz .LBB14_399
; %bb.274:
	s_and_b32 s17, 0xffff, s17
	s_mov_b32 s19, -1
	s_cmp_lt_i32 s17, 5
	s_cbranch_scc1 .LBB14_295
; %bb.275:
	s_cmp_lt_i32 s17, 8
	s_cbranch_scc1 .LBB14_285
; %bb.276:
	;; [unrolled: 3-line block ×3, first 2 shown]
	s_cmp_gt_i32 s17, 9
	s_cbranch_scc0 .LBB14_279
; %bb.278:
	s_wait_xcnt 0x0
	v_cvt_f64_f32_e32 v[6:7], v2
	v_mov_b32_e32 v8, 0
	s_mov_b32 s19, 0
	s_delay_alu instid0(VALU_DEP_1)
	v_mov_b32_e32 v9, v8
	global_store_b128 v[0:1], v[6:9], off
.LBB14_279:
	s_and_not1_b32 vcc_lo, exec_lo, s19
	s_cbranch_vccnz .LBB14_281
; %bb.280:
	s_wait_xcnt 0x0
	v_mov_b32_e32 v3, 0
	global_store_b64 v[0:1], v[2:3], off
.LBB14_281:
	s_mov_b32 s19, 0
.LBB14_282:
	s_delay_alu instid0(SALU_CYCLE_1)
	s_and_not1_b32 vcc_lo, exec_lo, s19
	s_cbranch_vccnz .LBB14_284
; %bb.283:
	s_wait_xcnt 0x0
	v_cvt_f16_f32_e32 v3, v2
	s_delay_alu instid0(VALU_DEP_1)
	v_and_b32_e32 v3, 0xffff, v3
	global_store_b32 v[0:1], v3, off
.LBB14_284:
	s_mov_b32 s19, 0
.LBB14_285:
	s_delay_alu instid0(SALU_CYCLE_1)
	s_and_not1_b32 vcc_lo, exec_lo, s19
	s_cbranch_vccnz .LBB14_294
; %bb.286:
	s_cmp_lt_i32 s17, 6
	s_mov_b32 s19, -1
	s_cbranch_scc1 .LBB14_292
; %bb.287:
	s_cmp_gt_i32 s17, 6
	s_cbranch_scc0 .LBB14_289
; %bb.288:
	s_wait_xcnt 0x0
	v_cvt_f64_f32_e32 v[6:7], v2
	s_mov_b32 s19, 0
	global_store_b64 v[0:1], v[6:7], off
.LBB14_289:
	s_and_not1_b32 vcc_lo, exec_lo, s19
	s_cbranch_vccnz .LBB14_291
; %bb.290:
	global_store_b32 v[0:1], v2, off
.LBB14_291:
	s_mov_b32 s19, 0
.LBB14_292:
	s_delay_alu instid0(SALU_CYCLE_1)
	s_and_not1_b32 vcc_lo, exec_lo, s19
	s_cbranch_vccnz .LBB14_294
; %bb.293:
	s_wait_xcnt 0x0
	v_cvt_f16_f32_e32 v3, v2
	global_store_b16 v[0:1], v3, off
.LBB14_294:
	s_mov_b32 s19, 0
.LBB14_295:
	s_delay_alu instid0(SALU_CYCLE_1)
	s_and_not1_b32 vcc_lo, exec_lo, s19
	s_cbranch_vccnz .LBB14_311
; %bb.296:
	s_cmp_lt_i32 s17, 2
	s_mov_b32 s19, -1
	s_cbranch_scc1 .LBB14_306
; %bb.297:
	s_cmp_lt_i32 s17, 3
	s_cbranch_scc1 .LBB14_303
; %bb.298:
	s_cmp_gt_i32 s17, 3
	s_cbranch_scc0 .LBB14_300
; %bb.299:
	s_wait_xcnt 0x0
	v_trunc_f32_e32 v3, v2
	s_mov_b32 s19, 0
	s_delay_alu instid0(VALU_DEP_1) | instskip(SKIP_1) | instid1(VALU_DEP_2)
	v_mul_f32_e64 v5, 0x2f800000, |v3|
	v_ashrrev_i32_e32 v6, 31, v3
	v_floor_f32_e32 v5, v5
	s_delay_alu instid0(VALU_DEP_1) | instskip(SKIP_1) | instid1(VALU_DEP_2)
	v_fma_f32 v7, 0xcf800000, v5, |v3|
	v_cvt_u32_f32_e32 v3, v5
	v_cvt_u32_f32_e32 v5, v7
	s_delay_alu instid0(VALU_DEP_2) | instskip(NEXT) | instid1(VALU_DEP_2)
	v_dual_mov_b32 v7, v6 :: v_dual_bitop2_b32 v9, v3, v6 bitop3:0x14
	v_xor_b32_e32 v8, v5, v6
	s_delay_alu instid0(VALU_DEP_1)
	v_sub_nc_u64_e32 v[6:7], v[8:9], v[6:7]
	global_store_b64 v[0:1], v[6:7], off
.LBB14_300:
	s_and_not1_b32 vcc_lo, exec_lo, s19
	s_cbranch_vccnz .LBB14_302
; %bb.301:
	s_wait_xcnt 0x0
	v_cvt_i32_f32_e32 v3, v2
	global_store_b32 v[0:1], v3, off
.LBB14_302:
	s_mov_b32 s19, 0
.LBB14_303:
	s_delay_alu instid0(SALU_CYCLE_1)
	s_and_not1_b32 vcc_lo, exec_lo, s19
	s_cbranch_vccnz .LBB14_305
; %bb.304:
	s_wait_xcnt 0x0
	v_cvt_i32_f32_e32 v3, v2
	global_store_b16 v[0:1], v3, off
.LBB14_305:
	s_mov_b32 s19, 0
.LBB14_306:
	s_delay_alu instid0(SALU_CYCLE_1)
	s_and_not1_b32 vcc_lo, exec_lo, s19
	s_cbranch_vccnz .LBB14_311
; %bb.307:
	s_cmp_gt_i32 s17, 0
	s_mov_b32 s17, -1
	s_cbranch_scc0 .LBB14_309
; %bb.308:
	s_wait_xcnt 0x0
	v_cvt_i32_f32_e32 v3, v2
	s_mov_b32 s17, 0
	global_store_b8 v[0:1], v3, off
.LBB14_309:
	s_and_not1_b32 vcc_lo, exec_lo, s17
	s_cbranch_vccnz .LBB14_311
; %bb.310:
	s_wait_xcnt 0x0
	v_trunc_f32_e32 v2, v2
	s_delay_alu instid0(VALU_DEP_1) | instskip(NEXT) | instid1(VALU_DEP_1)
	v_mul_f32_e64 v3, 0x2f800000, |v2|
	v_floor_f32_e32 v3, v3
	s_delay_alu instid0(VALU_DEP_1) | instskip(SKIP_1) | instid1(VALU_DEP_2)
	v_fma_f32 v3, 0xcf800000, v3, |v2|
	v_ashrrev_i32_e32 v2, 31, v2
	v_cvt_u32_f32_e32 v3, v3
	s_delay_alu instid0(VALU_DEP_1) | instskip(NEXT) | instid1(VALU_DEP_1)
	v_xor_b32_e32 v3, v3, v2
	v_sub_nc_u32_e32 v2, v3, v2
	global_store_b8 v[0:1], v2, off
.LBB14_311:
	s_branch .LBB14_400
.LBB14_312:
	s_mov_b32 s19, 0
	s_branch .LBB14_512
.LBB14_313:
	s_mov_b32 s19, -1
	s_mov_b32 s17, 0
	s_mov_b32 s16, s14
                                        ; implicit-def: $vgpr2
	s_branch .LBB14_427
.LBB14_314:
	s_mov_b32 s19, -1
	s_mov_b32 s17, 0
	s_mov_b32 s16, s14
                                        ; implicit-def: $vgpr2
	s_branch .LBB14_408
.LBB14_315:
	s_mov_b32 s21, -1
	s_mov_b32 s0, s12
	s_branch .LBB14_357
.LBB14_316:
	s_mov_b32 s19, -1
	s_mov_b32 s17, 0
	s_mov_b32 s16, s14
                                        ; implicit-def: $vgpr2
	s_branch .LBB14_403
.LBB14_317:
	s_mov_b32 s21, -1
	s_mov_b32 s0, s12
	s_branch .LBB14_340
.LBB14_318:
	s_and_not1_saveexec_b32 s20, s20
	s_cbranch_execz .LBB14_91
.LBB14_319:
	v_add_f32_e64 v3, 0x46000000, |v2|
	s_and_not1_b32 s19, s19, exec_lo
	s_delay_alu instid0(VALU_DEP_1) | instskip(NEXT) | instid1(VALU_DEP_1)
	v_and_b32_e32 v3, 0xff, v3
	v_cmp_ne_u32_e32 vcc_lo, 0, v3
	s_and_b32 s21, vcc_lo, exec_lo
	s_delay_alu instid0(SALU_CYCLE_1)
	s_or_b32 s19, s19, s21
	s_or_b32 exec_lo, exec_lo, s20
	v_mov_b32_e32 v5, 0
	s_and_saveexec_b32 s20, s19
	s_cbranch_execnz .LBB14_92
	s_branch .LBB14_93
.LBB14_320:
	s_mov_b32 s19, -1
	s_mov_b32 s17, 0
	s_mov_b32 s16, s14
	s_branch .LBB14_325
.LBB14_321:
	s_mov_b32 s21, -1
	s_mov_b32 s0, s12
	s_branch .LBB14_336
.LBB14_322:
	s_and_not1_saveexec_b32 s20, s20
	s_cbranch_execz .LBB14_104
.LBB14_323:
	v_add_f32_e64 v3, 0x42800000, |v2|
	s_and_not1_b32 s19, s19, exec_lo
	s_delay_alu instid0(VALU_DEP_1) | instskip(NEXT) | instid1(VALU_DEP_1)
	v_and_b32_e32 v3, 0xff, v3
	v_cmp_ne_u32_e32 vcc_lo, 0, v3
	s_and_b32 s21, vcc_lo, exec_lo
	s_delay_alu instid0(SALU_CYCLE_1)
	s_or_b32 s19, s19, s21
	s_or_b32 exec_lo, exec_lo, s20
	v_mov_b32_e32 v5, 0
	s_and_saveexec_b32 s20, s19
	s_cbranch_execnz .LBB14_105
	s_branch .LBB14_106
.LBB14_324:
	s_mov_b32 s16, -1
	s_mov_b32 s17, 0
.LBB14_325:
                                        ; implicit-def: $vgpr2
.LBB14_326:
	s_and_b32 vcc_lo, exec_lo, s19
	s_cbranch_vccz .LBB14_402
; %bb.327:
	s_cmp_eq_u32 s0, 44
	s_cbranch_scc0 .LBB14_401
; %bb.328:
	s_wait_loadcnt 0x0
	global_load_u8 v2, v[0:1], off
	s_mov_b32 s16, 0
	s_mov_b32 s17, -1
	s_wait_loadcnt 0x0
	v_lshlrev_b32_e32 v3, 23, v2
	v_cmp_ne_u32_e32 vcc_lo, 0xff, v2
	s_delay_alu instid0(VALU_DEP_2) | instskip(SKIP_1) | instid1(VALU_DEP_2)
	v_cndmask_b32_e32 v3, 0x7f800001, v3, vcc_lo
	v_cmp_ne_u32_e32 vcc_lo, 0, v2
	v_cndmask_b32_e32 v2, 0x400000, v3, vcc_lo
	s_branch .LBB14_402
.LBB14_329:
	s_mov_b32 s21, -1
	s_mov_b32 s0, s12
.LBB14_330:
	s_and_b32 vcc_lo, exec_lo, s21
	s_cbranch_vccz .LBB14_335
; %bb.331:
	s_cmp_eq_u32 s19, 44
	s_mov_b32 s0, -1
	s_cbranch_scc0 .LBB14_335
; %bb.332:
	v_bfe_u32 v5, v2, 23, 8
	s_wait_xcnt 0x0
	v_mov_b32_e32 v3, 0xff
	s_mov_b32 s20, exec_lo
	s_delay_alu instid0(VALU_DEP_2)
	v_cmpx_ne_u32_e32 0xff, v5
	s_cbranch_execz .LBB14_334
; %bb.333:
	v_and_b32_e32 v3, 0x400000, v2
	v_and_or_b32 v5, 0x3fffff, v2, v5
	s_delay_alu instid0(VALU_DEP_2) | instskip(NEXT) | instid1(VALU_DEP_2)
	v_cmp_ne_u32_e32 vcc_lo, 0, v3
	v_cmp_ne_u32_e64 s0, 0, v5
	v_lshrrev_b32_e32 v3, 23, v2
	s_and_b32 s0, vcc_lo, s0
	s_delay_alu instid0(SALU_CYCLE_1) | instskip(NEXT) | instid1(VALU_DEP_1)
	v_cndmask_b32_e64 v5, 0, 1, s0
	v_add_nc_u32_e32 v3, v3, v5
.LBB14_334:
	s_or_b32 exec_lo, exec_lo, s20
	s_mov_b32 s20, -1
	s_mov_b32 s0, 0
	global_store_b8 v[0:1], v3, off
.LBB14_335:
	s_mov_b32 s21, 0
.LBB14_336:
	s_delay_alu instid0(SALU_CYCLE_1)
	s_and_b32 vcc_lo, exec_lo, s21
	s_cbranch_vccz .LBB14_339
; %bb.337:
	s_cmp_eq_u32 s19, 29
	s_mov_b32 s0, -1
	s_cbranch_scc0 .LBB14_339
; %bb.338:
	s_wait_xcnt 0x0
	v_trunc_f32_e32 v3, v2
	s_mov_b32 s20, -1
	s_mov_b32 s0, 0
	s_mov_b32 s21, 0
	s_delay_alu instid0(VALU_DEP_1) | instskip(NEXT) | instid1(VALU_DEP_1)
	v_mul_f32_e32 v5, 0x2f800000, v3
	v_floor_f32_e32 v5, v5
	s_delay_alu instid0(VALU_DEP_1) | instskip(SKIP_1) | instid1(VALU_DEP_2)
	v_fmamk_f32 v3, v5, 0xcf800000, v3
	v_cvt_u32_f32_e32 v7, v5
	v_cvt_u32_f32_e32 v6, v3
	global_store_b64 v[0:1], v[6:7], off
	s_branch .LBB14_340
.LBB14_339:
	s_mov_b32 s21, 0
.LBB14_340:
	s_delay_alu instid0(SALU_CYCLE_1)
	s_and_b32 vcc_lo, exec_lo, s21
	s_cbranch_vccz .LBB14_356
; %bb.341:
	s_cmp_lt_i32 s19, 27
	s_mov_b32 s20, -1
	s_cbranch_scc1 .LBB14_347
; %bb.342:
	s_wait_xcnt 0x0
	v_cvt_u32_f32_e32 v3, v2
	s_cmp_gt_i32 s19, 27
	s_cbranch_scc0 .LBB14_344
; %bb.343:
	s_mov_b32 s20, 0
	global_store_b32 v[0:1], v3, off
.LBB14_344:
	s_and_not1_b32 vcc_lo, exec_lo, s20
	s_cbranch_vccnz .LBB14_346
; %bb.345:
	global_store_b16 v[0:1], v3, off
.LBB14_346:
	s_mov_b32 s20, 0
.LBB14_347:
	s_delay_alu instid0(SALU_CYCLE_1)
	s_and_not1_b32 vcc_lo, exec_lo, s20
	s_cbranch_vccnz .LBB14_355
; %bb.348:
	s_wait_xcnt 0x0
	v_and_b32_e32 v3, 0x7fffffff, v2
	v_mov_b32_e32 v5, 0x80
	s_mov_b32 s20, exec_lo
	s_delay_alu instid0(VALU_DEP_2)
	v_cmpx_gt_u32_e32 0x43800000, v3
	s_cbranch_execz .LBB14_354
; %bb.349:
	v_cmp_lt_u32_e32 vcc_lo, 0x3bffffff, v3
	s_mov_b32 s21, 0
                                        ; implicit-def: $vgpr3
	s_and_saveexec_b32 s22, vcc_lo
	s_delay_alu instid0(SALU_CYCLE_1)
	s_xor_b32 s22, exec_lo, s22
	s_cbranch_execz .LBB14_527
; %bb.350:
	v_bfe_u32 v3, v2, 20, 1
	s_mov_b32 s21, exec_lo
	s_delay_alu instid0(VALU_DEP_1) | instskip(NEXT) | instid1(VALU_DEP_1)
	v_add3_u32 v3, v2, v3, 0x487ffff
	v_lshrrev_b32_e32 v3, 20, v3
	s_and_not1_saveexec_b32 s22, s22
	s_cbranch_execnz .LBB14_528
.LBB14_351:
	s_or_b32 exec_lo, exec_lo, s22
	v_mov_b32_e32 v5, 0
	s_and_saveexec_b32 s22, s21
.LBB14_352:
	v_lshrrev_b32_e32 v5, 24, v2
	s_delay_alu instid0(VALU_DEP_1)
	v_and_or_b32 v5, 0x80, v5, v3
.LBB14_353:
	s_or_b32 exec_lo, exec_lo, s22
.LBB14_354:
	s_delay_alu instid0(SALU_CYCLE_1)
	s_or_b32 exec_lo, exec_lo, s20
	global_store_b8 v[0:1], v5, off
.LBB14_355:
	s_mov_b32 s20, -1
.LBB14_356:
	s_mov_b32 s21, 0
.LBB14_357:
	s_delay_alu instid0(SALU_CYCLE_1)
	s_and_b32 vcc_lo, exec_lo, s21
	s_cbranch_vccz .LBB14_398
; %bb.358:
	s_cmp_gt_i32 s19, 22
	s_mov_b32 s21, -1
	s_cbranch_scc0 .LBB14_390
; %bb.359:
	s_cmp_lt_i32 s19, 24
	s_mov_b32 s20, -1
	s_cbranch_scc1 .LBB14_379
; %bb.360:
	s_cmp_gt_i32 s19, 24
	s_cbranch_scc0 .LBB14_368
; %bb.361:
	s_wait_xcnt 0x0
	v_and_b32_e32 v3, 0x7fffffff, v2
	v_mov_b32_e32 v5, 0x80
	s_mov_b32 s20, exec_lo
	s_delay_alu instid0(VALU_DEP_2)
	v_cmpx_gt_u32_e32 0x47800000, v3
	s_cbranch_execz .LBB14_367
; %bb.362:
	v_cmp_lt_u32_e32 vcc_lo, 0x37ffffff, v3
	s_mov_b32 s21, 0
                                        ; implicit-def: $vgpr3
	s_and_saveexec_b32 s22, vcc_lo
	s_delay_alu instid0(SALU_CYCLE_1)
	s_xor_b32 s22, exec_lo, s22
	s_cbranch_execz .LBB14_530
; %bb.363:
	v_bfe_u32 v3, v2, 21, 1
	s_mov_b32 s21, exec_lo
	s_delay_alu instid0(VALU_DEP_1) | instskip(NEXT) | instid1(VALU_DEP_1)
	v_add3_u32 v3, v2, v3, 0x88fffff
	v_lshrrev_b32_e32 v3, 21, v3
	s_and_not1_saveexec_b32 s22, s22
	s_cbranch_execnz .LBB14_531
.LBB14_364:
	s_or_b32 exec_lo, exec_lo, s22
	v_mov_b32_e32 v5, 0
	s_and_saveexec_b32 s22, s21
.LBB14_365:
	v_lshrrev_b32_e32 v5, 24, v2
	s_delay_alu instid0(VALU_DEP_1)
	v_and_or_b32 v5, 0x80, v5, v3
.LBB14_366:
	s_or_b32 exec_lo, exec_lo, s22
.LBB14_367:
	s_delay_alu instid0(SALU_CYCLE_1)
	s_or_b32 exec_lo, exec_lo, s20
	s_mov_b32 s20, 0
	global_store_b8 v[0:1], v5, off
.LBB14_368:
	s_and_b32 vcc_lo, exec_lo, s20
	s_cbranch_vccz .LBB14_378
; %bb.369:
	s_wait_xcnt 0x0
	v_and_b32_e32 v5, 0x7fffffff, v2
	s_mov_b32 s20, exec_lo
                                        ; implicit-def: $vgpr3
	s_delay_alu instid0(VALU_DEP_1)
	v_cmpx_gt_u32_e32 0x43f00000, v5
	s_xor_b32 s20, exec_lo, s20
	s_cbranch_execz .LBB14_375
; %bb.370:
	s_mov_b32 s21, exec_lo
                                        ; implicit-def: $vgpr3
	v_cmpx_lt_u32_e32 0x3c7fffff, v5
	s_xor_b32 s21, exec_lo, s21
; %bb.371:
	v_bfe_u32 v3, v2, 20, 1
	s_delay_alu instid0(VALU_DEP_1) | instskip(NEXT) | instid1(VALU_DEP_1)
	v_add3_u32 v3, v2, v3, 0x407ffff
	v_and_b32_e32 v5, 0xff00000, v3
	v_lshrrev_b32_e32 v3, 20, v3
	s_delay_alu instid0(VALU_DEP_2) | instskip(NEXT) | instid1(VALU_DEP_2)
	v_cmp_ne_u32_e32 vcc_lo, 0x7f00000, v5
	v_cndmask_b32_e32 v3, 0x7e, v3, vcc_lo
; %bb.372:
	s_and_not1_saveexec_b32 s21, s21
; %bb.373:
	v_add_f32_e64 v3, 0x46800000, |v2|
; %bb.374:
	s_or_b32 exec_lo, exec_lo, s21
                                        ; implicit-def: $vgpr5
.LBB14_375:
	s_and_not1_saveexec_b32 s20, s20
; %bb.376:
	v_mov_b32_e32 v3, 0x7f
	v_cmp_lt_u32_e32 vcc_lo, 0x7f800000, v5
	s_delay_alu instid0(VALU_DEP_2)
	v_cndmask_b32_e32 v3, 0x7e, v3, vcc_lo
; %bb.377:
	s_or_b32 exec_lo, exec_lo, s20
	v_lshrrev_b32_e32 v5, 24, v2
	s_delay_alu instid0(VALU_DEP_1)
	v_and_or_b32 v3, 0x80, v5, v3
	global_store_b8 v[0:1], v3, off
.LBB14_378:
	s_mov_b32 s20, 0
.LBB14_379:
	s_delay_alu instid0(SALU_CYCLE_1)
	s_and_not1_b32 vcc_lo, exec_lo, s20
	s_cbranch_vccnz .LBB14_389
; %bb.380:
	s_wait_xcnt 0x0
	v_and_b32_e32 v5, 0x7fffffff, v2
	s_mov_b32 s20, exec_lo
                                        ; implicit-def: $vgpr3
	s_delay_alu instid0(VALU_DEP_1)
	v_cmpx_gt_u32_e32 0x47800000, v5
	s_xor_b32 s20, exec_lo, s20
	s_cbranch_execz .LBB14_386
; %bb.381:
	s_mov_b32 s21, exec_lo
                                        ; implicit-def: $vgpr3
	v_cmpx_lt_u32_e32 0x387fffff, v5
	s_xor_b32 s21, exec_lo, s21
; %bb.382:
	v_bfe_u32 v3, v2, 21, 1
	s_delay_alu instid0(VALU_DEP_1) | instskip(NEXT) | instid1(VALU_DEP_1)
	v_add3_u32 v3, v2, v3, 0x80fffff
	v_lshrrev_b32_e32 v3, 21, v3
; %bb.383:
	s_and_not1_saveexec_b32 s21, s21
; %bb.384:
	v_add_f32_e64 v3, 0x43000000, |v2|
; %bb.385:
	s_or_b32 exec_lo, exec_lo, s21
                                        ; implicit-def: $vgpr5
.LBB14_386:
	s_and_not1_saveexec_b32 s20, s20
; %bb.387:
	v_mov_b32_e32 v3, 0x7f
	v_cmp_lt_u32_e32 vcc_lo, 0x7f800000, v5
	s_delay_alu instid0(VALU_DEP_2)
	v_cndmask_b32_e32 v3, 0x7c, v3, vcc_lo
; %bb.388:
	s_or_b32 exec_lo, exec_lo, s20
	v_lshrrev_b32_e32 v5, 24, v2
	s_delay_alu instid0(VALU_DEP_1)
	v_and_or_b32 v3, 0x80, v5, v3
	global_store_b8 v[0:1], v3, off
.LBB14_389:
	s_mov_b32 s21, 0
	s_mov_b32 s20, -1
.LBB14_390:
	s_and_not1_b32 vcc_lo, exec_lo, s21
	s_cbranch_vccnz .LBB14_398
; %bb.391:
	s_cmp_gt_i32 s19, 14
	s_mov_b32 s21, -1
	s_cbranch_scc0 .LBB14_395
; %bb.392:
	s_cmp_eq_u32 s19, 15
	s_mov_b32 s0, -1
	s_cbranch_scc0 .LBB14_394
; %bb.393:
	s_wait_xcnt 0x0
	v_bfe_u32 v3, v2, 16, 1
	v_cmp_o_f32_e32 vcc_lo, v2, v2
	s_mov_b32 s20, -1
	s_mov_b32 s0, 0
	s_delay_alu instid0(VALU_DEP_2) | instskip(NEXT) | instid1(VALU_DEP_1)
	v_add3_u32 v3, v2, v3, 0x7fff
	v_lshrrev_b32_e32 v3, 16, v3
	s_delay_alu instid0(VALU_DEP_1)
	v_cndmask_b32_e32 v3, 0x7fc0, v3, vcc_lo
	global_store_b16 v[0:1], v3, off
.LBB14_394:
	s_mov_b32 s21, 0
.LBB14_395:
	s_delay_alu instid0(SALU_CYCLE_1)
	s_and_b32 vcc_lo, exec_lo, s21
	s_cbranch_vccz .LBB14_398
; %bb.396:
	s_cmp_eq_u32 s19, 11
	s_mov_b32 s0, -1
	s_cbranch_scc0 .LBB14_398
; %bb.397:
	v_cmp_neq_f32_e32 vcc_lo, 0, v2
	s_mov_b32 s0, 0
	s_mov_b32 s20, -1
	s_wait_xcnt 0x0
	v_cndmask_b32_e64 v3, 0, 1, vcc_lo
	global_store_b8 v[0:1], v3, off
.LBB14_398:
.LBB14_399:
	s_and_not1_b32 vcc_lo, exec_lo, s20
	s_cbranch_vccnz .LBB14_312
.LBB14_400:
	v_add_nc_u32_e32 v4, 0x80, v4
	s_mov_b32 s19, -1
	s_branch .LBB14_513
.LBB14_401:
	s_mov_b32 s16, -1
                                        ; implicit-def: $vgpr2
.LBB14_402:
	s_mov_b32 s19, 0
.LBB14_403:
	s_delay_alu instid0(SALU_CYCLE_1)
	s_and_b32 vcc_lo, exec_lo, s19
	s_cbranch_vccz .LBB14_407
; %bb.404:
	s_cmp_eq_u32 s0, 29
	s_cbranch_scc0 .LBB14_406
; %bb.405:
	s_wait_loadcnt 0x0
	global_load_b64 v[2:3], v[0:1], off
	s_mov_b32 s17, -1
	s_mov_b32 s16, 0
	s_mov_b32 s19, 0
	s_wait_loadcnt 0x0
	v_clz_i32_u32_e32 v5, v3
	s_delay_alu instid0(VALU_DEP_1) | instskip(NEXT) | instid1(VALU_DEP_1)
	v_min_u32_e32 v5, 32, v5
	v_lshlrev_b64_e32 v[2:3], v5, v[2:3]
	s_delay_alu instid0(VALU_DEP_1) | instskip(NEXT) | instid1(VALU_DEP_1)
	v_min_u32_e32 v2, 1, v2
	v_dual_sub_nc_u32 v3, 32, v5 :: v_dual_bitop2_b32 v2, v3, v2 bitop3:0x54
	s_delay_alu instid0(VALU_DEP_1) | instskip(NEXT) | instid1(VALU_DEP_1)
	v_cvt_f32_u32_e32 v2, v2
	v_ldexp_f32 v2, v2, v3
	s_branch .LBB14_408
.LBB14_406:
	s_mov_b32 s16, -1
                                        ; implicit-def: $vgpr2
.LBB14_407:
	s_mov_b32 s19, 0
.LBB14_408:
	s_delay_alu instid0(SALU_CYCLE_1)
	s_and_b32 vcc_lo, exec_lo, s19
	s_cbranch_vccz .LBB14_426
; %bb.409:
	s_cmp_lt_i32 s0, 27
	s_cbranch_scc1 .LBB14_412
; %bb.410:
	s_cmp_gt_i32 s0, 27
	s_cbranch_scc0 .LBB14_413
; %bb.411:
	s_wait_loadcnt 0x0
	global_load_b32 v2, v[0:1], off
	s_mov_b32 s17, 0
	s_wait_loadcnt 0x0
	v_cvt_f32_u32_e32 v2, v2
	s_branch .LBB14_414
.LBB14_412:
	s_mov_b32 s17, -1
                                        ; implicit-def: $vgpr2
	s_branch .LBB14_417
.LBB14_413:
	s_mov_b32 s17, -1
                                        ; implicit-def: $vgpr2
.LBB14_414:
	s_delay_alu instid0(SALU_CYCLE_1)
	s_and_not1_b32 vcc_lo, exec_lo, s17
	s_cbranch_vccnz .LBB14_416
; %bb.415:
	s_wait_loadcnt 0x0
	global_load_u16 v2, v[0:1], off
	s_wait_loadcnt 0x0
	v_cvt_f32_u32_e32 v2, v2
.LBB14_416:
	s_mov_b32 s17, 0
.LBB14_417:
	s_delay_alu instid0(SALU_CYCLE_1)
	s_and_not1_b32 vcc_lo, exec_lo, s17
	s_cbranch_vccnz .LBB14_425
; %bb.418:
	global_load_u8 v3, v[0:1], off
	s_mov_b32 s17, 0
	s_mov_b32 s19, exec_lo
	s_wait_loadcnt 0x0
	v_cmpx_lt_i16_e32 0x7f, v3
	s_xor_b32 s19, exec_lo, s19
	s_cbranch_execz .LBB14_439
; %bb.419:
	s_mov_b32 s17, -1
	s_mov_b32 s20, exec_lo
	v_cmpx_eq_u16_e32 0x80, v3
; %bb.420:
	s_xor_b32 s17, exec_lo, -1
; %bb.421:
	s_or_b32 exec_lo, exec_lo, s20
	s_delay_alu instid0(SALU_CYCLE_1)
	s_and_b32 s17, s17, exec_lo
	s_or_saveexec_b32 s19, s19
	v_mov_b32_e32 v2, 0x7f800001
	s_xor_b32 exec_lo, exec_lo, s19
	s_cbranch_execnz .LBB14_440
.LBB14_422:
	s_or_b32 exec_lo, exec_lo, s19
	s_and_saveexec_b32 s19, s17
	s_cbranch_execz .LBB14_424
.LBB14_423:
	v_and_b32_e32 v2, 0xffff, v3
	s_delay_alu instid0(VALU_DEP_1) | instskip(SKIP_1) | instid1(VALU_DEP_2)
	v_dual_lshlrev_b32 v3, 24, v3 :: v_dual_bitop2_b32 v5, 7, v2 bitop3:0x40
	v_bfe_u32 v8, v2, 3, 4
	v_and_b32_e32 v3, 0x80000000, v3
	s_delay_alu instid0(VALU_DEP_3) | instskip(NEXT) | instid1(VALU_DEP_3)
	v_clz_i32_u32_e32 v6, v5
	v_cmp_eq_u32_e32 vcc_lo, 0, v8
	s_delay_alu instid0(VALU_DEP_2) | instskip(NEXT) | instid1(VALU_DEP_1)
	v_min_u32_e32 v6, 32, v6
	v_subrev_nc_u32_e32 v7, 28, v6
	v_sub_nc_u32_e32 v6, 29, v6
	s_delay_alu instid0(VALU_DEP_2) | instskip(NEXT) | instid1(VALU_DEP_2)
	v_lshlrev_b32_e32 v2, v7, v2
	v_cndmask_b32_e32 v6, v8, v6, vcc_lo
	s_delay_alu instid0(VALU_DEP_2) | instskip(NEXT) | instid1(VALU_DEP_1)
	v_and_b32_e32 v2, 7, v2
	v_cndmask_b32_e32 v2, v5, v2, vcc_lo
	s_delay_alu instid0(VALU_DEP_3) | instskip(NEXT) | instid1(VALU_DEP_2)
	v_lshl_add_u32 v5, v6, 23, 0x3b800000
	v_lshlrev_b32_e32 v2, 20, v2
	s_delay_alu instid0(VALU_DEP_1)
	v_or3_b32 v2, v3, v5, v2
.LBB14_424:
	s_or_b32 exec_lo, exec_lo, s19
.LBB14_425:
	s_mov_b32 s17, -1
.LBB14_426:
	s_mov_b32 s19, 0
.LBB14_427:
	s_delay_alu instid0(SALU_CYCLE_1)
	s_and_b32 vcc_lo, exec_lo, s19
	s_cbranch_vccz .LBB14_462
; %bb.428:
	s_cmp_gt_i32 s0, 22
	s_cbranch_scc0 .LBB14_438
; %bb.429:
	s_cmp_lt_i32 s0, 24
	s_cbranch_scc1 .LBB14_441
; %bb.430:
	s_cmp_gt_i32 s0, 24
	s_cbranch_scc0 .LBB14_442
; %bb.431:
	global_load_u8 v3, v[0:1], off
	s_mov_b32 s17, 0
	s_mov_b32 s19, exec_lo
	s_wait_loadcnt 0x0
	v_cmpx_lt_i16_e32 0x7f, v3
	s_xor_b32 s19, exec_lo, s19
	s_cbranch_execz .LBB14_454
; %bb.432:
	s_mov_b32 s17, -1
	s_mov_b32 s20, exec_lo
	v_cmpx_eq_u16_e32 0x80, v3
; %bb.433:
	s_xor_b32 s17, exec_lo, -1
; %bb.434:
	s_or_b32 exec_lo, exec_lo, s20
	s_delay_alu instid0(SALU_CYCLE_1)
	s_and_b32 s17, s17, exec_lo
	s_or_saveexec_b32 s19, s19
	v_mov_b32_e32 v2, 0x7f800001
	s_xor_b32 exec_lo, exec_lo, s19
	s_cbranch_execnz .LBB14_455
.LBB14_435:
	s_or_b32 exec_lo, exec_lo, s19
	s_and_saveexec_b32 s19, s17
	s_cbranch_execz .LBB14_437
.LBB14_436:
	v_and_b32_e32 v2, 0xffff, v3
	s_delay_alu instid0(VALU_DEP_1) | instskip(SKIP_1) | instid1(VALU_DEP_2)
	v_dual_lshlrev_b32 v3, 24, v3 :: v_dual_bitop2_b32 v5, 3, v2 bitop3:0x40
	v_bfe_u32 v8, v2, 2, 5
	v_and_b32_e32 v3, 0x80000000, v3
	s_delay_alu instid0(VALU_DEP_3) | instskip(NEXT) | instid1(VALU_DEP_3)
	v_clz_i32_u32_e32 v6, v5
	v_cmp_eq_u32_e32 vcc_lo, 0, v8
	s_delay_alu instid0(VALU_DEP_2) | instskip(NEXT) | instid1(VALU_DEP_1)
	v_min_u32_e32 v6, 32, v6
	v_subrev_nc_u32_e32 v7, 29, v6
	v_sub_nc_u32_e32 v6, 30, v6
	s_delay_alu instid0(VALU_DEP_2) | instskip(NEXT) | instid1(VALU_DEP_2)
	v_lshlrev_b32_e32 v2, v7, v2
	v_cndmask_b32_e32 v6, v8, v6, vcc_lo
	s_delay_alu instid0(VALU_DEP_2) | instskip(NEXT) | instid1(VALU_DEP_1)
	v_and_b32_e32 v2, 3, v2
	v_cndmask_b32_e32 v2, v5, v2, vcc_lo
	s_delay_alu instid0(VALU_DEP_3) | instskip(NEXT) | instid1(VALU_DEP_2)
	v_lshl_add_u32 v5, v6, 23, 0x37800000
	v_lshlrev_b32_e32 v2, 21, v2
	s_delay_alu instid0(VALU_DEP_1)
	v_or3_b32 v2, v3, v5, v2
.LBB14_437:
	s_or_b32 exec_lo, exec_lo, s19
	s_mov_b32 s17, 0
	s_branch .LBB14_443
.LBB14_438:
	s_mov_b32 s19, -1
                                        ; implicit-def: $vgpr2
	s_branch .LBB14_449
.LBB14_439:
	s_or_saveexec_b32 s19, s19
	v_mov_b32_e32 v2, 0x7f800001
	s_xor_b32 exec_lo, exec_lo, s19
	s_cbranch_execz .LBB14_422
.LBB14_440:
	v_cmp_ne_u16_e32 vcc_lo, 0, v3
	v_mov_b32_e32 v2, 0
	s_and_not1_b32 s17, s17, exec_lo
	s_and_b32 s20, vcc_lo, exec_lo
	s_delay_alu instid0(SALU_CYCLE_1)
	s_or_b32 s17, s17, s20
	s_or_b32 exec_lo, exec_lo, s19
	s_and_saveexec_b32 s19, s17
	s_cbranch_execnz .LBB14_423
	s_branch .LBB14_424
.LBB14_441:
	s_mov_b32 s17, -1
                                        ; implicit-def: $vgpr2
	s_branch .LBB14_446
.LBB14_442:
	s_mov_b32 s17, -1
                                        ; implicit-def: $vgpr2
.LBB14_443:
	s_delay_alu instid0(SALU_CYCLE_1)
	s_and_b32 vcc_lo, exec_lo, s17
	s_cbranch_vccz .LBB14_445
; %bb.444:
	s_wait_loadcnt 0x0
	global_load_u8 v2, v[0:1], off
	s_wait_loadcnt 0x0
	v_lshlrev_b32_e32 v2, 24, v2
	s_delay_alu instid0(VALU_DEP_1) | instskip(NEXT) | instid1(VALU_DEP_1)
	v_and_b32_e32 v3, 0x7f000000, v2
	v_clz_i32_u32_e32 v5, v3
	v_add_nc_u32_e32 v7, 0x1000000, v3
	v_cmp_ne_u32_e32 vcc_lo, 0, v3
	s_delay_alu instid0(VALU_DEP_3) | instskip(NEXT) | instid1(VALU_DEP_1)
	v_min_u32_e32 v5, 32, v5
	v_sub_nc_u32_e64 v5, v5, 4 clamp
	s_delay_alu instid0(VALU_DEP_1) | instskip(NEXT) | instid1(VALU_DEP_1)
	v_dual_lshlrev_b32 v6, v5, v3 :: v_dual_lshlrev_b32 v5, 23, v5
	v_lshrrev_b32_e32 v6, 4, v6
	s_delay_alu instid0(VALU_DEP_1) | instskip(NEXT) | instid1(VALU_DEP_1)
	v_dual_sub_nc_u32 v5, v6, v5 :: v_dual_ashrrev_i32 v6, 8, v7
	v_add_nc_u32_e32 v5, 0x3c000000, v5
	s_delay_alu instid0(VALU_DEP_1) | instskip(NEXT) | instid1(VALU_DEP_1)
	v_and_or_b32 v5, 0x7f800000, v6, v5
	v_cndmask_b32_e32 v3, 0, v5, vcc_lo
	s_delay_alu instid0(VALU_DEP_1)
	v_and_or_b32 v2, 0x80000000, v2, v3
.LBB14_445:
	s_mov_b32 s17, 0
.LBB14_446:
	s_delay_alu instid0(SALU_CYCLE_1)
	s_and_not1_b32 vcc_lo, exec_lo, s17
	s_cbranch_vccnz .LBB14_448
; %bb.447:
	s_wait_loadcnt 0x0
	global_load_u8 v2, v[0:1], off
	s_wait_loadcnt 0x0
	v_lshlrev_b32_e32 v3, 25, v2
	v_lshlrev_b16 v2, 8, v2
	s_delay_alu instid0(VALU_DEP_2) | instskip(NEXT) | instid1(VALU_DEP_2)
	v_cmp_gt_u32_e32 vcc_lo, 0x8000000, v3
	v_and_or_b32 v6, 0x7f00, v2, 0.5
	v_lshrrev_b32_e32 v5, 4, v3
	v_bfe_i32 v2, v2, 0, 16
	s_delay_alu instid0(VALU_DEP_3) | instskip(NEXT) | instid1(VALU_DEP_3)
	v_add_f32_e32 v6, -0.5, v6
	v_or_b32_e32 v5, 0x70000000, v5
	s_delay_alu instid0(VALU_DEP_1) | instskip(NEXT) | instid1(VALU_DEP_1)
	v_mul_f32_e32 v5, 0x7800000, v5
	v_cndmask_b32_e32 v3, v5, v6, vcc_lo
	s_delay_alu instid0(VALU_DEP_1)
	v_and_or_b32 v2, 0x80000000, v2, v3
.LBB14_448:
	s_mov_b32 s19, 0
	s_mov_b32 s17, -1
.LBB14_449:
	s_and_not1_b32 vcc_lo, exec_lo, s19
	s_cbranch_vccnz .LBB14_462
; %bb.450:
	s_cmp_gt_i32 s0, 14
	s_cbranch_scc0 .LBB14_453
; %bb.451:
	s_cmp_eq_u32 s0, 15
	s_cbranch_scc0 .LBB14_456
; %bb.452:
	s_wait_loadcnt 0x0
	global_load_u16 v2, v[0:1], off
	s_mov_b32 s17, -1
	s_mov_b32 s16, 0
	s_wait_loadcnt 0x0
	v_lshlrev_b32_e32 v2, 16, v2
	s_branch .LBB14_457
.LBB14_453:
	s_mov_b32 s19, -1
                                        ; implicit-def: $vgpr2
	s_branch .LBB14_458
.LBB14_454:
	s_or_saveexec_b32 s19, s19
	v_mov_b32_e32 v2, 0x7f800001
	s_xor_b32 exec_lo, exec_lo, s19
	s_cbranch_execz .LBB14_435
.LBB14_455:
	v_cmp_ne_u16_e32 vcc_lo, 0, v3
	v_mov_b32_e32 v2, 0
	s_and_not1_b32 s17, s17, exec_lo
	s_and_b32 s20, vcc_lo, exec_lo
	s_delay_alu instid0(SALU_CYCLE_1)
	s_or_b32 s17, s17, s20
	s_or_b32 exec_lo, exec_lo, s19
	s_and_saveexec_b32 s19, s17
	s_cbranch_execnz .LBB14_436
	s_branch .LBB14_437
.LBB14_456:
	s_mov_b32 s16, -1
                                        ; implicit-def: $vgpr2
.LBB14_457:
	s_mov_b32 s19, 0
.LBB14_458:
	s_delay_alu instid0(SALU_CYCLE_1)
	s_and_b32 vcc_lo, exec_lo, s19
	s_cbranch_vccz .LBB14_462
; %bb.459:
	s_cmp_eq_u32 s0, 11
	s_cbranch_scc0 .LBB14_461
; %bb.460:
	s_wait_loadcnt 0x0
	global_load_u8 v2, v[0:1], off
	s_mov_b32 s16, 0
	s_mov_b32 s17, -1
	s_wait_loadcnt 0x0
	v_cmp_ne_u16_e32 vcc_lo, 0, v2
	v_cndmask_b32_e64 v2, 0, 1.0, vcc_lo
	s_branch .LBB14_462
.LBB14_461:
	s_mov_b32 s16, -1
                                        ; implicit-def: $vgpr2
.LBB14_462:
	s_branch .LBB14_265
.LBB14_463:
	s_cmp_lt_i32 s0, 5
	s_cbranch_scc1 .LBB14_468
; %bb.464:
	s_cmp_lt_i32 s0, 8
	s_cbranch_scc1 .LBB14_469
; %bb.465:
	;; [unrolled: 3-line block ×3, first 2 shown]
	s_cmp_gt_i32 s0, 9
	s_cbranch_scc0 .LBB14_471
; %bb.467:
	s_wait_loadcnt 0x0
	global_load_b64 v[2:3], v[0:1], off
	s_mov_b32 s17, 0
	s_wait_loadcnt 0x0
	v_cvt_f32_f64_e32 v2, v[2:3]
	s_branch .LBB14_472
.LBB14_468:
	s_mov_b32 s17, -1
                                        ; implicit-def: $vgpr2
	s_branch .LBB14_490
.LBB14_469:
	s_mov_b32 s17, -1
                                        ; implicit-def: $vgpr2
	s_branch .LBB14_478
.LBB14_470:
	s_mov_b32 s17, -1
                                        ; implicit-def: $vgpr2
	s_branch .LBB14_475
.LBB14_471:
	s_mov_b32 s17, -1
                                        ; implicit-def: $vgpr2
.LBB14_472:
	s_delay_alu instid0(SALU_CYCLE_1)
	s_and_not1_b32 vcc_lo, exec_lo, s17
	s_cbranch_vccnz .LBB14_474
; %bb.473:
	s_wait_loadcnt 0x0
	global_load_b32 v2, v[0:1], off
.LBB14_474:
	s_mov_b32 s17, 0
.LBB14_475:
	s_delay_alu instid0(SALU_CYCLE_1)
	s_and_not1_b32 vcc_lo, exec_lo, s17
	s_cbranch_vccnz .LBB14_477
; %bb.476:
	s_wait_loadcnt 0x0
	global_load_b32 v2, v[0:1], off
	s_wait_loadcnt 0x0
	v_cvt_f32_f16_e32 v2, v2
.LBB14_477:
	s_mov_b32 s17, 0
.LBB14_478:
	s_delay_alu instid0(SALU_CYCLE_1)
	s_and_not1_b32 vcc_lo, exec_lo, s17
	s_cbranch_vccnz .LBB14_489
; %bb.479:
	s_cmp_lt_i32 s0, 6
	s_cbranch_scc1 .LBB14_482
; %bb.480:
	s_cmp_gt_i32 s0, 6
	s_cbranch_scc0 .LBB14_483
; %bb.481:
	s_wait_loadcnt 0x0
	global_load_b64 v[2:3], v[0:1], off
	s_mov_b32 s17, 0
	s_wait_loadcnt 0x0
	v_cvt_f32_f64_e32 v2, v[2:3]
	s_branch .LBB14_484
.LBB14_482:
	s_mov_b32 s17, -1
                                        ; implicit-def: $vgpr2
	s_branch .LBB14_487
.LBB14_483:
	s_mov_b32 s17, -1
                                        ; implicit-def: $vgpr2
.LBB14_484:
	s_delay_alu instid0(SALU_CYCLE_1)
	s_and_not1_b32 vcc_lo, exec_lo, s17
	s_cbranch_vccnz .LBB14_486
; %bb.485:
	s_wait_loadcnt 0x0
	global_load_b32 v2, v[0:1], off
.LBB14_486:
	s_mov_b32 s17, 0
.LBB14_487:
	s_delay_alu instid0(SALU_CYCLE_1)
	s_and_not1_b32 vcc_lo, exec_lo, s17
	s_cbranch_vccnz .LBB14_489
; %bb.488:
	s_wait_loadcnt 0x0
	global_load_u16 v2, v[0:1], off
	s_wait_loadcnt 0x0
	v_cvt_f32_f16_e32 v2, v2
.LBB14_489:
	s_mov_b32 s17, 0
.LBB14_490:
	s_delay_alu instid0(SALU_CYCLE_1)
	s_and_not1_b32 vcc_lo, exec_lo, s17
	s_cbranch_vccnz .LBB14_510
; %bb.491:
	s_cmp_lt_i32 s0, 2
	s_cbranch_scc1 .LBB14_495
; %bb.492:
	s_cmp_lt_i32 s0, 3
	s_cbranch_scc1 .LBB14_496
; %bb.493:
	s_cmp_gt_i32 s0, 3
	s_cbranch_scc0 .LBB14_497
; %bb.494:
	s_wait_loadcnt 0x0
	global_load_b64 v[2:3], v[0:1], off
	s_mov_b32 s17, 0
	s_wait_loadcnt 0x0
	v_xor_b32_e32 v5, v2, v3
	v_cls_i32_e32 v6, v3
	s_delay_alu instid0(VALU_DEP_2) | instskip(NEXT) | instid1(VALU_DEP_1)
	v_ashrrev_i32_e32 v5, 31, v5
	v_add_nc_u32_e32 v5, 32, v5
	s_delay_alu instid0(VALU_DEP_1) | instskip(NEXT) | instid1(VALU_DEP_1)
	v_add_min_u32_e64 v5, v6, -1, v5
	v_lshlrev_b64_e32 v[2:3], v5, v[2:3]
	s_delay_alu instid0(VALU_DEP_1) | instskip(NEXT) | instid1(VALU_DEP_1)
	v_min_u32_e32 v2, 1, v2
	v_dual_sub_nc_u32 v3, 32, v5 :: v_dual_bitop2_b32 v2, v3, v2 bitop3:0x54
	s_delay_alu instid0(VALU_DEP_1) | instskip(NEXT) | instid1(VALU_DEP_1)
	v_cvt_f32_i32_e32 v2, v2
	v_ldexp_f32 v2, v2, v3
	s_branch .LBB14_498
.LBB14_495:
	s_mov_b32 s17, -1
                                        ; implicit-def: $vgpr2
	s_branch .LBB14_504
.LBB14_496:
	s_mov_b32 s17, -1
                                        ; implicit-def: $vgpr2
	s_branch .LBB14_501
.LBB14_497:
	s_mov_b32 s17, -1
                                        ; implicit-def: $vgpr2
.LBB14_498:
	s_delay_alu instid0(SALU_CYCLE_1)
	s_and_not1_b32 vcc_lo, exec_lo, s17
	s_cbranch_vccnz .LBB14_500
; %bb.499:
	s_wait_loadcnt 0x0
	global_load_b32 v2, v[0:1], off
	s_wait_loadcnt 0x0
	v_cvt_f32_i32_e32 v2, v2
.LBB14_500:
	s_mov_b32 s17, 0
.LBB14_501:
	s_delay_alu instid0(SALU_CYCLE_1)
	s_and_not1_b32 vcc_lo, exec_lo, s17
	s_cbranch_vccnz .LBB14_503
; %bb.502:
	s_wait_loadcnt 0x0
	global_load_i16 v2, v[0:1], off
	s_wait_loadcnt 0x0
	v_cvt_f32_i32_e32 v2, v2
.LBB14_503:
	s_mov_b32 s17, 0
.LBB14_504:
	s_delay_alu instid0(SALU_CYCLE_1)
	s_and_not1_b32 vcc_lo, exec_lo, s17
	s_cbranch_vccnz .LBB14_510
; %bb.505:
	s_cmp_gt_i32 s0, 0
	s_mov_b32 s0, 0
	s_cbranch_scc0 .LBB14_507
; %bb.506:
	s_wait_loadcnt 0x0
	global_load_i8 v2, v[0:1], off
	s_wait_loadcnt 0x0
	v_cvt_f32_i32_e32 v2, v2
	s_branch .LBB14_508
.LBB14_507:
	s_mov_b32 s0, -1
                                        ; implicit-def: $vgpr2
.LBB14_508:
	s_delay_alu instid0(SALU_CYCLE_1)
	s_and_not1_b32 vcc_lo, exec_lo, s0
	s_cbranch_vccnz .LBB14_510
; %bb.509:
	global_load_u8 v0, v[0:1], off
	s_wait_loadcnt 0x0
	v_cvt_f32_ubyte0_e32 v2, v0
.LBB14_510:
	s_branch .LBB14_266
.LBB14_511:
	s_mov_b32 s19, 0
	s_mov_b32 s0, s12
.LBB14_512:
                                        ; implicit-def: $vgpr4
.LBB14_513:
	s_and_not1_b32 s17, s12, exec_lo
	s_and_b32 s0, s0, exec_lo
	s_and_not1_b32 s20, s14, exec_lo
	s_and_b32 s16, s16, exec_lo
	s_or_b32 s17, s17, s0
	s_or_b32 s16, s20, s16
	s_or_not1_b32 s0, s19, exec_lo
.LBB14_514:
	s_wait_xcnt 0x0
	s_or_b32 exec_lo, exec_lo, s18
	s_mov_b32 s19, 0
	s_mov_b32 s20, 0
	;; [unrolled: 1-line block ×3, first 2 shown]
                                        ; implicit-def: $vgpr0_vgpr1
                                        ; implicit-def: $vgpr3
	s_and_saveexec_b32 s18, s0
	s_cbranch_execz .LBB14_860
; %bb.515:
	s_mov_b32 s21, -1
	s_mov_b32 s0, s16
	s_mov_b32 s20, s17
	s_mov_b32 s19, exec_lo
	v_cmpx_gt_i32_e64 s13, v4
	s_cbranch_execz .LBB14_774
; %bb.516:
	v_mul_lo_u32 v0, v4, s9
	s_and_b32 s0, 0xffff, s2
	s_delay_alu instid0(SALU_CYCLE_1) | instskip(NEXT) | instid1(VALU_DEP_1)
	s_cmp_lt_i32 s0, 11
	v_ashrrev_i32_e32 v1, 31, v0
	s_delay_alu instid0(VALU_DEP_1)
	v_add_nc_u64_e32 v[0:1], s[6:7], v[0:1]
	s_cbranch_scc1 .LBB14_523
; %bb.517:
	s_cmp_gt_i32 s0, 25
	s_cbranch_scc0 .LBB14_524
; %bb.518:
	s_cmp_gt_i32 s0, 28
	s_cbranch_scc0 .LBB14_525
	;; [unrolled: 3-line block ×4, first 2 shown]
; %bb.521:
	s_cmp_eq_u32 s0, 46
	s_mov_b32 s22, 0
	s_cbranch_scc0 .LBB14_532
; %bb.522:
	s_wait_loadcnt 0x0
	global_load_b32 v2, v[0:1], off
	s_mov_b32 s20, 0
	s_wait_loadcnt 0x0
	v_lshlrev_b32_e32 v2, 16, v2
	s_branch .LBB14_534
.LBB14_523:
	s_mov_b32 s22, -1
	s_mov_b32 s21, 0
	s_mov_b32 s20, s16
                                        ; implicit-def: $vgpr2
	s_branch .LBB14_599
.LBB14_524:
	s_mov_b32 s22, -1
	s_mov_b32 s21, 0
	s_mov_b32 s20, s16
                                        ; implicit-def: $vgpr2
	s_branch .LBB14_563
.LBB14_525:
	s_mov_b32 s22, -1
	s_mov_b32 s21, 0
	s_mov_b32 s20, s16
                                        ; implicit-def: $vgpr2
	s_branch .LBB14_544
.LBB14_526:
	s_mov_b32 s22, -1
	s_mov_b32 s21, 0
	s_mov_b32 s20, s16
                                        ; implicit-def: $vgpr2
	s_branch .LBB14_539
.LBB14_527:
	s_and_not1_saveexec_b32 s22, s22
	s_cbranch_execz .LBB14_351
.LBB14_528:
	v_add_f32_e64 v3, 0x46000000, |v2|
	s_and_not1_b32 s21, s21, exec_lo
	s_delay_alu instid0(VALU_DEP_1) | instskip(NEXT) | instid1(VALU_DEP_1)
	v_and_b32_e32 v3, 0xff, v3
	v_cmp_ne_u32_e32 vcc_lo, 0, v3
	s_and_b32 s23, vcc_lo, exec_lo
	s_delay_alu instid0(SALU_CYCLE_1)
	s_or_b32 s21, s21, s23
	s_or_b32 exec_lo, exec_lo, s22
	v_mov_b32_e32 v5, 0
	s_and_saveexec_b32 s22, s21
	s_cbranch_execnz .LBB14_352
	s_branch .LBB14_353
.LBB14_529:
	s_mov_b32 s22, -1
	s_mov_b32 s21, 0
	s_mov_b32 s20, s16
	s_branch .LBB14_533
.LBB14_530:
	s_and_not1_saveexec_b32 s22, s22
	s_cbranch_execz .LBB14_364
.LBB14_531:
	v_add_f32_e64 v3, 0x42800000, |v2|
	s_and_not1_b32 s21, s21, exec_lo
	s_delay_alu instid0(VALU_DEP_1) | instskip(NEXT) | instid1(VALU_DEP_1)
	v_and_b32_e32 v3, 0xff, v3
	v_cmp_ne_u32_e32 vcc_lo, 0, v3
	s_and_b32 s23, vcc_lo, exec_lo
	s_delay_alu instid0(SALU_CYCLE_1)
	s_or_b32 s21, s21, s23
	s_or_b32 exec_lo, exec_lo, s22
	v_mov_b32_e32 v5, 0
	s_and_saveexec_b32 s22, s21
	s_cbranch_execnz .LBB14_365
	s_branch .LBB14_366
.LBB14_532:
	s_mov_b32 s20, -1
	s_mov_b32 s21, 0
.LBB14_533:
                                        ; implicit-def: $vgpr2
.LBB14_534:
	s_and_b32 vcc_lo, exec_lo, s22
	s_cbranch_vccz .LBB14_538
; %bb.535:
	s_cmp_eq_u32 s0, 44
	s_cbranch_scc0 .LBB14_537
; %bb.536:
	s_wait_loadcnt 0x0
	global_load_u8 v2, v[0:1], off
	s_mov_b32 s20, 0
	s_mov_b32 s21, -1
	s_wait_loadcnt 0x0
	v_lshlrev_b32_e32 v3, 23, v2
	v_cmp_ne_u32_e32 vcc_lo, 0xff, v2
	s_delay_alu instid0(VALU_DEP_2) | instskip(SKIP_1) | instid1(VALU_DEP_2)
	v_cndmask_b32_e32 v3, 0x7f800001, v3, vcc_lo
	v_cmp_ne_u32_e32 vcc_lo, 0, v2
	v_cndmask_b32_e32 v2, 0x400000, v3, vcc_lo
	s_branch .LBB14_538
.LBB14_537:
	s_mov_b32 s20, -1
                                        ; implicit-def: $vgpr2
.LBB14_538:
	s_mov_b32 s22, 0
.LBB14_539:
	s_delay_alu instid0(SALU_CYCLE_1)
	s_and_b32 vcc_lo, exec_lo, s22
	s_cbranch_vccz .LBB14_543
; %bb.540:
	s_cmp_eq_u32 s0, 29
	s_cbranch_scc0 .LBB14_542
; %bb.541:
	s_wait_loadcnt 0x0
	global_load_b64 v[2:3], v[0:1], off
	s_mov_b32 s21, -1
	s_mov_b32 s20, 0
	s_mov_b32 s22, 0
	s_wait_loadcnt 0x0
	v_clz_i32_u32_e32 v5, v3
	s_delay_alu instid0(VALU_DEP_1) | instskip(NEXT) | instid1(VALU_DEP_1)
	v_min_u32_e32 v5, 32, v5
	v_lshlrev_b64_e32 v[2:3], v5, v[2:3]
	s_delay_alu instid0(VALU_DEP_1) | instskip(NEXT) | instid1(VALU_DEP_1)
	v_min_u32_e32 v2, 1, v2
	v_dual_sub_nc_u32 v3, 32, v5 :: v_dual_bitop2_b32 v2, v3, v2 bitop3:0x54
	s_delay_alu instid0(VALU_DEP_1) | instskip(NEXT) | instid1(VALU_DEP_1)
	v_cvt_f32_u32_e32 v2, v2
	v_ldexp_f32 v2, v2, v3
	s_branch .LBB14_544
.LBB14_542:
	s_mov_b32 s20, -1
                                        ; implicit-def: $vgpr2
.LBB14_543:
	s_mov_b32 s22, 0
.LBB14_544:
	s_delay_alu instid0(SALU_CYCLE_1)
	s_and_b32 vcc_lo, exec_lo, s22
	s_cbranch_vccz .LBB14_562
; %bb.545:
	s_cmp_lt_i32 s0, 27
	s_cbranch_scc1 .LBB14_548
; %bb.546:
	s_cmp_gt_i32 s0, 27
	s_cbranch_scc0 .LBB14_549
; %bb.547:
	s_wait_loadcnt 0x0
	global_load_b32 v2, v[0:1], off
	s_mov_b32 s21, 0
	s_wait_loadcnt 0x0
	v_cvt_f32_u32_e32 v2, v2
	s_branch .LBB14_550
.LBB14_548:
	s_mov_b32 s21, -1
                                        ; implicit-def: $vgpr2
	s_branch .LBB14_553
.LBB14_549:
	s_mov_b32 s21, -1
                                        ; implicit-def: $vgpr2
.LBB14_550:
	s_delay_alu instid0(SALU_CYCLE_1)
	s_and_not1_b32 vcc_lo, exec_lo, s21
	s_cbranch_vccnz .LBB14_552
; %bb.551:
	s_wait_loadcnt 0x0
	global_load_u16 v2, v[0:1], off
	s_wait_loadcnt 0x0
	v_cvt_f32_u32_e32 v2, v2
.LBB14_552:
	s_mov_b32 s21, 0
.LBB14_553:
	s_delay_alu instid0(SALU_CYCLE_1)
	s_and_not1_b32 vcc_lo, exec_lo, s21
	s_cbranch_vccnz .LBB14_561
; %bb.554:
	global_load_u8 v3, v[0:1], off
	s_mov_b32 s21, 0
	s_mov_b32 s22, exec_lo
	s_wait_loadcnt 0x0
	v_cmpx_lt_i16_e32 0x7f, v3
	s_xor_b32 s22, exec_lo, s22
	s_cbranch_execz .LBB14_575
; %bb.555:
	s_mov_b32 s21, -1
	s_mov_b32 s23, exec_lo
	v_cmpx_eq_u16_e32 0x80, v3
; %bb.556:
	s_xor_b32 s21, exec_lo, -1
; %bb.557:
	s_or_b32 exec_lo, exec_lo, s23
	s_delay_alu instid0(SALU_CYCLE_1)
	s_and_b32 s21, s21, exec_lo
	s_or_saveexec_b32 s22, s22
	v_mov_b32_e32 v2, 0x7f800001
	s_xor_b32 exec_lo, exec_lo, s22
	s_cbranch_execnz .LBB14_576
.LBB14_558:
	s_or_b32 exec_lo, exec_lo, s22
	s_and_saveexec_b32 s22, s21
	s_cbranch_execz .LBB14_560
.LBB14_559:
	v_and_b32_e32 v2, 0xffff, v3
	s_delay_alu instid0(VALU_DEP_1) | instskip(SKIP_1) | instid1(VALU_DEP_2)
	v_dual_lshlrev_b32 v3, 24, v3 :: v_dual_bitop2_b32 v5, 7, v2 bitop3:0x40
	v_bfe_u32 v8, v2, 3, 4
	v_and_b32_e32 v3, 0x80000000, v3
	s_delay_alu instid0(VALU_DEP_3) | instskip(NEXT) | instid1(VALU_DEP_3)
	v_clz_i32_u32_e32 v6, v5
	v_cmp_eq_u32_e32 vcc_lo, 0, v8
	s_delay_alu instid0(VALU_DEP_2) | instskip(NEXT) | instid1(VALU_DEP_1)
	v_min_u32_e32 v6, 32, v6
	v_subrev_nc_u32_e32 v7, 28, v6
	v_sub_nc_u32_e32 v6, 29, v6
	s_delay_alu instid0(VALU_DEP_2) | instskip(NEXT) | instid1(VALU_DEP_2)
	v_lshlrev_b32_e32 v2, v7, v2
	v_cndmask_b32_e32 v6, v8, v6, vcc_lo
	s_delay_alu instid0(VALU_DEP_2) | instskip(NEXT) | instid1(VALU_DEP_1)
	v_and_b32_e32 v2, 7, v2
	v_cndmask_b32_e32 v2, v5, v2, vcc_lo
	s_delay_alu instid0(VALU_DEP_3) | instskip(NEXT) | instid1(VALU_DEP_2)
	v_lshl_add_u32 v5, v6, 23, 0x3b800000
	v_lshlrev_b32_e32 v2, 20, v2
	s_delay_alu instid0(VALU_DEP_1)
	v_or3_b32 v2, v3, v5, v2
.LBB14_560:
	s_or_b32 exec_lo, exec_lo, s22
.LBB14_561:
	s_mov_b32 s21, -1
.LBB14_562:
	s_mov_b32 s22, 0
.LBB14_563:
	s_delay_alu instid0(SALU_CYCLE_1)
	s_and_b32 vcc_lo, exec_lo, s22
	s_cbranch_vccz .LBB14_598
; %bb.564:
	s_cmp_gt_i32 s0, 22
	s_cbranch_scc0 .LBB14_574
; %bb.565:
	s_cmp_lt_i32 s0, 24
	s_cbranch_scc1 .LBB14_577
; %bb.566:
	s_cmp_gt_i32 s0, 24
	s_cbranch_scc0 .LBB14_578
; %bb.567:
	global_load_u8 v3, v[0:1], off
	s_mov_b32 s21, 0
	s_mov_b32 s22, exec_lo
	s_wait_loadcnt 0x0
	v_cmpx_lt_i16_e32 0x7f, v3
	s_xor_b32 s22, exec_lo, s22
	s_cbranch_execz .LBB14_590
; %bb.568:
	s_mov_b32 s21, -1
	s_mov_b32 s23, exec_lo
	v_cmpx_eq_u16_e32 0x80, v3
; %bb.569:
	s_xor_b32 s21, exec_lo, -1
; %bb.570:
	s_or_b32 exec_lo, exec_lo, s23
	s_delay_alu instid0(SALU_CYCLE_1)
	s_and_b32 s21, s21, exec_lo
	s_or_saveexec_b32 s22, s22
	v_mov_b32_e32 v2, 0x7f800001
	s_xor_b32 exec_lo, exec_lo, s22
	s_cbranch_execnz .LBB14_591
.LBB14_571:
	s_or_b32 exec_lo, exec_lo, s22
	s_and_saveexec_b32 s22, s21
	s_cbranch_execz .LBB14_573
.LBB14_572:
	v_and_b32_e32 v2, 0xffff, v3
	s_delay_alu instid0(VALU_DEP_1) | instskip(SKIP_1) | instid1(VALU_DEP_2)
	v_dual_lshlrev_b32 v3, 24, v3 :: v_dual_bitop2_b32 v5, 3, v2 bitop3:0x40
	v_bfe_u32 v8, v2, 2, 5
	v_and_b32_e32 v3, 0x80000000, v3
	s_delay_alu instid0(VALU_DEP_3) | instskip(NEXT) | instid1(VALU_DEP_3)
	v_clz_i32_u32_e32 v6, v5
	v_cmp_eq_u32_e32 vcc_lo, 0, v8
	s_delay_alu instid0(VALU_DEP_2) | instskip(NEXT) | instid1(VALU_DEP_1)
	v_min_u32_e32 v6, 32, v6
	v_subrev_nc_u32_e32 v7, 29, v6
	v_sub_nc_u32_e32 v6, 30, v6
	s_delay_alu instid0(VALU_DEP_2) | instskip(NEXT) | instid1(VALU_DEP_2)
	v_lshlrev_b32_e32 v2, v7, v2
	v_cndmask_b32_e32 v6, v8, v6, vcc_lo
	s_delay_alu instid0(VALU_DEP_2) | instskip(NEXT) | instid1(VALU_DEP_1)
	v_and_b32_e32 v2, 3, v2
	v_cndmask_b32_e32 v2, v5, v2, vcc_lo
	s_delay_alu instid0(VALU_DEP_3) | instskip(NEXT) | instid1(VALU_DEP_2)
	v_lshl_add_u32 v5, v6, 23, 0x37800000
	v_lshlrev_b32_e32 v2, 21, v2
	s_delay_alu instid0(VALU_DEP_1)
	v_or3_b32 v2, v3, v5, v2
.LBB14_573:
	s_or_b32 exec_lo, exec_lo, s22
	s_mov_b32 s21, 0
	s_branch .LBB14_579
.LBB14_574:
	s_mov_b32 s22, -1
                                        ; implicit-def: $vgpr2
	s_branch .LBB14_585
.LBB14_575:
	s_or_saveexec_b32 s22, s22
	v_mov_b32_e32 v2, 0x7f800001
	s_xor_b32 exec_lo, exec_lo, s22
	s_cbranch_execz .LBB14_558
.LBB14_576:
	v_cmp_ne_u16_e32 vcc_lo, 0, v3
	v_mov_b32_e32 v2, 0
	s_and_not1_b32 s21, s21, exec_lo
	s_and_b32 s23, vcc_lo, exec_lo
	s_delay_alu instid0(SALU_CYCLE_1)
	s_or_b32 s21, s21, s23
	s_or_b32 exec_lo, exec_lo, s22
	s_and_saveexec_b32 s22, s21
	s_cbranch_execnz .LBB14_559
	s_branch .LBB14_560
.LBB14_577:
	s_mov_b32 s21, -1
                                        ; implicit-def: $vgpr2
	s_branch .LBB14_582
.LBB14_578:
	s_mov_b32 s21, -1
                                        ; implicit-def: $vgpr2
.LBB14_579:
	s_delay_alu instid0(SALU_CYCLE_1)
	s_and_b32 vcc_lo, exec_lo, s21
	s_cbranch_vccz .LBB14_581
; %bb.580:
	s_wait_loadcnt 0x0
	global_load_u8 v2, v[0:1], off
	s_wait_loadcnt 0x0
	v_lshlrev_b32_e32 v2, 24, v2
	s_delay_alu instid0(VALU_DEP_1) | instskip(NEXT) | instid1(VALU_DEP_1)
	v_and_b32_e32 v3, 0x7f000000, v2
	v_clz_i32_u32_e32 v5, v3
	v_add_nc_u32_e32 v7, 0x1000000, v3
	v_cmp_ne_u32_e32 vcc_lo, 0, v3
	s_delay_alu instid0(VALU_DEP_3) | instskip(NEXT) | instid1(VALU_DEP_1)
	v_min_u32_e32 v5, 32, v5
	v_sub_nc_u32_e64 v5, v5, 4 clamp
	s_delay_alu instid0(VALU_DEP_1) | instskip(NEXT) | instid1(VALU_DEP_1)
	v_dual_lshlrev_b32 v6, v5, v3 :: v_dual_lshlrev_b32 v5, 23, v5
	v_lshrrev_b32_e32 v6, 4, v6
	s_delay_alu instid0(VALU_DEP_1) | instskip(NEXT) | instid1(VALU_DEP_1)
	v_dual_sub_nc_u32 v5, v6, v5 :: v_dual_ashrrev_i32 v6, 8, v7
	v_add_nc_u32_e32 v5, 0x3c000000, v5
	s_delay_alu instid0(VALU_DEP_1) | instskip(NEXT) | instid1(VALU_DEP_1)
	v_and_or_b32 v5, 0x7f800000, v6, v5
	v_cndmask_b32_e32 v3, 0, v5, vcc_lo
	s_delay_alu instid0(VALU_DEP_1)
	v_and_or_b32 v2, 0x80000000, v2, v3
.LBB14_581:
	s_mov_b32 s21, 0
.LBB14_582:
	s_delay_alu instid0(SALU_CYCLE_1)
	s_and_not1_b32 vcc_lo, exec_lo, s21
	s_cbranch_vccnz .LBB14_584
; %bb.583:
	s_wait_loadcnt 0x0
	global_load_u8 v2, v[0:1], off
	s_wait_loadcnt 0x0
	v_lshlrev_b32_e32 v3, 25, v2
	v_lshlrev_b16 v2, 8, v2
	s_delay_alu instid0(VALU_DEP_2) | instskip(NEXT) | instid1(VALU_DEP_2)
	v_cmp_gt_u32_e32 vcc_lo, 0x8000000, v3
	v_and_or_b32 v6, 0x7f00, v2, 0.5
	v_lshrrev_b32_e32 v5, 4, v3
	v_bfe_i32 v2, v2, 0, 16
	s_delay_alu instid0(VALU_DEP_3) | instskip(NEXT) | instid1(VALU_DEP_3)
	v_add_f32_e32 v6, -0.5, v6
	v_or_b32_e32 v5, 0x70000000, v5
	s_delay_alu instid0(VALU_DEP_1) | instskip(NEXT) | instid1(VALU_DEP_1)
	v_mul_f32_e32 v5, 0x7800000, v5
	v_cndmask_b32_e32 v3, v5, v6, vcc_lo
	s_delay_alu instid0(VALU_DEP_1)
	v_and_or_b32 v2, 0x80000000, v2, v3
.LBB14_584:
	s_mov_b32 s22, 0
	s_mov_b32 s21, -1
.LBB14_585:
	s_and_not1_b32 vcc_lo, exec_lo, s22
	s_cbranch_vccnz .LBB14_598
; %bb.586:
	s_cmp_gt_i32 s0, 14
	s_cbranch_scc0 .LBB14_589
; %bb.587:
	s_cmp_eq_u32 s0, 15
	s_cbranch_scc0 .LBB14_592
; %bb.588:
	s_wait_loadcnt 0x0
	global_load_u16 v2, v[0:1], off
	s_mov_b32 s21, -1
	s_mov_b32 s20, 0
	s_wait_loadcnt 0x0
	v_lshlrev_b32_e32 v2, 16, v2
	s_branch .LBB14_593
.LBB14_589:
	s_mov_b32 s22, -1
                                        ; implicit-def: $vgpr2
	s_branch .LBB14_594
.LBB14_590:
	s_or_saveexec_b32 s22, s22
	v_mov_b32_e32 v2, 0x7f800001
	s_xor_b32 exec_lo, exec_lo, s22
	s_cbranch_execz .LBB14_571
.LBB14_591:
	v_cmp_ne_u16_e32 vcc_lo, 0, v3
	v_mov_b32_e32 v2, 0
	s_and_not1_b32 s21, s21, exec_lo
	s_and_b32 s23, vcc_lo, exec_lo
	s_delay_alu instid0(SALU_CYCLE_1)
	s_or_b32 s21, s21, s23
	s_or_b32 exec_lo, exec_lo, s22
	s_and_saveexec_b32 s22, s21
	s_cbranch_execnz .LBB14_572
	s_branch .LBB14_573
.LBB14_592:
	s_mov_b32 s20, -1
                                        ; implicit-def: $vgpr2
.LBB14_593:
	s_mov_b32 s22, 0
.LBB14_594:
	s_delay_alu instid0(SALU_CYCLE_1)
	s_and_b32 vcc_lo, exec_lo, s22
	s_cbranch_vccz .LBB14_598
; %bb.595:
	s_cmp_eq_u32 s0, 11
	s_cbranch_scc0 .LBB14_597
; %bb.596:
	s_wait_loadcnt 0x0
	global_load_u8 v2, v[0:1], off
	s_mov_b32 s20, 0
	s_mov_b32 s21, -1
	s_wait_loadcnt 0x0
	v_cmp_ne_u16_e32 vcc_lo, 0, v2
	v_cndmask_b32_e64 v2, 0, 1.0, vcc_lo
	s_branch .LBB14_598
.LBB14_597:
	s_mov_b32 s20, -1
                                        ; implicit-def: $vgpr2
.LBB14_598:
	s_mov_b32 s22, 0
.LBB14_599:
	s_delay_alu instid0(SALU_CYCLE_1)
	s_and_b32 vcc_lo, exec_lo, s22
	s_cbranch_vccz .LBB14_648
; %bb.600:
	s_cmp_lt_i32 s0, 5
	s_cbranch_scc1 .LBB14_605
; %bb.601:
	s_cmp_lt_i32 s0, 8
	s_cbranch_scc1 .LBB14_606
	;; [unrolled: 3-line block ×3, first 2 shown]
; %bb.603:
	s_cmp_gt_i32 s0, 9
	s_cbranch_scc0 .LBB14_608
; %bb.604:
	s_wait_loadcnt 0x0
	global_load_b64 v[2:3], v[0:1], off
	s_mov_b32 s21, 0
	s_wait_loadcnt 0x0
	v_cvt_f32_f64_e32 v2, v[2:3]
	s_branch .LBB14_609
.LBB14_605:
	s_mov_b32 s21, -1
                                        ; implicit-def: $vgpr2
	s_branch .LBB14_627
.LBB14_606:
	s_mov_b32 s21, -1
                                        ; implicit-def: $vgpr2
	s_branch .LBB14_615
.LBB14_607:
	s_mov_b32 s21, -1
                                        ; implicit-def: $vgpr2
	s_branch .LBB14_612
.LBB14_608:
	s_mov_b32 s21, -1
                                        ; implicit-def: $vgpr2
.LBB14_609:
	s_delay_alu instid0(SALU_CYCLE_1)
	s_and_not1_b32 vcc_lo, exec_lo, s21
	s_cbranch_vccnz .LBB14_611
; %bb.610:
	s_wait_loadcnt 0x0
	global_load_b32 v2, v[0:1], off
.LBB14_611:
	s_mov_b32 s21, 0
.LBB14_612:
	s_delay_alu instid0(SALU_CYCLE_1)
	s_and_not1_b32 vcc_lo, exec_lo, s21
	s_cbranch_vccnz .LBB14_614
; %bb.613:
	s_wait_loadcnt 0x0
	global_load_b32 v2, v[0:1], off
	s_wait_loadcnt 0x0
	v_cvt_f32_f16_e32 v2, v2
.LBB14_614:
	s_mov_b32 s21, 0
.LBB14_615:
	s_delay_alu instid0(SALU_CYCLE_1)
	s_and_not1_b32 vcc_lo, exec_lo, s21
	s_cbranch_vccnz .LBB14_626
; %bb.616:
	s_cmp_lt_i32 s0, 6
	s_cbranch_scc1 .LBB14_619
; %bb.617:
	s_cmp_gt_i32 s0, 6
	s_cbranch_scc0 .LBB14_620
; %bb.618:
	s_wait_loadcnt 0x0
	global_load_b64 v[2:3], v[0:1], off
	s_mov_b32 s21, 0
	s_wait_loadcnt 0x0
	v_cvt_f32_f64_e32 v2, v[2:3]
	s_branch .LBB14_621
.LBB14_619:
	s_mov_b32 s21, -1
                                        ; implicit-def: $vgpr2
	s_branch .LBB14_624
.LBB14_620:
	s_mov_b32 s21, -1
                                        ; implicit-def: $vgpr2
.LBB14_621:
	s_delay_alu instid0(SALU_CYCLE_1)
	s_and_not1_b32 vcc_lo, exec_lo, s21
	s_cbranch_vccnz .LBB14_623
; %bb.622:
	s_wait_loadcnt 0x0
	global_load_b32 v2, v[0:1], off
.LBB14_623:
	s_mov_b32 s21, 0
.LBB14_624:
	s_delay_alu instid0(SALU_CYCLE_1)
	s_and_not1_b32 vcc_lo, exec_lo, s21
	s_cbranch_vccnz .LBB14_626
; %bb.625:
	s_wait_loadcnt 0x0
	global_load_u16 v2, v[0:1], off
	s_wait_loadcnt 0x0
	v_cvt_f32_f16_e32 v2, v2
.LBB14_626:
	s_mov_b32 s21, 0
.LBB14_627:
	s_delay_alu instid0(SALU_CYCLE_1)
	s_and_not1_b32 vcc_lo, exec_lo, s21
	s_cbranch_vccnz .LBB14_647
; %bb.628:
	s_cmp_lt_i32 s0, 2
	s_cbranch_scc1 .LBB14_632
; %bb.629:
	s_cmp_lt_i32 s0, 3
	s_cbranch_scc1 .LBB14_633
; %bb.630:
	s_cmp_gt_i32 s0, 3
	s_cbranch_scc0 .LBB14_634
; %bb.631:
	s_wait_loadcnt 0x0
	global_load_b64 v[2:3], v[0:1], off
	s_mov_b32 s21, 0
	s_wait_loadcnt 0x0
	v_xor_b32_e32 v5, v2, v3
	v_cls_i32_e32 v6, v3
	s_delay_alu instid0(VALU_DEP_2) | instskip(NEXT) | instid1(VALU_DEP_1)
	v_ashrrev_i32_e32 v5, 31, v5
	v_add_nc_u32_e32 v5, 32, v5
	s_delay_alu instid0(VALU_DEP_1) | instskip(NEXT) | instid1(VALU_DEP_1)
	v_add_min_u32_e64 v5, v6, -1, v5
	v_lshlrev_b64_e32 v[2:3], v5, v[2:3]
	s_delay_alu instid0(VALU_DEP_1) | instskip(NEXT) | instid1(VALU_DEP_1)
	v_min_u32_e32 v2, 1, v2
	v_dual_sub_nc_u32 v3, 32, v5 :: v_dual_bitop2_b32 v2, v3, v2 bitop3:0x54
	s_delay_alu instid0(VALU_DEP_1) | instskip(NEXT) | instid1(VALU_DEP_1)
	v_cvt_f32_i32_e32 v2, v2
	v_ldexp_f32 v2, v2, v3
	s_branch .LBB14_635
.LBB14_632:
	s_mov_b32 s21, -1
                                        ; implicit-def: $vgpr2
	s_branch .LBB14_641
.LBB14_633:
	s_mov_b32 s21, -1
                                        ; implicit-def: $vgpr2
	s_branch .LBB14_638
.LBB14_634:
	s_mov_b32 s21, -1
                                        ; implicit-def: $vgpr2
.LBB14_635:
	s_delay_alu instid0(SALU_CYCLE_1)
	s_and_not1_b32 vcc_lo, exec_lo, s21
	s_cbranch_vccnz .LBB14_637
; %bb.636:
	s_wait_loadcnt 0x0
	global_load_b32 v2, v[0:1], off
	s_wait_loadcnt 0x0
	v_cvt_f32_i32_e32 v2, v2
.LBB14_637:
	s_mov_b32 s21, 0
.LBB14_638:
	s_delay_alu instid0(SALU_CYCLE_1)
	s_and_not1_b32 vcc_lo, exec_lo, s21
	s_cbranch_vccnz .LBB14_640
; %bb.639:
	s_wait_loadcnt 0x0
	global_load_i16 v2, v[0:1], off
	s_wait_loadcnt 0x0
	v_cvt_f32_i32_e32 v2, v2
.LBB14_640:
	s_mov_b32 s21, 0
.LBB14_641:
	s_delay_alu instid0(SALU_CYCLE_1)
	s_and_not1_b32 vcc_lo, exec_lo, s21
	s_cbranch_vccnz .LBB14_647
; %bb.642:
	s_cmp_gt_i32 s0, 0
	s_mov_b32 s0, 0
	s_cbranch_scc0 .LBB14_644
; %bb.643:
	s_wait_loadcnt 0x0
	global_load_i8 v2, v[0:1], off
	s_wait_loadcnt 0x0
	v_cvt_f32_i32_e32 v2, v2
	s_branch .LBB14_645
.LBB14_644:
	s_mov_b32 s0, -1
                                        ; implicit-def: $vgpr2
.LBB14_645:
	s_delay_alu instid0(SALU_CYCLE_1)
	s_and_not1_b32 vcc_lo, exec_lo, s0
	s_cbranch_vccnz .LBB14_647
; %bb.646:
	global_load_u8 v0, v[0:1], off
	s_wait_loadcnt 0x0
	v_cvt_f32_ubyte0_e32 v2, v0
.LBB14_647:
	s_mov_b32 s21, -1
.LBB14_648:
	s_delay_alu instid0(SALU_CYCLE_1)
	s_and_not1_b32 vcc_lo, exec_lo, s21
	s_cbranch_vccnz .LBB14_656
; %bb.649:
	s_wait_xcnt 0x0
	v_mul_lo_u32 v0, v4, s8
	s_wait_loadcnt 0x0
	s_delay_alu instid0(VALU_DEP_2)
	v_cmp_nge_f32_e64 s0, v2, -s10
	v_cmp_nge_f32_e32 vcc_lo, s10, v2
	s_and_b32 s21, s11, 0xff
	s_mov_b32 s23, 0
	s_mov_b32 s22, -1
	s_or_b32 vcc_lo, s0, vcc_lo
	s_cmp_lt_i32 s21, 11
	s_mov_b32 s0, s17
	v_dual_cndmask_b32 v2, 0, v2 :: v_dual_ashrrev_i32 v1, 31, v0
	s_delay_alu instid0(VALU_DEP_1)
	v_add_nc_u64_e32 v[0:1], s[4:5], v[0:1]
	s_cbranch_scc1 .LBB14_657
; %bb.650:
	s_and_b32 s22, 0xffff, s21
	s_delay_alu instid0(SALU_CYCLE_1)
	s_cmp_gt_i32 s22, 25
	s_cbranch_scc0 .LBB14_698
; %bb.651:
	s_cmp_gt_i32 s22, 28
	s_cbranch_scc0 .LBB14_699
; %bb.652:
	;; [unrolled: 3-line block ×4, first 2 shown]
	s_mov_b32 s24, 0
	s_mov_b32 s0, -1
	s_cmp_eq_u32 s22, 46
	s_cbranch_scc0 .LBB14_702
; %bb.655:
	v_bfe_u32 v3, v2, 16, 1
	v_cmp_o_f32_e32 vcc_lo, v2, v2
	s_mov_b32 s23, -1
	s_mov_b32 s0, 0
	s_delay_alu instid0(VALU_DEP_2) | instskip(NEXT) | instid1(VALU_DEP_1)
	v_add3_u32 v3, v2, v3, 0x7fff
	v_lshrrev_b32_e32 v3, 16, v3
	s_delay_alu instid0(VALU_DEP_1)
	v_cndmask_b32_e32 v3, 0x7fc0, v3, vcc_lo
	global_store_b32 v[0:1], v3, off
	s_branch .LBB14_702
.LBB14_656:
	s_mov_b32 s21, 0
	s_mov_b32 s0, s17
	s_branch .LBB14_697
.LBB14_657:
	s_and_b32 vcc_lo, exec_lo, s22
	s_cbranch_vccz .LBB14_771
; %bb.658:
	s_and_b32 s21, 0xffff, s21
	s_mov_b32 s22, -1
	s_cmp_lt_i32 s21, 5
	s_cbranch_scc1 .LBB14_679
; %bb.659:
	s_cmp_lt_i32 s21, 8
	s_cbranch_scc1 .LBB14_669
; %bb.660:
	;; [unrolled: 3-line block ×3, first 2 shown]
	s_cmp_gt_i32 s21, 9
	s_cbranch_scc0 .LBB14_663
; %bb.662:
	s_wait_xcnt 0x0
	v_cvt_f64_f32_e32 v[6:7], v2
	v_mov_b32_e32 v8, 0
	s_mov_b32 s22, 0
	s_delay_alu instid0(VALU_DEP_1)
	v_mov_b32_e32 v9, v8
	global_store_b128 v[0:1], v[6:9], off
.LBB14_663:
	s_and_not1_b32 vcc_lo, exec_lo, s22
	s_cbranch_vccnz .LBB14_665
; %bb.664:
	s_wait_xcnt 0x0
	v_mov_b32_e32 v3, 0
	global_store_b64 v[0:1], v[2:3], off
.LBB14_665:
	s_mov_b32 s22, 0
.LBB14_666:
	s_delay_alu instid0(SALU_CYCLE_1)
	s_and_not1_b32 vcc_lo, exec_lo, s22
	s_cbranch_vccnz .LBB14_668
; %bb.667:
	s_wait_xcnt 0x0
	v_cvt_f16_f32_e32 v3, v2
	s_delay_alu instid0(VALU_DEP_1)
	v_and_b32_e32 v3, 0xffff, v3
	global_store_b32 v[0:1], v3, off
.LBB14_668:
	s_mov_b32 s22, 0
.LBB14_669:
	s_delay_alu instid0(SALU_CYCLE_1)
	s_and_not1_b32 vcc_lo, exec_lo, s22
	s_cbranch_vccnz .LBB14_678
; %bb.670:
	s_cmp_lt_i32 s21, 6
	s_mov_b32 s22, -1
	s_cbranch_scc1 .LBB14_676
; %bb.671:
	s_cmp_gt_i32 s21, 6
	s_cbranch_scc0 .LBB14_673
; %bb.672:
	s_wait_xcnt 0x0
	v_cvt_f64_f32_e32 v[6:7], v2
	s_mov_b32 s22, 0
	global_store_b64 v[0:1], v[6:7], off
.LBB14_673:
	s_and_not1_b32 vcc_lo, exec_lo, s22
	s_cbranch_vccnz .LBB14_675
; %bb.674:
	global_store_b32 v[0:1], v2, off
.LBB14_675:
	s_mov_b32 s22, 0
.LBB14_676:
	s_delay_alu instid0(SALU_CYCLE_1)
	s_and_not1_b32 vcc_lo, exec_lo, s22
	s_cbranch_vccnz .LBB14_678
; %bb.677:
	s_wait_xcnt 0x0
	v_cvt_f16_f32_e32 v3, v2
	global_store_b16 v[0:1], v3, off
.LBB14_678:
	s_mov_b32 s22, 0
.LBB14_679:
	s_delay_alu instid0(SALU_CYCLE_1)
	s_and_not1_b32 vcc_lo, exec_lo, s22
	s_cbranch_vccnz .LBB14_695
; %bb.680:
	s_cmp_lt_i32 s21, 2
	s_mov_b32 s22, -1
	s_cbranch_scc1 .LBB14_690
; %bb.681:
	s_cmp_lt_i32 s21, 3
	s_cbranch_scc1 .LBB14_687
; %bb.682:
	s_cmp_gt_i32 s21, 3
	s_cbranch_scc0 .LBB14_684
; %bb.683:
	s_wait_xcnt 0x0
	v_trunc_f32_e32 v3, v2
	s_mov_b32 s22, 0
	s_delay_alu instid0(VALU_DEP_1) | instskip(SKIP_1) | instid1(VALU_DEP_2)
	v_mul_f32_e64 v5, 0x2f800000, |v3|
	v_ashrrev_i32_e32 v6, 31, v3
	v_floor_f32_e32 v5, v5
	s_delay_alu instid0(VALU_DEP_1) | instskip(SKIP_1) | instid1(VALU_DEP_2)
	v_fma_f32 v7, 0xcf800000, v5, |v3|
	v_cvt_u32_f32_e32 v3, v5
	v_cvt_u32_f32_e32 v5, v7
	s_delay_alu instid0(VALU_DEP_2) | instskip(NEXT) | instid1(VALU_DEP_2)
	v_dual_mov_b32 v7, v6 :: v_dual_bitop2_b32 v9, v3, v6 bitop3:0x14
	v_xor_b32_e32 v8, v5, v6
	s_delay_alu instid0(VALU_DEP_1)
	v_sub_nc_u64_e32 v[6:7], v[8:9], v[6:7]
	global_store_b64 v[0:1], v[6:7], off
.LBB14_684:
	s_and_not1_b32 vcc_lo, exec_lo, s22
	s_cbranch_vccnz .LBB14_686
; %bb.685:
	s_wait_xcnt 0x0
	v_cvt_i32_f32_e32 v3, v2
	global_store_b32 v[0:1], v3, off
.LBB14_686:
	s_mov_b32 s22, 0
.LBB14_687:
	s_delay_alu instid0(SALU_CYCLE_1)
	s_and_not1_b32 vcc_lo, exec_lo, s22
	s_cbranch_vccnz .LBB14_689
; %bb.688:
	s_wait_xcnt 0x0
	v_cvt_i32_f32_e32 v3, v2
	global_store_b16 v[0:1], v3, off
.LBB14_689:
	s_mov_b32 s22, 0
.LBB14_690:
	s_delay_alu instid0(SALU_CYCLE_1)
	s_and_not1_b32 vcc_lo, exec_lo, s22
	s_cbranch_vccnz .LBB14_695
; %bb.691:
	s_cmp_gt_i32 s21, 0
	s_mov_b32 s21, -1
	s_cbranch_scc0 .LBB14_693
; %bb.692:
	s_wait_xcnt 0x0
	v_cvt_i32_f32_e32 v3, v2
	s_mov_b32 s21, 0
	global_store_b8 v[0:1], v3, off
.LBB14_693:
	s_and_not1_b32 vcc_lo, exec_lo, s21
	s_cbranch_vccnz .LBB14_695
; %bb.694:
	s_wait_xcnt 0x0
	v_trunc_f32_e32 v2, v2
	s_delay_alu instid0(VALU_DEP_1) | instskip(NEXT) | instid1(VALU_DEP_1)
	v_mul_f32_e64 v3, 0x2f800000, |v2|
	v_floor_f32_e32 v3, v3
	s_delay_alu instid0(VALU_DEP_1) | instskip(SKIP_1) | instid1(VALU_DEP_2)
	v_fma_f32 v3, 0xcf800000, v3, |v2|
	v_ashrrev_i32_e32 v2, 31, v2
	v_cvt_u32_f32_e32 v3, v3
	s_delay_alu instid0(VALU_DEP_1) | instskip(NEXT) | instid1(VALU_DEP_1)
	v_xor_b32_e32 v3, v3, v2
	v_sub_nc_u32_e32 v2, v3, v2
	global_store_b8 v[0:1], v2, off
.LBB14_695:
	s_branch .LBB14_772
.LBB14_696:
	s_mov_b32 s21, 0
.LBB14_697:
                                        ; implicit-def: $vgpr4
	s_branch .LBB14_773
.LBB14_698:
	s_mov_b32 s24, -1
	s_mov_b32 s0, s17
	s_branch .LBB14_729
.LBB14_699:
	s_mov_b32 s24, -1
	s_mov_b32 s0, s17
	s_branch .LBB14_712
.LBB14_700:
	s_mov_b32 s24, -1
	s_mov_b32 s0, s17
	s_branch .LBB14_708
.LBB14_701:
	s_mov_b32 s24, -1
	s_mov_b32 s0, s17
.LBB14_702:
	s_and_b32 vcc_lo, exec_lo, s24
	s_cbranch_vccz .LBB14_707
; %bb.703:
	s_cmp_eq_u32 s22, 44
	s_mov_b32 s0, -1
	s_cbranch_scc0 .LBB14_707
; %bb.704:
	v_bfe_u32 v5, v2, 23, 8
	s_wait_xcnt 0x0
	v_mov_b32_e32 v3, 0xff
	s_mov_b32 s23, exec_lo
	s_delay_alu instid0(VALU_DEP_2)
	v_cmpx_ne_u32_e32 0xff, v5
	s_cbranch_execz .LBB14_706
; %bb.705:
	v_and_b32_e32 v3, 0x400000, v2
	v_and_or_b32 v5, 0x3fffff, v2, v5
	s_delay_alu instid0(VALU_DEP_2) | instskip(NEXT) | instid1(VALU_DEP_2)
	v_cmp_ne_u32_e32 vcc_lo, 0, v3
	v_cmp_ne_u32_e64 s0, 0, v5
	v_lshrrev_b32_e32 v3, 23, v2
	s_and_b32 s0, vcc_lo, s0
	s_delay_alu instid0(SALU_CYCLE_1) | instskip(NEXT) | instid1(VALU_DEP_1)
	v_cndmask_b32_e64 v5, 0, 1, s0
	v_add_nc_u32_e32 v3, v3, v5
.LBB14_706:
	s_or_b32 exec_lo, exec_lo, s23
	s_mov_b32 s23, -1
	s_mov_b32 s0, 0
	global_store_b8 v[0:1], v3, off
.LBB14_707:
	s_mov_b32 s24, 0
.LBB14_708:
	s_delay_alu instid0(SALU_CYCLE_1)
	s_and_b32 vcc_lo, exec_lo, s24
	s_cbranch_vccz .LBB14_711
; %bb.709:
	s_cmp_eq_u32 s22, 29
	s_mov_b32 s0, -1
	s_cbranch_scc0 .LBB14_711
; %bb.710:
	s_wait_xcnt 0x0
	v_trunc_f32_e32 v3, v2
	s_mov_b32 s23, -1
	s_mov_b32 s0, 0
	s_mov_b32 s24, 0
	s_delay_alu instid0(VALU_DEP_1) | instskip(NEXT) | instid1(VALU_DEP_1)
	v_mul_f32_e32 v5, 0x2f800000, v3
	v_floor_f32_e32 v5, v5
	s_delay_alu instid0(VALU_DEP_1) | instskip(SKIP_1) | instid1(VALU_DEP_2)
	v_fmamk_f32 v3, v5, 0xcf800000, v3
	v_cvt_u32_f32_e32 v7, v5
	v_cvt_u32_f32_e32 v6, v3
	global_store_b64 v[0:1], v[6:7], off
	s_branch .LBB14_712
.LBB14_711:
	s_mov_b32 s24, 0
.LBB14_712:
	s_delay_alu instid0(SALU_CYCLE_1)
	s_and_b32 vcc_lo, exec_lo, s24
	s_cbranch_vccz .LBB14_728
; %bb.713:
	s_cmp_lt_i32 s22, 27
	s_mov_b32 s23, -1
	s_cbranch_scc1 .LBB14_719
; %bb.714:
	s_wait_xcnt 0x0
	v_cvt_u32_f32_e32 v3, v2
	s_cmp_gt_i32 s22, 27
	s_cbranch_scc0 .LBB14_716
; %bb.715:
	s_mov_b32 s23, 0
	global_store_b32 v[0:1], v3, off
.LBB14_716:
	s_and_not1_b32 vcc_lo, exec_lo, s23
	s_cbranch_vccnz .LBB14_718
; %bb.717:
	global_store_b16 v[0:1], v3, off
.LBB14_718:
	s_mov_b32 s23, 0
.LBB14_719:
	s_delay_alu instid0(SALU_CYCLE_1)
	s_and_not1_b32 vcc_lo, exec_lo, s23
	s_cbranch_vccnz .LBB14_727
; %bb.720:
	s_wait_xcnt 0x0
	v_and_b32_e32 v3, 0x7fffffff, v2
	v_mov_b32_e32 v5, 0x80
	s_mov_b32 s23, exec_lo
	s_delay_alu instid0(VALU_DEP_2)
	v_cmpx_gt_u32_e32 0x43800000, v3
	s_cbranch_execz .LBB14_726
; %bb.721:
	v_cmp_lt_u32_e32 vcc_lo, 0x3bffffff, v3
	s_mov_b32 s24, 0
                                        ; implicit-def: $vgpr3
	s_and_saveexec_b32 s25, vcc_lo
	s_delay_alu instid0(SALU_CYCLE_1)
	s_xor_b32 s25, exec_lo, s25
	s_cbranch_execz .LBB14_787
; %bb.722:
	v_bfe_u32 v3, v2, 20, 1
	s_mov_b32 s24, exec_lo
	s_delay_alu instid0(VALU_DEP_1) | instskip(NEXT) | instid1(VALU_DEP_1)
	v_add3_u32 v3, v2, v3, 0x487ffff
	v_lshrrev_b32_e32 v3, 20, v3
	s_and_not1_saveexec_b32 s25, s25
	s_cbranch_execnz .LBB14_788
.LBB14_723:
	s_or_b32 exec_lo, exec_lo, s25
	v_mov_b32_e32 v5, 0
	s_and_saveexec_b32 s25, s24
.LBB14_724:
	v_lshrrev_b32_e32 v5, 24, v2
	s_delay_alu instid0(VALU_DEP_1)
	v_and_or_b32 v5, 0x80, v5, v3
.LBB14_725:
	s_or_b32 exec_lo, exec_lo, s25
.LBB14_726:
	s_delay_alu instid0(SALU_CYCLE_1)
	s_or_b32 exec_lo, exec_lo, s23
	global_store_b8 v[0:1], v5, off
.LBB14_727:
	s_mov_b32 s23, -1
.LBB14_728:
	s_mov_b32 s24, 0
.LBB14_729:
	s_delay_alu instid0(SALU_CYCLE_1)
	s_and_b32 vcc_lo, exec_lo, s24
	s_cbranch_vccz .LBB14_770
; %bb.730:
	s_cmp_gt_i32 s22, 22
	s_mov_b32 s24, -1
	s_cbranch_scc0 .LBB14_762
; %bb.731:
	s_cmp_lt_i32 s22, 24
	s_mov_b32 s23, -1
	s_cbranch_scc1 .LBB14_751
; %bb.732:
	s_cmp_gt_i32 s22, 24
	s_cbranch_scc0 .LBB14_740
; %bb.733:
	s_wait_xcnt 0x0
	v_and_b32_e32 v3, 0x7fffffff, v2
	v_mov_b32_e32 v5, 0x80
	s_mov_b32 s23, exec_lo
	s_delay_alu instid0(VALU_DEP_2)
	v_cmpx_gt_u32_e32 0x47800000, v3
	s_cbranch_execz .LBB14_739
; %bb.734:
	v_cmp_lt_u32_e32 vcc_lo, 0x37ffffff, v3
	s_mov_b32 s24, 0
                                        ; implicit-def: $vgpr3
	s_and_saveexec_b32 s25, vcc_lo
	s_delay_alu instid0(SALU_CYCLE_1)
	s_xor_b32 s25, exec_lo, s25
	s_cbranch_execz .LBB14_790
; %bb.735:
	v_bfe_u32 v3, v2, 21, 1
	s_mov_b32 s24, exec_lo
	s_delay_alu instid0(VALU_DEP_1) | instskip(NEXT) | instid1(VALU_DEP_1)
	v_add3_u32 v3, v2, v3, 0x88fffff
	v_lshrrev_b32_e32 v3, 21, v3
	s_and_not1_saveexec_b32 s25, s25
	s_cbranch_execnz .LBB14_791
.LBB14_736:
	s_or_b32 exec_lo, exec_lo, s25
	v_mov_b32_e32 v5, 0
	s_and_saveexec_b32 s25, s24
.LBB14_737:
	v_lshrrev_b32_e32 v5, 24, v2
	s_delay_alu instid0(VALU_DEP_1)
	v_and_or_b32 v5, 0x80, v5, v3
.LBB14_738:
	s_or_b32 exec_lo, exec_lo, s25
.LBB14_739:
	s_delay_alu instid0(SALU_CYCLE_1)
	s_or_b32 exec_lo, exec_lo, s23
	s_mov_b32 s23, 0
	global_store_b8 v[0:1], v5, off
.LBB14_740:
	s_and_b32 vcc_lo, exec_lo, s23
	s_cbranch_vccz .LBB14_750
; %bb.741:
	s_wait_xcnt 0x0
	v_and_b32_e32 v5, 0x7fffffff, v2
	s_mov_b32 s23, exec_lo
                                        ; implicit-def: $vgpr3
	s_delay_alu instid0(VALU_DEP_1)
	v_cmpx_gt_u32_e32 0x43f00000, v5
	s_xor_b32 s23, exec_lo, s23
	s_cbranch_execz .LBB14_747
; %bb.742:
	s_mov_b32 s24, exec_lo
                                        ; implicit-def: $vgpr3
	v_cmpx_lt_u32_e32 0x3c7fffff, v5
	s_xor_b32 s24, exec_lo, s24
; %bb.743:
	v_bfe_u32 v3, v2, 20, 1
	s_delay_alu instid0(VALU_DEP_1) | instskip(NEXT) | instid1(VALU_DEP_1)
	v_add3_u32 v3, v2, v3, 0x407ffff
	v_and_b32_e32 v5, 0xff00000, v3
	v_lshrrev_b32_e32 v3, 20, v3
	s_delay_alu instid0(VALU_DEP_2) | instskip(NEXT) | instid1(VALU_DEP_2)
	v_cmp_ne_u32_e32 vcc_lo, 0x7f00000, v5
	v_cndmask_b32_e32 v3, 0x7e, v3, vcc_lo
; %bb.744:
	s_and_not1_saveexec_b32 s24, s24
; %bb.745:
	v_add_f32_e64 v3, 0x46800000, |v2|
; %bb.746:
	s_or_b32 exec_lo, exec_lo, s24
                                        ; implicit-def: $vgpr5
.LBB14_747:
	s_and_not1_saveexec_b32 s23, s23
; %bb.748:
	v_mov_b32_e32 v3, 0x7f
	v_cmp_lt_u32_e32 vcc_lo, 0x7f800000, v5
	s_delay_alu instid0(VALU_DEP_2)
	v_cndmask_b32_e32 v3, 0x7e, v3, vcc_lo
; %bb.749:
	s_or_b32 exec_lo, exec_lo, s23
	v_lshrrev_b32_e32 v5, 24, v2
	s_delay_alu instid0(VALU_DEP_1)
	v_and_or_b32 v3, 0x80, v5, v3
	global_store_b8 v[0:1], v3, off
.LBB14_750:
	s_mov_b32 s23, 0
.LBB14_751:
	s_delay_alu instid0(SALU_CYCLE_1)
	s_and_not1_b32 vcc_lo, exec_lo, s23
	s_cbranch_vccnz .LBB14_761
; %bb.752:
	s_wait_xcnt 0x0
	v_and_b32_e32 v5, 0x7fffffff, v2
	s_mov_b32 s23, exec_lo
                                        ; implicit-def: $vgpr3
	s_delay_alu instid0(VALU_DEP_1)
	v_cmpx_gt_u32_e32 0x47800000, v5
	s_xor_b32 s23, exec_lo, s23
	s_cbranch_execz .LBB14_758
; %bb.753:
	s_mov_b32 s24, exec_lo
                                        ; implicit-def: $vgpr3
	v_cmpx_lt_u32_e32 0x387fffff, v5
	s_xor_b32 s24, exec_lo, s24
; %bb.754:
	v_bfe_u32 v3, v2, 21, 1
	s_delay_alu instid0(VALU_DEP_1) | instskip(NEXT) | instid1(VALU_DEP_1)
	v_add3_u32 v3, v2, v3, 0x80fffff
	v_lshrrev_b32_e32 v3, 21, v3
; %bb.755:
	s_and_not1_saveexec_b32 s24, s24
; %bb.756:
	v_add_f32_e64 v3, 0x43000000, |v2|
; %bb.757:
	s_or_b32 exec_lo, exec_lo, s24
                                        ; implicit-def: $vgpr5
.LBB14_758:
	s_and_not1_saveexec_b32 s23, s23
; %bb.759:
	v_mov_b32_e32 v3, 0x7f
	v_cmp_lt_u32_e32 vcc_lo, 0x7f800000, v5
	s_delay_alu instid0(VALU_DEP_2)
	v_cndmask_b32_e32 v3, 0x7c, v3, vcc_lo
; %bb.760:
	s_or_b32 exec_lo, exec_lo, s23
	v_lshrrev_b32_e32 v5, 24, v2
	s_delay_alu instid0(VALU_DEP_1)
	v_and_or_b32 v3, 0x80, v5, v3
	global_store_b8 v[0:1], v3, off
.LBB14_761:
	s_mov_b32 s24, 0
	s_mov_b32 s23, -1
.LBB14_762:
	s_and_not1_b32 vcc_lo, exec_lo, s24
	s_cbranch_vccnz .LBB14_770
; %bb.763:
	s_cmp_gt_i32 s22, 14
	s_mov_b32 s24, -1
	s_cbranch_scc0 .LBB14_767
; %bb.764:
	s_cmp_eq_u32 s22, 15
	s_mov_b32 s0, -1
	s_cbranch_scc0 .LBB14_766
; %bb.765:
	s_wait_xcnt 0x0
	v_bfe_u32 v3, v2, 16, 1
	v_cmp_o_f32_e32 vcc_lo, v2, v2
	s_mov_b32 s23, -1
	s_mov_b32 s0, 0
	s_delay_alu instid0(VALU_DEP_2) | instskip(NEXT) | instid1(VALU_DEP_1)
	v_add3_u32 v3, v2, v3, 0x7fff
	v_lshrrev_b32_e32 v3, 16, v3
	s_delay_alu instid0(VALU_DEP_1)
	v_cndmask_b32_e32 v3, 0x7fc0, v3, vcc_lo
	global_store_b16 v[0:1], v3, off
.LBB14_766:
	s_mov_b32 s24, 0
.LBB14_767:
	s_delay_alu instid0(SALU_CYCLE_1)
	s_and_b32 vcc_lo, exec_lo, s24
	s_cbranch_vccz .LBB14_770
; %bb.768:
	s_cmp_eq_u32 s22, 11
	s_mov_b32 s0, -1
	s_cbranch_scc0 .LBB14_770
; %bb.769:
	v_cmp_neq_f32_e32 vcc_lo, 0, v2
	s_mov_b32 s0, 0
	s_mov_b32 s23, -1
	s_wait_xcnt 0x0
	v_cndmask_b32_e64 v3, 0, 1, vcc_lo
	global_store_b8 v[0:1], v3, off
.LBB14_770:
.LBB14_771:
	s_and_not1_b32 vcc_lo, exec_lo, s23
	s_cbranch_vccnz .LBB14_696
.LBB14_772:
	v_add_nc_u32_e32 v4, 0x80, v4
	s_mov_b32 s21, -1
.LBB14_773:
	s_and_not1_b32 s22, s17, exec_lo
	s_and_b32 s0, s0, exec_lo
	s_and_not1_b32 s23, s16, exec_lo
	s_and_b32 s24, s20, exec_lo
	s_or_b32 s20, s22, s0
	s_or_b32 s0, s23, s24
	s_or_not1_b32 s21, s21, exec_lo
.LBB14_774:
	s_wait_xcnt 0x0
	s_or_b32 exec_lo, exec_lo, s19
	s_mov_b32 s22, 0
	s_mov_b32 s23, 0
	;; [unrolled: 1-line block ×3, first 2 shown]
                                        ; implicit-def: $vgpr0_vgpr1
                                        ; implicit-def: $vgpr3
	s_and_saveexec_b32 s19, s21
	s_cbranch_execz .LBB14_859
; %bb.775:
	v_cmp_gt_i32_e32 vcc_lo, s13, v4
	s_mov_b32 s21, 0
	s_mov_b32 s22, s0
	;; [unrolled: 1-line block ×3, first 2 shown]
                                        ; implicit-def: $vgpr0_vgpr1
                                        ; implicit-def: $vgpr3
	s_and_saveexec_b32 s13, vcc_lo
	s_cbranch_execz .LBB14_858
; %bb.776:
	v_mul_lo_u32 v0, v4, s9
	s_and_b32 s21, 0xffff, s2
	s_delay_alu instid0(SALU_CYCLE_1) | instskip(NEXT) | instid1(VALU_DEP_1)
	s_cmp_lt_i32 s21, 11
	v_ashrrev_i32_e32 v1, 31, v0
	s_delay_alu instid0(VALU_DEP_1)
	v_add_nc_u64_e32 v[0:1], s[6:7], v[0:1]
	s_cbranch_scc1 .LBB14_783
; %bb.777:
	s_cmp_gt_i32 s21, 25
	s_cbranch_scc0 .LBB14_784
; %bb.778:
	s_cmp_gt_i32 s21, 28
	s_cbranch_scc0 .LBB14_785
	;; [unrolled: 3-line block ×4, first 2 shown]
; %bb.781:
	s_cmp_eq_u32 s21, 46
	s_cbranch_scc0 .LBB14_792
; %bb.782:
	s_wait_loadcnt 0x0
	global_load_b32 v2, v[0:1], off
	s_mov_b32 s22, 0
	s_mov_b32 s24, -1
	s_wait_loadcnt 0x0
	v_lshlrev_b32_e32 v3, 16, v2
	s_branch .LBB14_794
.LBB14_783:
	s_mov_b32 s21, -1
	s_mov_b32 s22, s0
                                        ; implicit-def: $vgpr3
	s_branch .LBB14_857
.LBB14_784:
	s_mov_b32 s25, -1
	s_mov_b32 s22, s0
                                        ; implicit-def: $vgpr3
	s_branch .LBB14_823
.LBB14_785:
	s_mov_b32 s25, -1
	s_mov_b32 s22, s0
                                        ; implicit-def: $vgpr3
	s_branch .LBB14_804
.LBB14_786:
	s_mov_b32 s25, -1
	s_mov_b32 s22, s0
                                        ; implicit-def: $vgpr3
	s_branch .LBB14_799
.LBB14_787:
	s_and_not1_saveexec_b32 s25, s25
	s_cbranch_execz .LBB14_723
.LBB14_788:
	v_add_f32_e64 v3, 0x46000000, |v2|
	s_and_not1_b32 s24, s24, exec_lo
	s_delay_alu instid0(VALU_DEP_1) | instskip(NEXT) | instid1(VALU_DEP_1)
	v_and_b32_e32 v3, 0xff, v3
	v_cmp_ne_u32_e32 vcc_lo, 0, v3
	s_and_b32 s26, vcc_lo, exec_lo
	s_delay_alu instid0(SALU_CYCLE_1)
	s_or_b32 s24, s24, s26
	s_or_b32 exec_lo, exec_lo, s25
	v_mov_b32_e32 v5, 0
	s_and_saveexec_b32 s25, s24
	s_cbranch_execnz .LBB14_724
	s_branch .LBB14_725
.LBB14_789:
	s_mov_b32 s25, -1
	s_mov_b32 s22, s0
	s_branch .LBB14_793
.LBB14_790:
	s_and_not1_saveexec_b32 s25, s25
	s_cbranch_execz .LBB14_736
.LBB14_791:
	v_add_f32_e64 v3, 0x42800000, |v2|
	s_and_not1_b32 s24, s24, exec_lo
	s_delay_alu instid0(VALU_DEP_1) | instskip(NEXT) | instid1(VALU_DEP_1)
	v_and_b32_e32 v3, 0xff, v3
	v_cmp_ne_u32_e32 vcc_lo, 0, v3
	s_and_b32 s26, vcc_lo, exec_lo
	s_delay_alu instid0(SALU_CYCLE_1)
	s_or_b32 s24, s24, s26
	s_or_b32 exec_lo, exec_lo, s25
	v_mov_b32_e32 v5, 0
	s_and_saveexec_b32 s25, s24
	s_cbranch_execnz .LBB14_737
	s_branch .LBB14_738
.LBB14_792:
	s_mov_b32 s22, -1
.LBB14_793:
                                        ; implicit-def: $vgpr3
.LBB14_794:
	s_and_b32 vcc_lo, exec_lo, s25
	s_cbranch_vccz .LBB14_798
; %bb.795:
	s_cmp_eq_u32 s21, 44
	s_cbranch_scc0 .LBB14_797
; %bb.796:
	s_wait_loadcnt 0x0
	global_load_u8 v2, v[0:1], off
	s_mov_b32 s22, 0
	s_mov_b32 s24, -1
	s_wait_loadcnt 0x0
	v_lshlrev_b32_e32 v3, 23, v2
	v_cmp_ne_u32_e32 vcc_lo, 0xff, v2
	s_delay_alu instid0(VALU_DEP_2) | instskip(SKIP_1) | instid1(VALU_DEP_2)
	v_cndmask_b32_e32 v3, 0x7f800001, v3, vcc_lo
	v_cmp_ne_u32_e32 vcc_lo, 0, v2
	v_cndmask_b32_e32 v3, 0x400000, v3, vcc_lo
	s_branch .LBB14_798
.LBB14_797:
	s_mov_b32 s22, -1
                                        ; implicit-def: $vgpr3
.LBB14_798:
	s_mov_b32 s25, 0
.LBB14_799:
	s_delay_alu instid0(SALU_CYCLE_1)
	s_and_b32 vcc_lo, exec_lo, s25
	s_cbranch_vccz .LBB14_803
; %bb.800:
	s_cmp_eq_u32 s21, 29
	s_cbranch_scc0 .LBB14_802
; %bb.801:
	s_wait_loadcnt 0x0
	global_load_b64 v[2:3], v[0:1], off
	s_mov_b32 s22, 0
	s_mov_b32 s24, -1
	s_mov_b32 s25, 0
	s_wait_loadcnt 0x0
	v_clz_i32_u32_e32 v5, v3
	s_delay_alu instid0(VALU_DEP_1) | instskip(NEXT) | instid1(VALU_DEP_1)
	v_min_u32_e32 v5, 32, v5
	v_lshlrev_b64_e32 v[2:3], v5, v[2:3]
	s_delay_alu instid0(VALU_DEP_1) | instskip(NEXT) | instid1(VALU_DEP_1)
	v_min_u32_e32 v2, 1, v2
	v_dual_sub_nc_u32 v3, 32, v5 :: v_dual_bitop2_b32 v2, v3, v2 bitop3:0x54
	s_delay_alu instid0(VALU_DEP_1) | instskip(NEXT) | instid1(VALU_DEP_1)
	v_cvt_f32_u32_e32 v2, v2
	v_ldexp_f32 v3, v2, v3
	s_branch .LBB14_804
.LBB14_802:
	s_mov_b32 s22, -1
                                        ; implicit-def: $vgpr3
.LBB14_803:
	s_mov_b32 s25, 0
.LBB14_804:
	s_delay_alu instid0(SALU_CYCLE_1)
	s_and_b32 vcc_lo, exec_lo, s25
	s_cbranch_vccz .LBB14_822
; %bb.805:
	s_cmp_lt_i32 s21, 27
	s_cbranch_scc1 .LBB14_808
; %bb.806:
	s_cmp_gt_i32 s21, 27
	s_cbranch_scc0 .LBB14_809
; %bb.807:
	s_wait_loadcnt 0x0
	global_load_b32 v2, v[0:1], off
	s_mov_b32 s24, 0
	s_wait_loadcnt 0x0
	v_cvt_f32_u32_e32 v3, v2
	s_branch .LBB14_810
.LBB14_808:
	s_mov_b32 s24, -1
                                        ; implicit-def: $vgpr3
	s_branch .LBB14_813
.LBB14_809:
	s_mov_b32 s24, -1
                                        ; implicit-def: $vgpr3
.LBB14_810:
	s_delay_alu instid0(SALU_CYCLE_1)
	s_and_not1_b32 vcc_lo, exec_lo, s24
	s_cbranch_vccnz .LBB14_812
; %bb.811:
	s_wait_loadcnt 0x0
	global_load_u16 v2, v[0:1], off
	s_wait_loadcnt 0x0
	v_cvt_f32_u32_e32 v3, v2
.LBB14_812:
	s_mov_b32 s24, 0
.LBB14_813:
	s_delay_alu instid0(SALU_CYCLE_1)
	s_and_not1_b32 vcc_lo, exec_lo, s24
	s_cbranch_vccnz .LBB14_821
; %bb.814:
	s_wait_loadcnt 0x0
	global_load_u8 v2, v[0:1], off
	s_mov_b32 s24, 0
	s_mov_b32 s25, exec_lo
	s_wait_loadcnt 0x0
	v_cmpx_lt_i16_e32 0x7f, v2
	s_xor_b32 s25, exec_lo, s25
	s_cbranch_execz .LBB14_835
; %bb.815:
	s_mov_b32 s24, -1
	s_mov_b32 s26, exec_lo
	v_cmpx_eq_u16_e32 0x80, v2
; %bb.816:
	s_xor_b32 s24, exec_lo, -1
; %bb.817:
	s_or_b32 exec_lo, exec_lo, s26
	s_delay_alu instid0(SALU_CYCLE_1)
	s_and_b32 s24, s24, exec_lo
	s_or_saveexec_b32 s25, s25
	v_mov_b32_e32 v3, 0x7f800001
	s_xor_b32 exec_lo, exec_lo, s25
	s_cbranch_execnz .LBB14_836
.LBB14_818:
	s_or_b32 exec_lo, exec_lo, s25
	s_and_saveexec_b32 s25, s24
	s_cbranch_execz .LBB14_820
.LBB14_819:
	v_and_b32_e32 v3, 0xffff, v2
	s_delay_alu instid0(VALU_DEP_1) | instskip(SKIP_1) | instid1(VALU_DEP_2)
	v_and_b32_e32 v5, 7, v3
	v_bfe_u32 v8, v3, 3, 4
	v_clz_i32_u32_e32 v6, v5
	s_delay_alu instid0(VALU_DEP_2) | instskip(NEXT) | instid1(VALU_DEP_2)
	v_cmp_eq_u32_e32 vcc_lo, 0, v8
	v_min_u32_e32 v6, 32, v6
	s_delay_alu instid0(VALU_DEP_1) | instskip(NEXT) | instid1(VALU_DEP_1)
	v_subrev_nc_u32_e32 v7, 28, v6
	v_dual_lshlrev_b32 v3, v7, v3 :: v_dual_sub_nc_u32 v6, 29, v6
	s_delay_alu instid0(VALU_DEP_1) | instskip(NEXT) | instid1(VALU_DEP_1)
	v_dual_lshlrev_b32 v2, 24, v2 :: v_dual_bitop2_b32 v3, 7, v3 bitop3:0x40
	v_dual_cndmask_b32 v3, v5, v3 :: v_dual_cndmask_b32 v6, v8, v6
	s_delay_alu instid0(VALU_DEP_2) | instskip(NEXT) | instid1(VALU_DEP_2)
	v_and_b32_e32 v2, 0x80000000, v2
	v_lshlrev_b32_e32 v3, 20, v3
	s_delay_alu instid0(VALU_DEP_3) | instskip(NEXT) | instid1(VALU_DEP_1)
	v_lshl_add_u32 v5, v6, 23, 0x3b800000
	v_or3_b32 v3, v2, v5, v3
.LBB14_820:
	s_or_b32 exec_lo, exec_lo, s25
.LBB14_821:
	s_mov_b32 s24, -1
.LBB14_822:
	s_mov_b32 s25, 0
.LBB14_823:
	s_delay_alu instid0(SALU_CYCLE_1)
	s_and_b32 vcc_lo, exec_lo, s25
	s_cbranch_vccz .LBB14_856
; %bb.824:
	s_cmp_gt_i32 s21, 22
	s_cbranch_scc0 .LBB14_834
; %bb.825:
	s_cmp_lt_i32 s21, 24
	s_cbranch_scc1 .LBB14_837
; %bb.826:
	s_cmp_gt_i32 s21, 24
	s_cbranch_scc0 .LBB14_838
; %bb.827:
	s_wait_loadcnt 0x0
	global_load_u8 v2, v[0:1], off
	s_mov_b32 s24, exec_lo
	s_wait_loadcnt 0x0
	v_cmpx_lt_i16_e32 0x7f, v2
	s_xor_b32 s24, exec_lo, s24
	s_cbranch_execz .LBB14_850
; %bb.828:
	s_mov_b32 s23, -1
	s_mov_b32 s25, exec_lo
	v_cmpx_eq_u16_e32 0x80, v2
; %bb.829:
	s_xor_b32 s23, exec_lo, -1
; %bb.830:
	s_or_b32 exec_lo, exec_lo, s25
	s_delay_alu instid0(SALU_CYCLE_1)
	s_and_b32 s23, s23, exec_lo
	s_or_saveexec_b32 s24, s24
	v_mov_b32_e32 v3, 0x7f800001
	s_xor_b32 exec_lo, exec_lo, s24
	s_cbranch_execnz .LBB14_851
.LBB14_831:
	s_or_b32 exec_lo, exec_lo, s24
	s_and_saveexec_b32 s24, s23
	s_cbranch_execz .LBB14_833
.LBB14_832:
	v_and_b32_e32 v3, 0xffff, v2
	s_delay_alu instid0(VALU_DEP_1) | instskip(SKIP_1) | instid1(VALU_DEP_2)
	v_and_b32_e32 v5, 3, v3
	v_bfe_u32 v8, v3, 2, 5
	v_clz_i32_u32_e32 v6, v5
	s_delay_alu instid0(VALU_DEP_2) | instskip(NEXT) | instid1(VALU_DEP_2)
	v_cmp_eq_u32_e32 vcc_lo, 0, v8
	v_min_u32_e32 v6, 32, v6
	s_delay_alu instid0(VALU_DEP_1) | instskip(NEXT) | instid1(VALU_DEP_1)
	v_subrev_nc_u32_e32 v7, 29, v6
	v_dual_lshlrev_b32 v3, v7, v3 :: v_dual_sub_nc_u32 v6, 30, v6
	s_delay_alu instid0(VALU_DEP_1) | instskip(NEXT) | instid1(VALU_DEP_1)
	v_dual_lshlrev_b32 v2, 24, v2 :: v_dual_bitop2_b32 v3, 3, v3 bitop3:0x40
	v_dual_cndmask_b32 v3, v5, v3 :: v_dual_cndmask_b32 v6, v8, v6
	s_delay_alu instid0(VALU_DEP_2) | instskip(NEXT) | instid1(VALU_DEP_2)
	v_and_b32_e32 v2, 0x80000000, v2
	v_lshlrev_b32_e32 v3, 21, v3
	s_delay_alu instid0(VALU_DEP_3) | instskip(NEXT) | instid1(VALU_DEP_1)
	v_lshl_add_u32 v5, v6, 23, 0x37800000
	v_or3_b32 v3, v2, v5, v3
.LBB14_833:
	s_or_b32 exec_lo, exec_lo, s24
	s_mov_b32 s23, 0
	s_branch .LBB14_839
.LBB14_834:
	s_mov_b32 s23, -1
                                        ; implicit-def: $vgpr3
	s_branch .LBB14_845
.LBB14_835:
	s_or_saveexec_b32 s25, s25
	v_mov_b32_e32 v3, 0x7f800001
	s_xor_b32 exec_lo, exec_lo, s25
	s_cbranch_execz .LBB14_818
.LBB14_836:
	v_cmp_ne_u16_e32 vcc_lo, 0, v2
	v_mov_b32_e32 v3, 0
	s_and_not1_b32 s24, s24, exec_lo
	s_and_b32 s26, vcc_lo, exec_lo
	s_delay_alu instid0(SALU_CYCLE_1)
	s_or_b32 s24, s24, s26
	s_or_b32 exec_lo, exec_lo, s25
	s_and_saveexec_b32 s25, s24
	s_cbranch_execnz .LBB14_819
	s_branch .LBB14_820
.LBB14_837:
	s_mov_b32 s23, -1
                                        ; implicit-def: $vgpr3
	s_branch .LBB14_842
.LBB14_838:
	s_mov_b32 s23, -1
                                        ; implicit-def: $vgpr3
.LBB14_839:
	s_delay_alu instid0(SALU_CYCLE_1)
	s_and_b32 vcc_lo, exec_lo, s23
	s_cbranch_vccz .LBB14_841
; %bb.840:
	s_wait_loadcnt 0x0
	global_load_u8 v2, v[0:1], off
	s_wait_loadcnt 0x0
	v_lshlrev_b32_e32 v2, 24, v2
	s_delay_alu instid0(VALU_DEP_1) | instskip(NEXT) | instid1(VALU_DEP_1)
	v_and_b32_e32 v3, 0x7f000000, v2
	v_clz_i32_u32_e32 v5, v3
	v_add_nc_u32_e32 v7, 0x1000000, v3
	v_cmp_ne_u32_e32 vcc_lo, 0, v3
	s_delay_alu instid0(VALU_DEP_3) | instskip(NEXT) | instid1(VALU_DEP_1)
	v_min_u32_e32 v5, 32, v5
	v_sub_nc_u32_e64 v5, v5, 4 clamp
	s_delay_alu instid0(VALU_DEP_1) | instskip(NEXT) | instid1(VALU_DEP_1)
	v_dual_lshlrev_b32 v6, v5, v3 :: v_dual_lshlrev_b32 v5, 23, v5
	v_lshrrev_b32_e32 v6, 4, v6
	s_delay_alu instid0(VALU_DEP_1) | instskip(NEXT) | instid1(VALU_DEP_1)
	v_dual_sub_nc_u32 v5, v6, v5 :: v_dual_ashrrev_i32 v6, 8, v7
	v_add_nc_u32_e32 v5, 0x3c000000, v5
	s_delay_alu instid0(VALU_DEP_1) | instskip(NEXT) | instid1(VALU_DEP_1)
	v_and_or_b32 v5, 0x7f800000, v6, v5
	v_cndmask_b32_e32 v3, 0, v5, vcc_lo
	s_delay_alu instid0(VALU_DEP_1)
	v_and_or_b32 v3, 0x80000000, v2, v3
.LBB14_841:
	s_mov_b32 s23, 0
.LBB14_842:
	s_delay_alu instid0(SALU_CYCLE_1)
	s_and_not1_b32 vcc_lo, exec_lo, s23
	s_cbranch_vccnz .LBB14_844
; %bb.843:
	s_wait_loadcnt 0x0
	global_load_u8 v2, v[0:1], off
	s_wait_loadcnt 0x0
	v_lshlrev_b32_e32 v3, 25, v2
	v_lshlrev_b16 v2, 8, v2
	s_delay_alu instid0(VALU_DEP_2) | instskip(NEXT) | instid1(VALU_DEP_2)
	v_cmp_gt_u32_e32 vcc_lo, 0x8000000, v3
	v_and_or_b32 v6, 0x7f00, v2, 0.5
	v_lshrrev_b32_e32 v5, 4, v3
	v_bfe_i32 v2, v2, 0, 16
	s_delay_alu instid0(VALU_DEP_3) | instskip(NEXT) | instid1(VALU_DEP_3)
	v_add_f32_e32 v6, -0.5, v6
	v_or_b32_e32 v5, 0x70000000, v5
	s_delay_alu instid0(VALU_DEP_1) | instskip(NEXT) | instid1(VALU_DEP_1)
	v_mul_f32_e32 v5, 0x7800000, v5
	v_cndmask_b32_e32 v3, v5, v6, vcc_lo
	s_delay_alu instid0(VALU_DEP_1)
	v_and_or_b32 v3, 0x80000000, v2, v3
.LBB14_844:
	s_mov_b32 s23, 0
	s_mov_b32 s24, -1
.LBB14_845:
	s_and_not1_b32 vcc_lo, exec_lo, s23
	s_mov_b32 s23, 0
	s_cbranch_vccnz .LBB14_856
; %bb.846:
	s_cmp_gt_i32 s21, 14
	s_cbranch_scc0 .LBB14_849
; %bb.847:
	s_cmp_eq_u32 s21, 15
	s_cbranch_scc0 .LBB14_852
; %bb.848:
	s_wait_loadcnt 0x0
	global_load_u16 v2, v[0:1], off
	s_mov_b32 s22, 0
	s_mov_b32 s24, -1
	s_wait_loadcnt 0x0
	v_lshlrev_b32_e32 v3, 16, v2
	s_branch .LBB14_854
.LBB14_849:
	s_mov_b32 s23, -1
	s_branch .LBB14_853
.LBB14_850:
	s_or_saveexec_b32 s24, s24
	v_mov_b32_e32 v3, 0x7f800001
	s_xor_b32 exec_lo, exec_lo, s24
	s_cbranch_execz .LBB14_831
.LBB14_851:
	v_cmp_ne_u16_e32 vcc_lo, 0, v2
	v_mov_b32_e32 v3, 0
	s_and_not1_b32 s23, s23, exec_lo
	s_and_b32 s25, vcc_lo, exec_lo
	s_delay_alu instid0(SALU_CYCLE_1)
	s_or_b32 s23, s23, s25
	s_or_b32 exec_lo, exec_lo, s24
	s_and_saveexec_b32 s24, s23
	s_cbranch_execnz .LBB14_832
	s_branch .LBB14_833
.LBB14_852:
	s_mov_b32 s22, -1
.LBB14_853:
                                        ; implicit-def: $vgpr3
.LBB14_854:
	s_and_b32 vcc_lo, exec_lo, s23
	s_mov_b32 s23, 0
	s_cbranch_vccz .LBB14_856
; %bb.855:
	s_cmp_lg_u32 s21, 11
	s_mov_b32 s23, -1
	s_cselect_b32 s21, -1, 0
	s_and_not1_b32 s22, s22, exec_lo
	s_and_b32 s21, s21, exec_lo
	s_delay_alu instid0(SALU_CYCLE_1)
	s_or_b32 s22, s22, s21
.LBB14_856:
	s_mov_b32 s21, 0
.LBB14_857:
	s_and_not1_b32 s26, s0, exec_lo
	s_and_b32 s22, s22, exec_lo
	s_and_b32 s24, s24, exec_lo
	s_and_b32 s25, s21, exec_lo
	s_and_b32 s21, s23, exec_lo
	s_or_b32 s22, s26, s22
.LBB14_858:
	s_wait_xcnt 0x0
	s_or_b32 exec_lo, exec_lo, s13
	s_delay_alu instid0(SALU_CYCLE_1)
	s_and_not1_b32 s0, s0, exec_lo
	s_and_b32 s13, s22, exec_lo
	s_and_b32 s24, s24, exec_lo
	;; [unrolled: 1-line block ×4, first 2 shown]
	s_or_b32 s0, s0, s13
.LBB14_859:
	s_or_b32 exec_lo, exec_lo, s19
	s_delay_alu instid0(SALU_CYCLE_1)
	s_and_not1_b32 s13, s17, exec_lo
	s_and_b32 s17, s20, exec_lo
	s_and_b32 s0, s0, exec_lo
	s_or_b32 s17, s13, s17
	s_and_not1_b32 s13, s16, exec_lo
	s_and_b32 s21, s24, exec_lo
	s_and_b32 s20, s23, exec_lo
	s_and_b32 s19, s22, exec_lo
	s_or_b32 s16, s13, s0
.LBB14_860:
	s_or_b32 exec_lo, exec_lo, s18
	s_delay_alu instid0(SALU_CYCLE_1)
	s_and_not1_b32 s0, s12, exec_lo
	s_and_b32 s12, s17, exec_lo
	s_and_not1_b32 s13, s14, exec_lo
	s_and_b32 s14, s16, exec_lo
	s_or_b32 s12, s0, s12
	s_and_b32 s0, s21, exec_lo
	s_and_b32 s17, s20, exec_lo
	;; [unrolled: 1-line block ×3, first 2 shown]
	s_or_b32 s14, s13, s14
	s_or_b32 exec_lo, exec_lo, s15
	s_mov_b32 s13, 0
	s_and_saveexec_b32 s15, s14
	s_cbranch_execz .LBB14_262
.LBB14_861:
	s_mov_b32 s13, exec_lo
	s_and_not1_b32 s16, s16, exec_lo
	s_trap 2
	s_or_b32 exec_lo, exec_lo, s15
	s_and_saveexec_b32 s14, s16
	s_delay_alu instid0(SALU_CYCLE_1)
	s_xor_b32 s14, exec_lo, s14
	s_cbranch_execnz .LBB14_263
.LBB14_862:
	s_or_b32 exec_lo, exec_lo, s14
	s_and_saveexec_b32 s14, s17
	s_cbranch_execz .LBB14_908
.LBB14_863:
	s_sext_i32_i16 s15, s2
	s_delay_alu instid0(SALU_CYCLE_1)
	s_cmp_lt_i32 s15, 5
	s_cbranch_scc1 .LBB14_868
; %bb.864:
	s_cmp_lt_i32 s15, 8
	s_cbranch_scc1 .LBB14_869
; %bb.865:
	;; [unrolled: 3-line block ×3, first 2 shown]
	s_cmp_gt_i32 s15, 9
	s_cbranch_scc0 .LBB14_871
; %bb.867:
	s_wait_loadcnt 0x0
	global_load_b64 v[2:3], v[0:1], off
	s_mov_b32 s15, 0
	s_wait_loadcnt 0x0
	v_cvt_f32_f64_e32 v3, v[2:3]
	s_branch .LBB14_872
.LBB14_868:
                                        ; implicit-def: $vgpr3
	s_branch .LBB14_889
.LBB14_869:
                                        ; implicit-def: $vgpr3
	s_branch .LBB14_878
.LBB14_870:
	s_mov_b32 s15, -1
                                        ; implicit-def: $vgpr3
	s_branch .LBB14_875
.LBB14_871:
	s_mov_b32 s15, -1
                                        ; implicit-def: $vgpr3
.LBB14_872:
	s_delay_alu instid0(SALU_CYCLE_1)
	s_and_not1_b32 vcc_lo, exec_lo, s15
	s_cbranch_vccnz .LBB14_874
; %bb.873:
	global_load_b32 v3, v[0:1], off
.LBB14_874:
	s_mov_b32 s15, 0
.LBB14_875:
	s_delay_alu instid0(SALU_CYCLE_1)
	s_and_not1_b32 vcc_lo, exec_lo, s15
	s_cbranch_vccnz .LBB14_877
; %bb.876:
	s_wait_loadcnt 0x0
	global_load_b32 v2, v[0:1], off
	s_wait_loadcnt 0x0
	v_cvt_f32_f16_e32 v3, v2
.LBB14_877:
	s_cbranch_execnz .LBB14_888
.LBB14_878:
	s_sext_i32_i16 s15, s2
	s_delay_alu instid0(SALU_CYCLE_1)
	s_cmp_lt_i32 s15, 6
	s_cbranch_scc1 .LBB14_881
; %bb.879:
	s_cmp_gt_i32 s15, 6
	s_cbranch_scc0 .LBB14_882
; %bb.880:
	s_wait_loadcnt 0x0
	global_load_b64 v[2:3], v[0:1], off
	s_mov_b32 s15, 0
	s_wait_loadcnt 0x0
	v_cvt_f32_f64_e32 v3, v[2:3]
	s_branch .LBB14_883
.LBB14_881:
	s_mov_b32 s15, -1
                                        ; implicit-def: $vgpr3
	s_branch .LBB14_886
.LBB14_882:
	s_mov_b32 s15, -1
                                        ; implicit-def: $vgpr3
.LBB14_883:
	s_delay_alu instid0(SALU_CYCLE_1)
	s_and_not1_b32 vcc_lo, exec_lo, s15
	s_cbranch_vccnz .LBB14_885
; %bb.884:
	s_wait_loadcnt 0x0
	global_load_b32 v3, v[0:1], off
.LBB14_885:
	s_mov_b32 s15, 0
.LBB14_886:
	s_delay_alu instid0(SALU_CYCLE_1)
	s_and_not1_b32 vcc_lo, exec_lo, s15
	s_cbranch_vccnz .LBB14_888
; %bb.887:
	s_wait_loadcnt 0x0
	global_load_u16 v2, v[0:1], off
	s_wait_loadcnt 0x0
	v_cvt_f32_f16_e32 v3, v2
.LBB14_888:
	s_cbranch_execnz .LBB14_907
.LBB14_889:
	s_sext_i32_i16 s15, s2
	s_delay_alu instid0(SALU_CYCLE_1)
	s_cmp_lt_i32 s15, 2
	s_cbranch_scc1 .LBB14_893
; %bb.890:
	s_cmp_lt_i32 s15, 3
	s_cbranch_scc1 .LBB14_894
; %bb.891:
	s_cmp_gt_i32 s15, 3
	s_cbranch_scc0 .LBB14_895
; %bb.892:
	s_wait_loadcnt 0x0
	global_load_b64 v[2:3], v[0:1], off
	s_mov_b32 s15, 0
	s_wait_loadcnt 0x0
	v_xor_b32_e32 v5, v2, v3
	v_cls_i32_e32 v6, v3
	s_delay_alu instid0(VALU_DEP_2) | instskip(NEXT) | instid1(VALU_DEP_1)
	v_ashrrev_i32_e32 v5, 31, v5
	v_add_nc_u32_e32 v5, 32, v5
	s_delay_alu instid0(VALU_DEP_1) | instskip(NEXT) | instid1(VALU_DEP_1)
	v_add_min_u32_e64 v5, v6, -1, v5
	v_lshlrev_b64_e32 v[2:3], v5, v[2:3]
	s_delay_alu instid0(VALU_DEP_1) | instskip(NEXT) | instid1(VALU_DEP_1)
	v_min_u32_e32 v2, 1, v2
	v_dual_sub_nc_u32 v3, 32, v5 :: v_dual_bitop2_b32 v2, v3, v2 bitop3:0x54
	s_delay_alu instid0(VALU_DEP_1) | instskip(NEXT) | instid1(VALU_DEP_1)
	v_cvt_f32_i32_e32 v2, v2
	v_ldexp_f32 v3, v2, v3
	s_branch .LBB14_896
.LBB14_893:
                                        ; implicit-def: $vgpr3
	s_branch .LBB14_902
.LBB14_894:
	s_mov_b32 s15, -1
                                        ; implicit-def: $vgpr3
	s_branch .LBB14_899
.LBB14_895:
	s_mov_b32 s15, -1
                                        ; implicit-def: $vgpr3
.LBB14_896:
	s_delay_alu instid0(SALU_CYCLE_1)
	s_and_not1_b32 vcc_lo, exec_lo, s15
	s_cbranch_vccnz .LBB14_898
; %bb.897:
	s_wait_loadcnt 0x0
	global_load_b32 v2, v[0:1], off
	s_wait_loadcnt 0x0
	v_cvt_f32_i32_e32 v3, v2
.LBB14_898:
	s_mov_b32 s15, 0
.LBB14_899:
	s_delay_alu instid0(SALU_CYCLE_1)
	s_and_not1_b32 vcc_lo, exec_lo, s15
	s_cbranch_vccnz .LBB14_901
; %bb.900:
	s_wait_loadcnt 0x0
	global_load_i16 v2, v[0:1], off
	s_wait_loadcnt 0x0
	v_cvt_f32_i32_e32 v3, v2
.LBB14_901:
	s_cbranch_execnz .LBB14_907
.LBB14_902:
	s_sext_i32_i16 s15, s2
	s_delay_alu instid0(SALU_CYCLE_1)
	s_cmp_gt_i32 s15, 0
	s_mov_b32 s15, 0
	s_cbranch_scc0 .LBB14_904
; %bb.903:
	s_wait_loadcnt 0x0
	global_load_i8 v2, v[0:1], off
	s_wait_loadcnt 0x0
	v_cvt_f32_i32_e32 v3, v2
	s_branch .LBB14_905
.LBB14_904:
	s_mov_b32 s15, -1
                                        ; implicit-def: $vgpr3
.LBB14_905:
	s_delay_alu instid0(SALU_CYCLE_1)
	s_and_not1_b32 vcc_lo, exec_lo, s15
	s_cbranch_vccnz .LBB14_907
; %bb.906:
	global_load_u8 v0, v[0:1], off
	s_wait_loadcnt 0x0
	v_cvt_f32_ubyte0_e32 v3, v0
.LBB14_907:
	s_or_b32 s0, s0, exec_lo
.LBB14_908:
	s_wait_xcnt 0x0
	s_or_b32 exec_lo, exec_lo, s14
	s_mov_b32 s17, 0
	s_mov_b32 s16, 0
                                        ; implicit-def: $sgpr14
                                        ; implicit-def: $vgpr0_vgpr1
                                        ; implicit-def: $vgpr2
	s_and_saveexec_b32 s15, s0
	s_cbranch_execz .LBB14_983
; %bb.909:
	v_mul_lo_u32 v0, v4, s8
	s_wait_loadcnt 0x0
	s_delay_alu instid0(VALU_DEP_2)
	v_cmp_nge_f32_e64 s0, v3, -s10
	v_cmp_nge_f32_e32 vcc_lo, s10, v3
	s_and_b32 s14, s11, 0xff
	s_mov_b32 s18, 0
	s_mov_b32 s17, -1
	s_or_b32 vcc_lo, s0, vcc_lo
	s_cmp_lt_i32 s14, 11
	s_mov_b32 s0, s12
	v_dual_cndmask_b32 v2, 0, v3 :: v_dual_ashrrev_i32 v1, 31, v0
	s_delay_alu instid0(VALU_DEP_1)
	v_add_nc_u64_e32 v[0:1], s[4:5], v[0:1]
	s_cbranch_scc1 .LBB14_987
; %bb.910:
	s_and_b32 s16, 0xffff, s14
	s_mov_b32 s0, s12
	s_cmp_gt_i32 s16, 25
	s_cbranch_scc0 .LBB14_943
; %bb.911:
	s_cmp_gt_i32 s16, 28
	s_mov_b32 s0, s12
	s_cbranch_scc0 .LBB14_927
; %bb.912:
	s_cmp_gt_i32 s16, 43
	s_mov_b32 s0, s12
	;; [unrolled: 4-line block ×3, first 2 shown]
	s_cbranch_scc0 .LBB14_917
; %bb.914:
	s_cmp_eq_u32 s16, 46
	s_mov_b32 s0, -1
	s_cbranch_scc0 .LBB14_916
; %bb.915:
	v_bfe_u32 v3, v2, 16, 1
	v_cmp_o_f32_e32 vcc_lo, v2, v2
	s_mov_b32 s0, 0
	s_delay_alu instid0(VALU_DEP_2) | instskip(NEXT) | instid1(VALU_DEP_1)
	v_add3_u32 v3, v2, v3, 0x7fff
	v_lshrrev_b32_e32 v3, 16, v3
	s_delay_alu instid0(VALU_DEP_1)
	v_cndmask_b32_e32 v3, 0x7fc0, v3, vcc_lo
	global_store_b32 v[0:1], v3, off
.LBB14_916:
	s_mov_b32 s17, 0
.LBB14_917:
	s_delay_alu instid0(SALU_CYCLE_1)
	s_and_b32 vcc_lo, exec_lo, s17
	s_cbranch_vccz .LBB14_922
; %bb.918:
	s_cmp_eq_u32 s16, 44
	s_mov_b32 s0, -1
	s_cbranch_scc0 .LBB14_922
; %bb.919:
	v_bfe_u32 v4, v2, 23, 8
	s_wait_xcnt 0x0
	v_mov_b32_e32 v3, 0xff
	s_mov_b32 s17, exec_lo
	s_delay_alu instid0(VALU_DEP_2)
	v_cmpx_ne_u32_e32 0xff, v4
	s_cbranch_execz .LBB14_921
; %bb.920:
	v_and_b32_e32 v3, 0x400000, v2
	v_and_or_b32 v4, 0x3fffff, v2, v4
	s_delay_alu instid0(VALU_DEP_2) | instskip(NEXT) | instid1(VALU_DEP_2)
	v_cmp_ne_u32_e32 vcc_lo, 0, v3
	v_cmp_ne_u32_e64 s0, 0, v4
	v_lshrrev_b32_e32 v3, 23, v2
	s_and_b32 s0, vcc_lo, s0
	s_delay_alu instid0(SALU_CYCLE_1) | instskip(NEXT) | instid1(VALU_DEP_1)
	v_cndmask_b32_e64 v4, 0, 1, s0
	v_add_nc_u32_e32 v3, v3, v4
.LBB14_921:
	s_or_b32 exec_lo, exec_lo, s17
	s_mov_b32 s0, 0
	global_store_b8 v[0:1], v3, off
.LBB14_922:
	s_mov_b32 s17, 0
.LBB14_923:
	s_delay_alu instid0(SALU_CYCLE_1)
	s_and_b32 vcc_lo, exec_lo, s17
	s_cbranch_vccz .LBB14_926
; %bb.924:
	s_cmp_eq_u32 s16, 29
	s_mov_b32 s0, -1
	s_cbranch_scc0 .LBB14_926
; %bb.925:
	s_wait_xcnt 0x0
	v_trunc_f32_e32 v3, v2
	s_mov_b32 s0, 0
	s_delay_alu instid0(VALU_DEP_1) | instskip(NEXT) | instid1(VALU_DEP_1)
	v_mul_f32_e32 v4, 0x2f800000, v3
	v_floor_f32_e32 v4, v4
	s_delay_alu instid0(VALU_DEP_1) | instskip(SKIP_1) | instid1(VALU_DEP_2)
	v_fmamk_f32 v3, v4, 0xcf800000, v3
	v_cvt_u32_f32_e32 v5, v4
	v_cvt_u32_f32_e32 v4, v3
	global_store_b64 v[0:1], v[4:5], off
.LBB14_926:
	s_mov_b32 s17, 0
.LBB14_927:
	s_delay_alu instid0(SALU_CYCLE_1)
	s_and_b32 vcc_lo, exec_lo, s17
	s_cbranch_vccz .LBB14_942
; %bb.928:
	s_cmp_lt_i32 s16, 27
	s_mov_b32 s17, -1
	s_cbranch_scc1 .LBB14_934
; %bb.929:
	s_wait_xcnt 0x0
	v_cvt_u32_f32_e32 v3, v2
	s_cmp_gt_i32 s16, 27
	s_cbranch_scc0 .LBB14_931
; %bb.930:
	s_mov_b32 s17, 0
	global_store_b32 v[0:1], v3, off
.LBB14_931:
	s_and_not1_b32 vcc_lo, exec_lo, s17
	s_cbranch_vccnz .LBB14_933
; %bb.932:
	global_store_b16 v[0:1], v3, off
.LBB14_933:
	s_mov_b32 s17, 0
.LBB14_934:
	s_delay_alu instid0(SALU_CYCLE_1)
	s_and_not1_b32 vcc_lo, exec_lo, s17
	s_cbranch_vccnz .LBB14_942
; %bb.935:
	s_wait_xcnt 0x0
	v_and_b32_e32 v3, 0x7fffffff, v2
	v_mov_b32_e32 v4, 0x80
	s_mov_b32 s17, exec_lo
	s_delay_alu instid0(VALU_DEP_2)
	v_cmpx_gt_u32_e32 0x43800000, v3
	s_cbranch_execz .LBB14_941
; %bb.936:
	v_cmp_lt_u32_e32 vcc_lo, 0x3bffffff, v3
                                        ; implicit-def: $vgpr3
	s_and_saveexec_b32 s19, vcc_lo
	s_delay_alu instid0(SALU_CYCLE_1)
	s_xor_b32 s19, exec_lo, s19
	s_cbranch_execz .LBB14_1042
; %bb.937:
	v_bfe_u32 v3, v2, 20, 1
	s_mov_b32 s18, exec_lo
	s_delay_alu instid0(VALU_DEP_1) | instskip(NEXT) | instid1(VALU_DEP_1)
	v_add3_u32 v3, v2, v3, 0x487ffff
	v_lshrrev_b32_e32 v3, 20, v3
	s_and_not1_saveexec_b32 s19, s19
	s_cbranch_execnz .LBB14_1043
.LBB14_938:
	s_or_b32 exec_lo, exec_lo, s19
	v_mov_b32_e32 v4, 0
	s_and_saveexec_b32 s19, s18
.LBB14_939:
	v_lshrrev_b32_e32 v4, 24, v2
	s_delay_alu instid0(VALU_DEP_1)
	v_and_or_b32 v4, 0x80, v4, v3
.LBB14_940:
	s_or_b32 exec_lo, exec_lo, s19
.LBB14_941:
	s_delay_alu instid0(SALU_CYCLE_1)
	s_or_b32 exec_lo, exec_lo, s17
	global_store_b8 v[0:1], v4, off
.LBB14_942:
	s_mov_b32 s17, 0
.LBB14_943:
	s_delay_alu instid0(SALU_CYCLE_1)
	s_and_b32 vcc_lo, exec_lo, s17
	s_mov_b32 s17, 0
	s_cbranch_vccz .LBB14_986
; %bb.944:
	s_cmp_gt_i32 s16, 22
	s_mov_b32 s18, -1
	s_cbranch_scc0 .LBB14_976
; %bb.945:
	s_cmp_lt_i32 s16, 24
	s_cbranch_scc1 .LBB14_965
; %bb.946:
	s_cmp_gt_i32 s16, 24
	s_cbranch_scc0 .LBB14_954
; %bb.947:
	s_wait_xcnt 0x0
	v_and_b32_e32 v3, 0x7fffffff, v2
	v_mov_b32_e32 v4, 0x80
	s_mov_b32 s18, exec_lo
	s_delay_alu instid0(VALU_DEP_2)
	v_cmpx_gt_u32_e32 0x47800000, v3
	s_cbranch_execz .LBB14_953
; %bb.948:
	v_cmp_lt_u32_e32 vcc_lo, 0x37ffffff, v3
	s_mov_b32 s19, 0
                                        ; implicit-def: $vgpr3
	s_and_saveexec_b32 s20, vcc_lo
	s_delay_alu instid0(SALU_CYCLE_1)
	s_xor_b32 s20, exec_lo, s20
	s_cbranch_execz .LBB14_1168
; %bb.949:
	v_bfe_u32 v3, v2, 21, 1
	s_mov_b32 s19, exec_lo
	s_delay_alu instid0(VALU_DEP_1) | instskip(NEXT) | instid1(VALU_DEP_1)
	v_add3_u32 v3, v2, v3, 0x88fffff
	v_lshrrev_b32_e32 v3, 21, v3
	s_and_not1_saveexec_b32 s20, s20
	s_cbranch_execnz .LBB14_1169
.LBB14_950:
	s_or_b32 exec_lo, exec_lo, s20
	v_mov_b32_e32 v4, 0
	s_and_saveexec_b32 s20, s19
.LBB14_951:
	v_lshrrev_b32_e32 v4, 24, v2
	s_delay_alu instid0(VALU_DEP_1)
	v_and_or_b32 v4, 0x80, v4, v3
.LBB14_952:
	s_or_b32 exec_lo, exec_lo, s20
.LBB14_953:
	s_delay_alu instid0(SALU_CYCLE_1)
	s_or_b32 exec_lo, exec_lo, s18
	s_mov_b32 s18, 0
	global_store_b8 v[0:1], v4, off
.LBB14_954:
	s_and_b32 vcc_lo, exec_lo, s18
	s_cbranch_vccz .LBB14_964
; %bb.955:
	s_wait_xcnt 0x0
	v_and_b32_e32 v4, 0x7fffffff, v2
	s_mov_b32 s18, exec_lo
                                        ; implicit-def: $vgpr3
	s_delay_alu instid0(VALU_DEP_1)
	v_cmpx_gt_u32_e32 0x43f00000, v4
	s_xor_b32 s18, exec_lo, s18
	s_cbranch_execz .LBB14_961
; %bb.956:
	s_mov_b32 s19, exec_lo
                                        ; implicit-def: $vgpr3
	v_cmpx_lt_u32_e32 0x3c7fffff, v4
	s_xor_b32 s19, exec_lo, s19
; %bb.957:
	v_bfe_u32 v3, v2, 20, 1
	s_delay_alu instid0(VALU_DEP_1) | instskip(NEXT) | instid1(VALU_DEP_1)
	v_add3_u32 v3, v2, v3, 0x407ffff
	v_and_b32_e32 v4, 0xff00000, v3
	v_lshrrev_b32_e32 v3, 20, v3
	s_delay_alu instid0(VALU_DEP_2) | instskip(NEXT) | instid1(VALU_DEP_2)
	v_cmp_ne_u32_e32 vcc_lo, 0x7f00000, v4
	v_cndmask_b32_e32 v3, 0x7e, v3, vcc_lo
; %bb.958:
	s_and_not1_saveexec_b32 s19, s19
; %bb.959:
	v_add_f32_e64 v3, 0x46800000, |v2|
; %bb.960:
	s_or_b32 exec_lo, exec_lo, s19
                                        ; implicit-def: $vgpr4
.LBB14_961:
	s_and_not1_saveexec_b32 s18, s18
; %bb.962:
	v_mov_b32_e32 v3, 0x7f
	v_cmp_lt_u32_e32 vcc_lo, 0x7f800000, v4
	s_delay_alu instid0(VALU_DEP_2)
	v_cndmask_b32_e32 v3, 0x7e, v3, vcc_lo
; %bb.963:
	s_or_b32 exec_lo, exec_lo, s18
	v_lshrrev_b32_e32 v4, 24, v2
	s_delay_alu instid0(VALU_DEP_1)
	v_and_or_b32 v3, 0x80, v4, v3
	global_store_b8 v[0:1], v3, off
.LBB14_964:
	s_mov_b32 s18, 0
.LBB14_965:
	s_delay_alu instid0(SALU_CYCLE_1)
	s_and_not1_b32 vcc_lo, exec_lo, s18
	s_cbranch_vccnz .LBB14_975
; %bb.966:
	s_wait_xcnt 0x0
	v_and_b32_e32 v4, 0x7fffffff, v2
	s_mov_b32 s18, exec_lo
                                        ; implicit-def: $vgpr3
	s_delay_alu instid0(VALU_DEP_1)
	v_cmpx_gt_u32_e32 0x47800000, v4
	s_xor_b32 s18, exec_lo, s18
	s_cbranch_execz .LBB14_972
; %bb.967:
	s_mov_b32 s19, exec_lo
                                        ; implicit-def: $vgpr3
	v_cmpx_lt_u32_e32 0x387fffff, v4
	s_xor_b32 s19, exec_lo, s19
; %bb.968:
	v_bfe_u32 v3, v2, 21, 1
	s_delay_alu instid0(VALU_DEP_1) | instskip(NEXT) | instid1(VALU_DEP_1)
	v_add3_u32 v3, v2, v3, 0x80fffff
	v_lshrrev_b32_e32 v3, 21, v3
; %bb.969:
	s_and_not1_saveexec_b32 s19, s19
; %bb.970:
	v_add_f32_e64 v3, 0x43000000, |v2|
; %bb.971:
	s_or_b32 exec_lo, exec_lo, s19
                                        ; implicit-def: $vgpr4
.LBB14_972:
	s_and_not1_saveexec_b32 s18, s18
; %bb.973:
	v_mov_b32_e32 v3, 0x7f
	v_cmp_lt_u32_e32 vcc_lo, 0x7f800000, v4
	s_delay_alu instid0(VALU_DEP_2)
	v_cndmask_b32_e32 v3, 0x7c, v3, vcc_lo
; %bb.974:
	s_or_b32 exec_lo, exec_lo, s18
	v_lshrrev_b32_e32 v4, 24, v2
	s_delay_alu instid0(VALU_DEP_1)
	v_and_or_b32 v3, 0x80, v4, v3
	global_store_b8 v[0:1], v3, off
.LBB14_975:
	s_mov_b32 s18, 0
.LBB14_976:
	s_delay_alu instid0(SALU_CYCLE_1)
	s_and_not1_b32 vcc_lo, exec_lo, s18
	s_mov_b32 s18, 0
	s_cbranch_vccnz .LBB14_987
; %bb.977:
	s_cmp_gt_i32 s16, 14
	s_mov_b32 s18, -1
	s_cbranch_scc0 .LBB14_981
; %bb.978:
	s_cmp_eq_u32 s16, 15
	s_mov_b32 s0, -1
	s_cbranch_scc0 .LBB14_980
; %bb.979:
	s_wait_xcnt 0x0
	v_bfe_u32 v3, v2, 16, 1
	v_cmp_o_f32_e32 vcc_lo, v2, v2
	s_mov_b32 s0, 0
	s_delay_alu instid0(VALU_DEP_2) | instskip(NEXT) | instid1(VALU_DEP_1)
	v_add3_u32 v3, v2, v3, 0x7fff
	v_lshrrev_b32_e32 v3, 16, v3
	s_delay_alu instid0(VALU_DEP_1)
	v_cndmask_b32_e32 v3, 0x7fc0, v3, vcc_lo
	global_store_b16 v[0:1], v3, off
.LBB14_980:
	s_mov_b32 s18, 0
.LBB14_981:
	s_delay_alu instid0(SALU_CYCLE_1)
	s_and_b32 vcc_lo, exec_lo, s18
	s_mov_b32 s18, 0
	s_cbranch_vccz .LBB14_987
; %bb.982:
	s_cmp_lg_u32 s16, 11
	s_mov_b32 s18, -1
	s_cselect_b32 s16, -1, 0
	s_and_not1_b32 s0, s0, exec_lo
	s_and_b32 s16, s16, exec_lo
	s_delay_alu instid0(SALU_CYCLE_1)
	s_or_b32 s0, s0, s16
	s_branch .LBB14_987
.LBB14_983:
	s_or_b32 exec_lo, exec_lo, s15
	s_and_saveexec_b32 s0, s12
	s_cbranch_execnz .LBB14_988
.LBB14_984:
	s_or_b32 exec_lo, exec_lo, s0
	s_and_saveexec_b32 s0, s17
	s_delay_alu instid0(SALU_CYCLE_1)
	s_xor_b32 s0, exec_lo, s0
	s_cbranch_execz .LBB14_989
.LBB14_985:
	s_wait_loadcnt 0x0
	v_cmp_neq_f32_e32 vcc_lo, 0, v2
	v_cndmask_b32_e64 v3, 0, 1, vcc_lo
	global_store_b8 v[0:1], v3, off
	s_wait_xcnt 0x0
	s_or_b32 exec_lo, exec_lo, s0
	s_and_saveexec_b32 s0, s16
	s_delay_alu instid0(SALU_CYCLE_1)
	s_xor_b32 s0, exec_lo, s0
	s_cbranch_execz .LBB14_1027
	s_branch .LBB14_990
.LBB14_986:
	s_mov_b32 s18, 0
.LBB14_987:
	s_and_not1_b32 s12, s12, exec_lo
	s_and_b32 s0, s0, exec_lo
	s_and_b32 s16, s17, exec_lo
	;; [unrolled: 1-line block ×3, first 2 shown]
	s_or_b32 s12, s12, s0
	s_wait_xcnt 0x0
	s_or_b32 exec_lo, exec_lo, s15
	s_and_saveexec_b32 s0, s12
	s_cbranch_execz .LBB14_984
.LBB14_988:
	s_or_b32 s13, s13, exec_lo
	s_and_not1_b32 s17, s17, exec_lo
	s_trap 2
	s_or_b32 exec_lo, exec_lo, s0
	s_and_saveexec_b32 s0, s17
	s_delay_alu instid0(SALU_CYCLE_1)
	s_xor_b32 s0, exec_lo, s0
	s_cbranch_execnz .LBB14_985
.LBB14_989:
	s_or_b32 exec_lo, exec_lo, s0
	s_and_saveexec_b32 s0, s16
	s_delay_alu instid0(SALU_CYCLE_1)
	s_xor_b32 s0, exec_lo, s0
	s_cbranch_execz .LBB14_1027
.LBB14_990:
	s_sext_i32_i16 s15, s14
	s_mov_b32 s12, -1
	s_cmp_lt_i32 s15, 5
	s_cbranch_scc1 .LBB14_1011
; %bb.991:
	s_cmp_lt_i32 s15, 8
	s_cbranch_scc1 .LBB14_1001
; %bb.992:
	;; [unrolled: 3-line block ×3, first 2 shown]
	s_cmp_gt_i32 s15, 9
	s_cbranch_scc0 .LBB14_995
; %bb.994:
	s_wait_loadcnt 0x0
	v_cvt_f64_f32_e32 v[4:5], v2
	v_mov_b32_e32 v6, 0
	s_mov_b32 s12, 0
	s_delay_alu instid0(VALU_DEP_1)
	v_mov_b32_e32 v7, v6
	global_store_b128 v[0:1], v[4:7], off
.LBB14_995:
	s_and_not1_b32 vcc_lo, exec_lo, s12
	s_cbranch_vccnz .LBB14_997
; %bb.996:
	s_wait_loadcnt 0x0
	v_mov_b32_e32 v3, 0
	global_store_b64 v[0:1], v[2:3], off
.LBB14_997:
	s_mov_b32 s12, 0
.LBB14_998:
	s_delay_alu instid0(SALU_CYCLE_1)
	s_and_not1_b32 vcc_lo, exec_lo, s12
	s_cbranch_vccnz .LBB14_1000
; %bb.999:
	s_wait_loadcnt 0x0
	v_cvt_f16_f32_e32 v3, v2
	s_delay_alu instid0(VALU_DEP_1)
	v_and_b32_e32 v3, 0xffff, v3
	global_store_b32 v[0:1], v3, off
.LBB14_1000:
	s_mov_b32 s12, 0
.LBB14_1001:
	s_delay_alu instid0(SALU_CYCLE_1)
	s_and_not1_b32 vcc_lo, exec_lo, s12
	s_cbranch_vccnz .LBB14_1010
; %bb.1002:
	s_sext_i32_i16 s15, s14
	s_mov_b32 s12, -1
	s_cmp_lt_i32 s15, 6
	s_cbranch_scc1 .LBB14_1008
; %bb.1003:
	s_cmp_gt_i32 s15, 6
	s_cbranch_scc0 .LBB14_1005
; %bb.1004:
	s_wait_loadcnt 0x0
	v_cvt_f64_f32_e32 v[4:5], v2
	s_mov_b32 s12, 0
	global_store_b64 v[0:1], v[4:5], off
.LBB14_1005:
	s_and_not1_b32 vcc_lo, exec_lo, s12
	s_cbranch_vccnz .LBB14_1007
; %bb.1006:
	s_wait_loadcnt 0x0
	global_store_b32 v[0:1], v2, off
.LBB14_1007:
	s_mov_b32 s12, 0
.LBB14_1008:
	s_delay_alu instid0(SALU_CYCLE_1)
	s_and_not1_b32 vcc_lo, exec_lo, s12
	s_cbranch_vccnz .LBB14_1010
; %bb.1009:
	s_wait_loadcnt 0x0
	v_cvt_f16_f32_e32 v3, v2
	global_store_b16 v[0:1], v3, off
.LBB14_1010:
	s_mov_b32 s12, 0
.LBB14_1011:
	s_delay_alu instid0(SALU_CYCLE_1)
	s_and_not1_b32 vcc_lo, exec_lo, s12
	s_cbranch_vccnz .LBB14_1027
; %bb.1012:
	s_sext_i32_i16 s15, s14
	s_mov_b32 s12, -1
	s_cmp_lt_i32 s15, 2
	s_cbranch_scc1 .LBB14_1022
; %bb.1013:
	s_cmp_lt_i32 s15, 3
	s_cbranch_scc1 .LBB14_1019
; %bb.1014:
	s_cmp_gt_i32 s15, 3
	s_cbranch_scc0 .LBB14_1016
; %bb.1015:
	s_wait_loadcnt 0x0
	v_trunc_f32_e32 v3, v2
	s_mov_b32 s12, 0
	s_delay_alu instid0(VALU_DEP_1) | instskip(NEXT) | instid1(VALU_DEP_1)
	v_mul_f32_e64 v4, 0x2f800000, |v3|
	v_floor_f32_e32 v5, v4
	v_ashrrev_i32_e32 v4, 31, v3
	s_delay_alu instid0(VALU_DEP_2) | instskip(SKIP_1) | instid1(VALU_DEP_3)
	v_fma_f32 v6, 0xcf800000, v5, |v3|
	v_cvt_u32_f32_e32 v3, v5
	v_mov_b32_e32 v5, v4
	s_delay_alu instid0(VALU_DEP_3) | instskip(NEXT) | instid1(VALU_DEP_3)
	v_cvt_u32_f32_e32 v6, v6
	v_xor_b32_e32 v7, v3, v4
	s_delay_alu instid0(VALU_DEP_2) | instskip(NEXT) | instid1(VALU_DEP_1)
	v_xor_b32_e32 v6, v6, v4
	v_sub_nc_u64_e32 v[4:5], v[6:7], v[4:5]
	global_store_b64 v[0:1], v[4:5], off
.LBB14_1016:
	s_and_not1_b32 vcc_lo, exec_lo, s12
	s_cbranch_vccnz .LBB14_1018
; %bb.1017:
	s_wait_loadcnt 0x0
	v_cvt_i32_f32_e32 v3, v2
	global_store_b32 v[0:1], v3, off
.LBB14_1018:
	s_mov_b32 s12, 0
.LBB14_1019:
	s_delay_alu instid0(SALU_CYCLE_1)
	s_and_not1_b32 vcc_lo, exec_lo, s12
	s_cbranch_vccnz .LBB14_1021
; %bb.1020:
	s_wait_loadcnt 0x0
	v_cvt_i32_f32_e32 v3, v2
	global_store_b16 v[0:1], v3, off
.LBB14_1021:
	s_mov_b32 s12, 0
.LBB14_1022:
	s_delay_alu instid0(SALU_CYCLE_1)
	s_and_not1_b32 vcc_lo, exec_lo, s12
	s_cbranch_vccnz .LBB14_1027
; %bb.1023:
	s_sext_i32_i16 s12, s14
	s_delay_alu instid0(SALU_CYCLE_1)
	s_cmp_gt_i32 s12, 0
	s_mov_b32 s12, -1
	s_cbranch_scc0 .LBB14_1025
; %bb.1024:
	s_wait_loadcnt 0x0
	v_cvt_i32_f32_e32 v3, v2
	s_mov_b32 s12, 0
	global_store_b8 v[0:1], v3, off
.LBB14_1025:
	s_and_not1_b32 vcc_lo, exec_lo, s12
	s_cbranch_vccnz .LBB14_1027
; %bb.1026:
	s_wait_loadcnt 0x0
	v_trunc_f32_e32 v2, v2
	s_delay_alu instid0(VALU_DEP_1) | instskip(NEXT) | instid1(VALU_DEP_1)
	v_mul_f32_e64 v3, 0x2f800000, |v2|
	v_floor_f32_e32 v3, v3
	s_delay_alu instid0(VALU_DEP_1) | instskip(SKIP_1) | instid1(VALU_DEP_2)
	v_fma_f32 v3, 0xcf800000, v3, |v2|
	v_ashrrev_i32_e32 v2, 31, v2
	v_cvt_u32_f32_e32 v3, v3
	s_delay_alu instid0(VALU_DEP_1) | instskip(NEXT) | instid1(VALU_DEP_1)
	v_xor_b32_e32 v3, v3, v2
	v_sub_nc_u32_e32 v2, v3, v2
	global_store_b8 v[0:1], v2, off
.LBB14_1027:
	s_wait_xcnt 0x0
	s_or_b32 exec_lo, exec_lo, s0
	s_delay_alu instid0(SALU_CYCLE_1)
	s_and_b32 s12, s13, exec_lo
                                        ; implicit-def: $vgpr4
.LBB14_1028:
	s_or_saveexec_b32 s3, s3
	s_mov_b32 s0, 0
                                        ; implicit-def: $sgpr13
                                        ; implicit-def: $vgpr0_vgpr1
                                        ; implicit-def: $vgpr2
	s_xor_b32 exec_lo, exec_lo, s3
	s_cbranch_execz .LBB14_1977
; %bb.1029:
	v_mul_lo_u32 v0, s9, v4
	s_and_b32 s0, 0xffff, s2
	s_delay_alu instid0(SALU_CYCLE_1) | instskip(NEXT) | instid1(VALU_DEP_1)
	s_cmp_lt_i32 s0, 11
	v_ashrrev_i32_e32 v1, 31, v0
	s_wait_loadcnt 0x0
	s_delay_alu instid0(VALU_DEP_1)
	v_add_nc_u64_e32 v[2:3], s[6:7], v[0:1]
	s_cbranch_scc1 .LBB14_1036
; %bb.1030:
	s_cmp_gt_i32 s0, 25
	s_mov_b32 s2, 0
	s_cbranch_scc0 .LBB14_1038
; %bb.1031:
	s_cmp_gt_i32 s0, 28
	s_cbranch_scc0 .LBB14_1039
; %bb.1032:
	s_cmp_gt_i32 s0, 43
	;; [unrolled: 3-line block ×3, first 2 shown]
	s_cbranch_scc0 .LBB14_1041
; %bb.1034:
	s_cmp_eq_u32 s0, 46
	s_mov_b32 s14, 0
	s_cbranch_scc0 .LBB14_1044
; %bb.1035:
	global_load_b32 v1, v[2:3], off
	s_mov_b32 s13, -1
	s_wait_loadcnt 0x0
	v_lshlrev_b32_e32 v5, 16, v1
	s_branch .LBB14_1046
.LBB14_1036:
	s_mov_b32 s13, 0
	s_mov_b32 s1, s12
                                        ; implicit-def: $vgpr5
	s_cbranch_execnz .LBB14_1109
.LBB14_1037:
	s_and_not1_b32 vcc_lo, exec_lo, s13
	s_cbranch_vccz .LBB14_1154
	s_branch .LBB14_1975
.LBB14_1038:
	s_mov_b32 s13, 0
                                        ; implicit-def: $vgpr5
	s_cbranch_execnz .LBB14_1074
	s_branch .LBB14_1105
.LBB14_1039:
	s_mov_b32 s14, -1
	s_mov_b32 s13, 0
                                        ; implicit-def: $vgpr5
	s_branch .LBB14_1055
.LBB14_1040:
	s_mov_b32 s13, 0
                                        ; implicit-def: $vgpr5
	s_cbranch_execnz .LBB14_1051
	s_branch .LBB14_1054
.LBB14_1041:
	s_mov_b32 s14, -1
	s_branch .LBB14_1045
.LBB14_1042:
	s_and_not1_saveexec_b32 s19, s19
	s_cbranch_execz .LBB14_938
.LBB14_1043:
	v_add_f32_e64 v3, 0x46000000, |v2|
	s_and_not1_b32 s18, s18, exec_lo
	s_delay_alu instid0(VALU_DEP_1) | instskip(NEXT) | instid1(VALU_DEP_1)
	v_and_b32_e32 v3, 0xff, v3
	v_cmp_ne_u32_e32 vcc_lo, 0, v3
	s_and_b32 s20, vcc_lo, exec_lo
	s_delay_alu instid0(SALU_CYCLE_1)
	s_or_b32 s18, s18, s20
	s_or_b32 exec_lo, exec_lo, s19
	v_mov_b32_e32 v4, 0
	s_and_saveexec_b32 s19, s18
	s_cbranch_execnz .LBB14_939
	s_branch .LBB14_940
.LBB14_1044:
	s_mov_b32 s1, -1
.LBB14_1045:
	s_mov_b32 s13, 0
                                        ; implicit-def: $vgpr5
.LBB14_1046:
	s_and_b32 vcc_lo, exec_lo, s14
	s_cbranch_vccz .LBB14_1049
; %bb.1047:
	s_cmp_eq_u32 s0, 44
	s_cbranch_scc0 .LBB14_1050
; %bb.1048:
	global_load_u8 v1, v[2:3], off
	s_mov_b32 s1, 0
	s_mov_b32 s13, -1
	s_wait_loadcnt 0x0
	v_lshlrev_b32_e32 v5, 23, v1
	v_cmp_ne_u32_e32 vcc_lo, 0xff, v1
	s_delay_alu instid0(VALU_DEP_2) | instskip(SKIP_1) | instid1(VALU_DEP_2)
	v_cndmask_b32_e32 v5, 0x7f800001, v5, vcc_lo
	v_cmp_ne_u32_e32 vcc_lo, 0, v1
	v_cndmask_b32_e32 v5, 0x400000, v5, vcc_lo
.LBB14_1049:
	s_branch .LBB14_1054
.LBB14_1050:
	s_mov_b32 s1, -1
                                        ; implicit-def: $vgpr5
	s_branch .LBB14_1054
.LBB14_1051:
	s_cmp_eq_u32 s0, 29
	s_cbranch_scc0 .LBB14_1053
; %bb.1052:
	global_load_b64 v[6:7], v[2:3], off
	s_mov_b32 s1, 0
	s_mov_b32 s13, -1
	s_mov_b32 s14, 0
	s_wait_loadcnt 0x0
	v_clz_i32_u32_e32 v1, v7
	s_delay_alu instid0(VALU_DEP_1) | instskip(NEXT) | instid1(VALU_DEP_1)
	v_min_u32_e32 v1, 32, v1
	v_lshlrev_b64_e32 v[6:7], v1, v[6:7]
	v_sub_nc_u32_e32 v1, 32, v1
	s_delay_alu instid0(VALU_DEP_2) | instskip(NEXT) | instid1(VALU_DEP_1)
	v_min_u32_e32 v5, 1, v6
	v_or_b32_e32 v5, v7, v5
	s_delay_alu instid0(VALU_DEP_1) | instskip(NEXT) | instid1(VALU_DEP_1)
	v_cvt_f32_u32_e32 v5, v5
	v_ldexp_f32 v5, v5, v1
	s_branch .LBB14_1055
.LBB14_1053:
	s_mov_b32 s1, -1
                                        ; implicit-def: $vgpr5
.LBB14_1054:
	s_mov_b32 s14, 0
.LBB14_1055:
	s_delay_alu instid0(SALU_CYCLE_1)
	s_and_b32 vcc_lo, exec_lo, s14
	s_cbranch_vccz .LBB14_1073
; %bb.1056:
	s_cmp_lt_i32 s0, 27
	s_cbranch_scc1 .LBB14_1059
; %bb.1057:
	s_cmp_gt_i32 s0, 27
	s_cbranch_scc0 .LBB14_1060
; %bb.1058:
	global_load_b32 v1, v[2:3], off
	s_mov_b32 s13, 0
	s_wait_loadcnt 0x0
	v_cvt_f32_u32_e32 v5, v1
	s_branch .LBB14_1061
.LBB14_1059:
	s_mov_b32 s13, -1
                                        ; implicit-def: $vgpr5
	s_branch .LBB14_1064
.LBB14_1060:
	s_mov_b32 s13, -1
                                        ; implicit-def: $vgpr5
.LBB14_1061:
	s_delay_alu instid0(SALU_CYCLE_1)
	s_and_not1_b32 vcc_lo, exec_lo, s13
	s_cbranch_vccnz .LBB14_1063
; %bb.1062:
	global_load_u16 v1, v[2:3], off
	s_wait_loadcnt 0x0
	v_cvt_f32_u32_e32 v5, v1
.LBB14_1063:
	s_mov_b32 s13, 0
.LBB14_1064:
	s_delay_alu instid0(SALU_CYCLE_1)
	s_and_not1_b32 vcc_lo, exec_lo, s13
	s_cbranch_vccnz .LBB14_1072
; %bb.1065:
	global_load_u8 v1, v[2:3], off
	s_mov_b32 s13, 0
	s_mov_b32 s14, exec_lo
	s_wait_loadcnt 0x0
	v_cmpx_lt_i16_e32 0x7f, v1
	s_xor_b32 s14, exec_lo, s14
	s_cbranch_execz .LBB14_1085
; %bb.1066:
	s_mov_b32 s13, -1
	s_mov_b32 s15, exec_lo
	v_cmpx_eq_u16_e32 0x80, v1
; %bb.1067:
	s_xor_b32 s13, exec_lo, -1
; %bb.1068:
	s_or_b32 exec_lo, exec_lo, s15
	s_delay_alu instid0(SALU_CYCLE_1)
	s_and_b32 s13, s13, exec_lo
	s_or_saveexec_b32 s14, s14
	v_mov_b32_e32 v5, 0x7f800001
	s_xor_b32 exec_lo, exec_lo, s14
	s_cbranch_execnz .LBB14_1086
.LBB14_1069:
	s_or_b32 exec_lo, exec_lo, s14
	s_and_saveexec_b32 s14, s13
	s_cbranch_execz .LBB14_1071
.LBB14_1070:
	v_and_b32_e32 v5, 0xffff, v1
	s_delay_alu instid0(VALU_DEP_1) | instskip(SKIP_1) | instid1(VALU_DEP_2)
	v_and_b32_e32 v6, 7, v5
	v_bfe_u32 v9, v5, 3, 4
	v_clz_i32_u32_e32 v7, v6
	s_delay_alu instid0(VALU_DEP_2) | instskip(NEXT) | instid1(VALU_DEP_2)
	v_cmp_eq_u32_e32 vcc_lo, 0, v9
	v_min_u32_e32 v7, 32, v7
	s_delay_alu instid0(VALU_DEP_1) | instskip(NEXT) | instid1(VALU_DEP_1)
	v_subrev_nc_u32_e32 v8, 28, v7
	v_dual_lshlrev_b32 v5, v8, v5 :: v_dual_sub_nc_u32 v7, 29, v7
	s_delay_alu instid0(VALU_DEP_1) | instskip(NEXT) | instid1(VALU_DEP_2)
	v_and_b32_e32 v5, 7, v5
	v_dual_lshlrev_b32 v1, 24, v1 :: v_dual_cndmask_b32 v7, v9, v7, vcc_lo
	s_delay_alu instid0(VALU_DEP_2) | instskip(NEXT) | instid1(VALU_DEP_2)
	v_cndmask_b32_e32 v5, v6, v5, vcc_lo
	v_and_b32_e32 v1, 0x80000000, v1
	s_delay_alu instid0(VALU_DEP_3) | instskip(NEXT) | instid1(VALU_DEP_3)
	v_lshl_add_u32 v6, v7, 23, 0x3b800000
	v_lshlrev_b32_e32 v5, 20, v5
	s_delay_alu instid0(VALU_DEP_1)
	v_or3_b32 v5, v1, v6, v5
.LBB14_1071:
	s_or_b32 exec_lo, exec_lo, s14
.LBB14_1072:
	s_mov_b32 s13, -1
.LBB14_1073:
	s_branch .LBB14_1105
.LBB14_1074:
	s_cmp_gt_i32 s0, 22
	s_cbranch_scc0 .LBB14_1084
; %bb.1075:
	s_cmp_lt_i32 s0, 24
	s_cbranch_scc1 .LBB14_1087
; %bb.1076:
	s_cmp_gt_i32 s0, 24
	s_cbranch_scc0 .LBB14_1088
; %bb.1077:
	global_load_u8 v1, v[2:3], off
	s_mov_b32 s13, exec_lo
	s_wait_loadcnt 0x0
	v_cmpx_lt_i16_e32 0x7f, v1
	s_xor_b32 s13, exec_lo, s13
	s_cbranch_execz .LBB14_1099
; %bb.1078:
	s_mov_b32 s2, -1
	s_mov_b32 s14, exec_lo
	v_cmpx_eq_u16_e32 0x80, v1
; %bb.1079:
	s_xor_b32 s2, exec_lo, -1
; %bb.1080:
	s_or_b32 exec_lo, exec_lo, s14
	s_delay_alu instid0(SALU_CYCLE_1)
	s_and_b32 s2, s2, exec_lo
	s_or_saveexec_b32 s13, s13
	v_mov_b32_e32 v5, 0x7f800001
	s_xor_b32 exec_lo, exec_lo, s13
	s_cbranch_execnz .LBB14_1100
.LBB14_1081:
	s_or_b32 exec_lo, exec_lo, s13
	s_and_saveexec_b32 s13, s2
	s_cbranch_execz .LBB14_1083
.LBB14_1082:
	v_and_b32_e32 v5, 0xffff, v1
	s_delay_alu instid0(VALU_DEP_1) | instskip(SKIP_1) | instid1(VALU_DEP_2)
	v_and_b32_e32 v6, 3, v5
	v_bfe_u32 v9, v5, 2, 5
	v_clz_i32_u32_e32 v7, v6
	s_delay_alu instid0(VALU_DEP_2) | instskip(NEXT) | instid1(VALU_DEP_2)
	v_cmp_eq_u32_e32 vcc_lo, 0, v9
	v_min_u32_e32 v7, 32, v7
	s_delay_alu instid0(VALU_DEP_1) | instskip(NEXT) | instid1(VALU_DEP_1)
	v_subrev_nc_u32_e32 v8, 29, v7
	v_dual_lshlrev_b32 v5, v8, v5 :: v_dual_sub_nc_u32 v7, 30, v7
	s_delay_alu instid0(VALU_DEP_1) | instskip(NEXT) | instid1(VALU_DEP_2)
	v_and_b32_e32 v5, 3, v5
	v_dual_lshlrev_b32 v1, 24, v1 :: v_dual_cndmask_b32 v7, v9, v7, vcc_lo
	s_delay_alu instid0(VALU_DEP_2) | instskip(NEXT) | instid1(VALU_DEP_2)
	v_cndmask_b32_e32 v5, v6, v5, vcc_lo
	v_and_b32_e32 v1, 0x80000000, v1
	s_delay_alu instid0(VALU_DEP_3) | instskip(NEXT) | instid1(VALU_DEP_3)
	v_lshl_add_u32 v6, v7, 23, 0x37800000
	v_lshlrev_b32_e32 v5, 21, v5
	s_delay_alu instid0(VALU_DEP_1)
	v_or3_b32 v5, v1, v6, v5
.LBB14_1083:
	s_or_b32 exec_lo, exec_lo, s13
	s_mov_b32 s2, 0
	s_branch .LBB14_1089
.LBB14_1084:
                                        ; implicit-def: $vgpr5
	s_mov_b32 s2, 0
	s_branch .LBB14_1095
.LBB14_1085:
	s_or_saveexec_b32 s14, s14
	v_mov_b32_e32 v5, 0x7f800001
	s_xor_b32 exec_lo, exec_lo, s14
	s_cbranch_execz .LBB14_1069
.LBB14_1086:
	v_cmp_ne_u16_e32 vcc_lo, 0, v1
	v_mov_b32_e32 v5, 0
	s_and_not1_b32 s13, s13, exec_lo
	s_and_b32 s15, vcc_lo, exec_lo
	s_delay_alu instid0(SALU_CYCLE_1)
	s_or_b32 s13, s13, s15
	s_or_b32 exec_lo, exec_lo, s14
	s_and_saveexec_b32 s14, s13
	s_cbranch_execnz .LBB14_1070
	s_branch .LBB14_1071
.LBB14_1087:
	s_mov_b32 s2, -1
                                        ; implicit-def: $vgpr5
	s_branch .LBB14_1092
.LBB14_1088:
	s_mov_b32 s2, -1
                                        ; implicit-def: $vgpr5
.LBB14_1089:
	s_delay_alu instid0(SALU_CYCLE_1)
	s_and_b32 vcc_lo, exec_lo, s2
	s_cbranch_vccz .LBB14_1091
; %bb.1090:
	global_load_u8 v1, v[2:3], off
	s_wait_loadcnt 0x0
	v_lshlrev_b32_e32 v1, 24, v1
	s_delay_alu instid0(VALU_DEP_1) | instskip(NEXT) | instid1(VALU_DEP_1)
	v_and_b32_e32 v5, 0x7f000000, v1
	v_clz_i32_u32_e32 v6, v5
	v_cmp_ne_u32_e32 vcc_lo, 0, v5
	v_add_nc_u32_e32 v8, 0x1000000, v5
	s_delay_alu instid0(VALU_DEP_3) | instskip(NEXT) | instid1(VALU_DEP_1)
	v_min_u32_e32 v6, 32, v6
	v_sub_nc_u32_e64 v6, v6, 4 clamp
	s_delay_alu instid0(VALU_DEP_1) | instskip(NEXT) | instid1(VALU_DEP_1)
	v_dual_lshlrev_b32 v7, v6, v5 :: v_dual_lshlrev_b32 v6, 23, v6
	v_lshrrev_b32_e32 v7, 4, v7
	s_delay_alu instid0(VALU_DEP_1) | instskip(NEXT) | instid1(VALU_DEP_1)
	v_dual_sub_nc_u32 v6, v7, v6 :: v_dual_ashrrev_i32 v7, 8, v8
	v_add_nc_u32_e32 v6, 0x3c000000, v6
	s_delay_alu instid0(VALU_DEP_1) | instskip(NEXT) | instid1(VALU_DEP_1)
	v_and_or_b32 v6, 0x7f800000, v7, v6
	v_cndmask_b32_e32 v5, 0, v6, vcc_lo
	s_delay_alu instid0(VALU_DEP_1)
	v_and_or_b32 v5, 0x80000000, v1, v5
.LBB14_1091:
	s_mov_b32 s2, 0
.LBB14_1092:
	s_delay_alu instid0(SALU_CYCLE_1)
	s_and_not1_b32 vcc_lo, exec_lo, s2
	s_cbranch_vccnz .LBB14_1094
; %bb.1093:
	global_load_u8 v1, v[2:3], off
	s_wait_loadcnt 0x0
	v_lshlrev_b32_e32 v5, 25, v1
	v_lshlrev_b16 v1, 8, v1
	s_delay_alu instid0(VALU_DEP_1) | instskip(SKIP_1) | instid1(VALU_DEP_2)
	v_and_or_b32 v7, 0x7f00, v1, 0.5
	v_bfe_i32 v1, v1, 0, 16
	v_dual_add_f32 v7, -0.5, v7 :: v_dual_lshrrev_b32 v6, 4, v5
	v_cmp_gt_u32_e32 vcc_lo, 0x8000000, v5
	s_delay_alu instid0(VALU_DEP_2) | instskip(NEXT) | instid1(VALU_DEP_1)
	v_or_b32_e32 v6, 0x70000000, v6
	v_mul_f32_e32 v6, 0x7800000, v6
	s_delay_alu instid0(VALU_DEP_1) | instskip(NEXT) | instid1(VALU_DEP_1)
	v_cndmask_b32_e32 v5, v6, v7, vcc_lo
	v_and_or_b32 v5, 0x80000000, v1, v5
.LBB14_1094:
	s_mov_b32 s13, -1
	s_mov_b32 s2, 0
	s_cbranch_execnz .LBB14_1105
.LBB14_1095:
	s_cmp_gt_i32 s0, 14
	s_cbranch_scc0 .LBB14_1098
; %bb.1096:
	s_cmp_eq_u32 s0, 15
	s_cbranch_scc0 .LBB14_1101
; %bb.1097:
	global_load_u16 v1, v[2:3], off
	s_mov_b32 s1, 0
	s_mov_b32 s13, -1
	s_wait_loadcnt 0x0
	v_lshlrev_b32_e32 v5, 16, v1
	s_branch .LBB14_1103
.LBB14_1098:
	s_mov_b32 s2, -1
	s_branch .LBB14_1102
.LBB14_1099:
	s_or_saveexec_b32 s13, s13
	v_mov_b32_e32 v5, 0x7f800001
	s_xor_b32 exec_lo, exec_lo, s13
	s_cbranch_execz .LBB14_1081
.LBB14_1100:
	v_cmp_ne_u16_e32 vcc_lo, 0, v1
	v_mov_b32_e32 v5, 0
	s_and_not1_b32 s2, s2, exec_lo
	s_and_b32 s14, vcc_lo, exec_lo
	s_delay_alu instid0(SALU_CYCLE_1)
	s_or_b32 s2, s2, s14
	s_or_b32 exec_lo, exec_lo, s13
	s_and_saveexec_b32 s13, s2
	s_cbranch_execnz .LBB14_1082
	s_branch .LBB14_1083
.LBB14_1101:
	s_mov_b32 s1, -1
.LBB14_1102:
                                        ; implicit-def: $vgpr5
.LBB14_1103:
	s_and_b32 vcc_lo, exec_lo, s2
	s_mov_b32 s2, 0
	s_cbranch_vccz .LBB14_1105
; %bb.1104:
	s_cmp_lg_u32 s0, 11
	s_mov_b32 s2, -1
	s_cselect_b32 s1, -1, 0
.LBB14_1105:
	s_delay_alu instid0(SALU_CYCLE_1)
	s_and_b32 vcc_lo, exec_lo, s1
	s_mov_b32 s1, s12
	s_cbranch_vccnz .LBB14_1166
; %bb.1106:
	s_and_not1_b32 vcc_lo, exec_lo, s2
	s_cbranch_vccnz .LBB14_1108
.LBB14_1107:
	global_load_u8 v1, v[2:3], off
	s_mov_b32 s13, -1
	s_wait_loadcnt 0x0
	v_cmp_ne_u16_e32 vcc_lo, 0, v1
	v_cndmask_b32_e64 v5, 0, 1.0, vcc_lo
.LBB14_1108:
	s_branch .LBB14_1037
.LBB14_1109:
	s_cmp_lt_i32 s0, 5
	s_cbranch_scc1 .LBB14_1114
; %bb.1110:
	s_cmp_lt_i32 s0, 8
	s_cbranch_scc1 .LBB14_1115
; %bb.1111:
	s_cmp_lt_i32 s0, 9
	s_cbranch_scc1 .LBB14_1116
; %bb.1112:
	s_cmp_gt_i32 s0, 9
	s_cbranch_scc0 .LBB14_1117
; %bb.1113:
	global_load_b64 v[6:7], v[2:3], off
	s_mov_b32 s2, 0
	s_wait_loadcnt 0x0
	v_cvt_f32_f64_e32 v5, v[6:7]
	s_branch .LBB14_1118
.LBB14_1114:
                                        ; implicit-def: $vgpr5
	s_branch .LBB14_1135
.LBB14_1115:
                                        ; implicit-def: $vgpr5
	s_branch .LBB14_1124
.LBB14_1116:
	s_mov_b32 s2, -1
                                        ; implicit-def: $vgpr5
	s_branch .LBB14_1121
.LBB14_1117:
	s_mov_b32 s2, -1
                                        ; implicit-def: $vgpr5
.LBB14_1118:
	s_delay_alu instid0(SALU_CYCLE_1)
	s_and_not1_b32 vcc_lo, exec_lo, s2
	s_cbranch_vccnz .LBB14_1120
; %bb.1119:
	global_load_b32 v5, v[2:3], off
.LBB14_1120:
	s_mov_b32 s2, 0
.LBB14_1121:
	s_delay_alu instid0(SALU_CYCLE_1)
	s_and_not1_b32 vcc_lo, exec_lo, s2
	s_cbranch_vccnz .LBB14_1123
; %bb.1122:
	global_load_b32 v1, v[2:3], off
	s_wait_loadcnt 0x0
	v_cvt_f32_f16_e32 v5, v1
.LBB14_1123:
	s_cbranch_execnz .LBB14_1134
.LBB14_1124:
	s_cmp_lt_i32 s0, 6
	s_cbranch_scc1 .LBB14_1127
; %bb.1125:
	s_cmp_gt_i32 s0, 6
	s_cbranch_scc0 .LBB14_1128
; %bb.1126:
	global_load_b64 v[6:7], v[2:3], off
	s_mov_b32 s2, 0
	s_wait_loadcnt 0x0
	v_cvt_f32_f64_e32 v5, v[6:7]
	s_branch .LBB14_1129
.LBB14_1127:
	s_mov_b32 s2, -1
                                        ; implicit-def: $vgpr5
	s_branch .LBB14_1132
.LBB14_1128:
	s_mov_b32 s2, -1
                                        ; implicit-def: $vgpr5
.LBB14_1129:
	s_delay_alu instid0(SALU_CYCLE_1)
	s_and_not1_b32 vcc_lo, exec_lo, s2
	s_cbranch_vccnz .LBB14_1131
; %bb.1130:
	s_wait_loadcnt 0x0
	global_load_b32 v5, v[2:3], off
.LBB14_1131:
	s_mov_b32 s2, 0
.LBB14_1132:
	s_delay_alu instid0(SALU_CYCLE_1)
	s_and_not1_b32 vcc_lo, exec_lo, s2
	s_cbranch_vccnz .LBB14_1134
; %bb.1133:
	global_load_u16 v1, v[2:3], off
	s_wait_loadcnt 0x0
	v_cvt_f32_f16_e32 v5, v1
.LBB14_1134:
	s_cbranch_execnz .LBB14_1153
.LBB14_1135:
	s_cmp_lt_i32 s0, 2
	s_cbranch_scc1 .LBB14_1139
; %bb.1136:
	s_cmp_lt_i32 s0, 3
	s_cbranch_scc1 .LBB14_1140
; %bb.1137:
	s_cmp_gt_i32 s0, 3
	s_cbranch_scc0 .LBB14_1141
; %bb.1138:
	global_load_b64 v[6:7], v[2:3], off
	s_mov_b32 s2, 0
	s_wait_loadcnt 0x0
	v_xor_b32_e32 v1, v6, v7
	v_cls_i32_e32 v5, v7
	s_delay_alu instid0(VALU_DEP_2) | instskip(NEXT) | instid1(VALU_DEP_1)
	v_ashrrev_i32_e32 v1, 31, v1
	v_add_nc_u32_e32 v1, 32, v1
	s_delay_alu instid0(VALU_DEP_1) | instskip(NEXT) | instid1(VALU_DEP_1)
	v_add_min_u32_e64 v1, v5, -1, v1
	v_lshlrev_b64_e32 v[6:7], v1, v[6:7]
	v_sub_nc_u32_e32 v1, 32, v1
	s_delay_alu instid0(VALU_DEP_2) | instskip(NEXT) | instid1(VALU_DEP_1)
	v_min_u32_e32 v5, 1, v6
	v_or_b32_e32 v5, v7, v5
	s_delay_alu instid0(VALU_DEP_1) | instskip(NEXT) | instid1(VALU_DEP_1)
	v_cvt_f32_i32_e32 v5, v5
	v_ldexp_f32 v5, v5, v1
	s_branch .LBB14_1142
.LBB14_1139:
                                        ; implicit-def: $vgpr5
	s_branch .LBB14_1148
.LBB14_1140:
	s_mov_b32 s2, -1
                                        ; implicit-def: $vgpr5
	s_branch .LBB14_1145
.LBB14_1141:
	s_mov_b32 s2, -1
                                        ; implicit-def: $vgpr5
.LBB14_1142:
	s_delay_alu instid0(SALU_CYCLE_1)
	s_and_not1_b32 vcc_lo, exec_lo, s2
	s_cbranch_vccnz .LBB14_1144
; %bb.1143:
	global_load_b32 v1, v[2:3], off
	s_wait_loadcnt 0x0
	v_cvt_f32_i32_e32 v5, v1
.LBB14_1144:
	s_mov_b32 s2, 0
.LBB14_1145:
	s_delay_alu instid0(SALU_CYCLE_1)
	s_and_not1_b32 vcc_lo, exec_lo, s2
	s_cbranch_vccnz .LBB14_1147
; %bb.1146:
	global_load_i16 v1, v[2:3], off
	s_wait_loadcnt 0x0
	v_cvt_f32_i32_e32 v5, v1
.LBB14_1147:
	s_cbranch_execnz .LBB14_1153
.LBB14_1148:
	s_cmp_gt_i32 s0, 0
	s_mov_b32 s2, 0
	s_cbranch_scc0 .LBB14_1150
; %bb.1149:
	global_load_i8 v1, v[2:3], off
	s_wait_loadcnt 0x0
	v_cvt_f32_i32_e32 v5, v1
	s_branch .LBB14_1151
.LBB14_1150:
	s_mov_b32 s2, -1
                                        ; implicit-def: $vgpr5
.LBB14_1151:
	s_delay_alu instid0(SALU_CYCLE_1)
	s_and_not1_b32 vcc_lo, exec_lo, s2
	s_cbranch_vccnz .LBB14_1153
; %bb.1152:
	global_load_u8 v1, v[2:3], off
	s_wait_loadcnt 0x0
	v_cvt_f32_ubyte0_e32 v5, v1
.LBB14_1153:
.LBB14_1154:
	s_lshl_b32 s2, s9, 7
	s_cmp_lt_i32 s0, 11
	v_add_nc_u32_e32 v0, s2, v0
	s_delay_alu instid0(VALU_DEP_1) | instskip(SKIP_1) | instid1(VALU_DEP_1)
	v_ashrrev_i32_e32 v1, 31, v0
	s_wait_xcnt 0x0
	v_add_nc_u64_e32 v[2:3], s[6:7], v[0:1]
	s_cbranch_scc1 .LBB14_1161
; %bb.1155:
	s_cmp_gt_i32 s0, 25
	s_mov_b32 s13, 0
	s_cbranch_scc0 .LBB14_1163
; %bb.1156:
	s_cmp_gt_i32 s0, 28
	s_cbranch_scc0 .LBB14_1164
; %bb.1157:
	s_cmp_gt_i32 s0, 43
	;; [unrolled: 3-line block ×3, first 2 shown]
	s_cbranch_scc0 .LBB14_1167
; %bb.1159:
	s_cmp_eq_u32 s0, 46
	s_mov_b32 s15, 0
	s_cbranch_scc0 .LBB14_1170
; %bb.1160:
	global_load_b32 v1, v[2:3], off
	s_mov_b32 s9, 0
	s_mov_b32 s14, -1
	s_wait_loadcnt 0x0
	v_lshlrev_b32_e32 v8, 16, v1
	s_branch .LBB14_1172
.LBB14_1161:
	s_mov_b32 s14, 0
                                        ; implicit-def: $vgpr8
	s_cbranch_execnz .LBB14_1237
.LBB14_1162:
	s_and_not1_b32 vcc_lo, exec_lo, s14
	s_cbranch_vccz .LBB14_1284
	s_branch .LBB14_1975
.LBB14_1163:
	s_mov_b32 s14, 0
	s_mov_b32 s9, 0
                                        ; implicit-def: $vgpr8
	s_cbranch_execnz .LBB14_1201
	s_branch .LBB14_1233
.LBB14_1164:
	s_mov_b32 s15, -1
	s_mov_b32 s14, 0
	s_mov_b32 s9, 0
                                        ; implicit-def: $vgpr8
	s_branch .LBB14_1182
.LBB14_1165:
	s_mov_b32 s15, -1
	s_mov_b32 s14, 0
	s_mov_b32 s9, 0
                                        ; implicit-def: $vgpr8
	s_branch .LBB14_1177
.LBB14_1166:
	s_or_b32 s1, s12, exec_lo
	s_trap 2
	s_cbranch_execz .LBB14_1107
	s_branch .LBB14_1108
.LBB14_1167:
	s_mov_b32 s15, -1
	s_mov_b32 s14, 0
	s_mov_b32 s9, 0
	s_branch .LBB14_1171
.LBB14_1168:
	s_and_not1_saveexec_b32 s20, s20
	s_cbranch_execz .LBB14_950
.LBB14_1169:
	v_add_f32_e64 v3, 0x42800000, |v2|
	s_and_not1_b32 s19, s19, exec_lo
	s_delay_alu instid0(VALU_DEP_1) | instskip(NEXT) | instid1(VALU_DEP_1)
	v_and_b32_e32 v3, 0xff, v3
	v_cmp_ne_u32_e32 vcc_lo, 0, v3
	s_and_b32 s21, vcc_lo, exec_lo
	s_delay_alu instid0(SALU_CYCLE_1)
	s_or_b32 s19, s19, s21
	s_or_b32 exec_lo, exec_lo, s20
	v_mov_b32_e32 v4, 0
	s_and_saveexec_b32 s20, s19
	s_cbranch_execnz .LBB14_951
	s_branch .LBB14_952
.LBB14_1170:
	s_mov_b32 s9, -1
	s_mov_b32 s14, 0
.LBB14_1171:
                                        ; implicit-def: $vgpr8
.LBB14_1172:
	s_and_b32 vcc_lo, exec_lo, s15
	s_cbranch_vccz .LBB14_1176
; %bb.1173:
	s_cmp_eq_u32 s0, 44
	s_cbranch_scc0 .LBB14_1175
; %bb.1174:
	global_load_u8 v1, v[2:3], off
	s_mov_b32 s9, 0
	s_mov_b32 s14, -1
	s_wait_loadcnt 0x0
	v_lshlrev_b32_e32 v6, 23, v1
	v_cmp_ne_u32_e32 vcc_lo, 0xff, v1
	s_delay_alu instid0(VALU_DEP_2) | instskip(SKIP_1) | instid1(VALU_DEP_2)
	v_cndmask_b32_e32 v6, 0x7f800001, v6, vcc_lo
	v_cmp_ne_u32_e32 vcc_lo, 0, v1
	v_cndmask_b32_e32 v8, 0x400000, v6, vcc_lo
	s_branch .LBB14_1176
.LBB14_1175:
	s_mov_b32 s9, -1
                                        ; implicit-def: $vgpr8
.LBB14_1176:
	s_mov_b32 s15, 0
.LBB14_1177:
	s_delay_alu instid0(SALU_CYCLE_1)
	s_and_b32 vcc_lo, exec_lo, s15
	s_cbranch_vccz .LBB14_1181
; %bb.1178:
	s_cmp_eq_u32 s0, 29
	s_cbranch_scc0 .LBB14_1180
; %bb.1179:
	global_load_b64 v[6:7], v[2:3], off
	s_mov_b32 s9, 0
	s_mov_b32 s14, -1
	s_mov_b32 s15, 0
	s_wait_loadcnt 0x0
	v_clz_i32_u32_e32 v1, v7
	s_delay_alu instid0(VALU_DEP_1) | instskip(NEXT) | instid1(VALU_DEP_1)
	v_min_u32_e32 v1, 32, v1
	v_lshlrev_b64_e32 v[6:7], v1, v[6:7]
	v_sub_nc_u32_e32 v1, 32, v1
	s_delay_alu instid0(VALU_DEP_2) | instskip(NEXT) | instid1(VALU_DEP_1)
	v_min_u32_e32 v6, 1, v6
	v_or_b32_e32 v6, v7, v6
	s_delay_alu instid0(VALU_DEP_1) | instskip(NEXT) | instid1(VALU_DEP_1)
	v_cvt_f32_u32_e32 v6, v6
	v_ldexp_f32 v8, v6, v1
	s_branch .LBB14_1182
.LBB14_1180:
	s_mov_b32 s9, -1
                                        ; implicit-def: $vgpr8
.LBB14_1181:
	s_mov_b32 s15, 0
.LBB14_1182:
	s_delay_alu instid0(SALU_CYCLE_1)
	s_and_b32 vcc_lo, exec_lo, s15
	s_cbranch_vccz .LBB14_1200
; %bb.1183:
	s_cmp_lt_i32 s0, 27
	s_cbranch_scc1 .LBB14_1186
; %bb.1184:
	s_cmp_gt_i32 s0, 27
	s_cbranch_scc0 .LBB14_1187
; %bb.1185:
	global_load_b32 v1, v[2:3], off
	s_mov_b32 s14, 0
	s_wait_loadcnt 0x0
	v_cvt_f32_u32_e32 v8, v1
	s_branch .LBB14_1188
.LBB14_1186:
	s_mov_b32 s14, -1
                                        ; implicit-def: $vgpr8
	s_branch .LBB14_1191
.LBB14_1187:
	s_mov_b32 s14, -1
                                        ; implicit-def: $vgpr8
.LBB14_1188:
	s_delay_alu instid0(SALU_CYCLE_1)
	s_and_not1_b32 vcc_lo, exec_lo, s14
	s_cbranch_vccnz .LBB14_1190
; %bb.1189:
	global_load_u16 v1, v[2:3], off
	s_wait_loadcnt 0x0
	v_cvt_f32_u32_e32 v8, v1
.LBB14_1190:
	s_mov_b32 s14, 0
.LBB14_1191:
	s_delay_alu instid0(SALU_CYCLE_1)
	s_and_not1_b32 vcc_lo, exec_lo, s14
	s_cbranch_vccnz .LBB14_1199
; %bb.1192:
	global_load_u8 v1, v[2:3], off
	s_mov_b32 s14, 0
	s_mov_b32 s15, exec_lo
	s_wait_loadcnt 0x0
	v_cmpx_lt_i16_e32 0x7f, v1
	s_xor_b32 s15, exec_lo, s15
	s_cbranch_execz .LBB14_1212
; %bb.1193:
	s_mov_b32 s14, -1
	s_mov_b32 s16, exec_lo
	v_cmpx_eq_u16_e32 0x80, v1
; %bb.1194:
	s_xor_b32 s14, exec_lo, -1
; %bb.1195:
	s_or_b32 exec_lo, exec_lo, s16
	s_delay_alu instid0(SALU_CYCLE_1)
	s_and_b32 s14, s14, exec_lo
	s_or_saveexec_b32 s15, s15
	v_mov_b32_e32 v8, 0x7f800001
	s_xor_b32 exec_lo, exec_lo, s15
	s_cbranch_execnz .LBB14_1213
.LBB14_1196:
	s_or_b32 exec_lo, exec_lo, s15
	s_and_saveexec_b32 s15, s14
	s_cbranch_execz .LBB14_1198
.LBB14_1197:
	v_and_b32_e32 v6, 0xffff, v1
	s_delay_alu instid0(VALU_DEP_1) | instskip(SKIP_1) | instid1(VALU_DEP_2)
	v_and_b32_e32 v7, 7, v6
	v_bfe_u32 v10, v6, 3, 4
	v_clz_i32_u32_e32 v8, v7
	s_delay_alu instid0(VALU_DEP_2) | instskip(NEXT) | instid1(VALU_DEP_2)
	v_cmp_eq_u32_e32 vcc_lo, 0, v10
	v_min_u32_e32 v8, 32, v8
	s_delay_alu instid0(VALU_DEP_1) | instskip(NEXT) | instid1(VALU_DEP_1)
	v_subrev_nc_u32_e32 v9, 28, v8
	v_dual_lshlrev_b32 v6, v9, v6 :: v_dual_sub_nc_u32 v8, 29, v8
	s_delay_alu instid0(VALU_DEP_1) | instskip(NEXT) | instid1(VALU_DEP_1)
	v_dual_lshlrev_b32 v1, 24, v1 :: v_dual_bitop2_b32 v6, 7, v6 bitop3:0x40
	v_dual_cndmask_b32 v8, v10, v8, vcc_lo :: v_dual_cndmask_b32 v6, v7, v6, vcc_lo
	s_delay_alu instid0(VALU_DEP_2) | instskip(NEXT) | instid1(VALU_DEP_2)
	v_and_b32_e32 v1, 0x80000000, v1
	v_lshl_add_u32 v7, v8, 23, 0x3b800000
	s_delay_alu instid0(VALU_DEP_3) | instskip(NEXT) | instid1(VALU_DEP_1)
	v_lshlrev_b32_e32 v6, 20, v6
	v_or3_b32 v8, v1, v7, v6
.LBB14_1198:
	s_or_b32 exec_lo, exec_lo, s15
.LBB14_1199:
	s_mov_b32 s14, -1
.LBB14_1200:
	s_branch .LBB14_1233
.LBB14_1201:
	s_cmp_gt_i32 s0, 22
	s_cbranch_scc0 .LBB14_1211
; %bb.1202:
	s_cmp_lt_i32 s0, 24
	s_cbranch_scc1 .LBB14_1214
; %bb.1203:
	s_cmp_gt_i32 s0, 24
	s_cbranch_scc0 .LBB14_1215
; %bb.1204:
	global_load_u8 v1, v[2:3], off
	s_mov_b32 s14, exec_lo
	s_wait_loadcnt 0x0
	v_cmpx_lt_i16_e32 0x7f, v1
	s_xor_b32 s14, exec_lo, s14
	s_cbranch_execz .LBB14_1227
; %bb.1205:
	s_mov_b32 s13, -1
	s_mov_b32 s15, exec_lo
	v_cmpx_eq_u16_e32 0x80, v1
; %bb.1206:
	s_xor_b32 s13, exec_lo, -1
; %bb.1207:
	s_or_b32 exec_lo, exec_lo, s15
	s_delay_alu instid0(SALU_CYCLE_1)
	s_and_b32 s13, s13, exec_lo
	s_or_saveexec_b32 s14, s14
	v_mov_b32_e32 v8, 0x7f800001
	s_xor_b32 exec_lo, exec_lo, s14
	s_cbranch_execnz .LBB14_1228
.LBB14_1208:
	s_or_b32 exec_lo, exec_lo, s14
	s_and_saveexec_b32 s14, s13
	s_cbranch_execz .LBB14_1210
.LBB14_1209:
	v_and_b32_e32 v6, 0xffff, v1
	s_delay_alu instid0(VALU_DEP_1) | instskip(SKIP_1) | instid1(VALU_DEP_2)
	v_and_b32_e32 v7, 3, v6
	v_bfe_u32 v10, v6, 2, 5
	v_clz_i32_u32_e32 v8, v7
	s_delay_alu instid0(VALU_DEP_2) | instskip(NEXT) | instid1(VALU_DEP_2)
	v_cmp_eq_u32_e32 vcc_lo, 0, v10
	v_min_u32_e32 v8, 32, v8
	s_delay_alu instid0(VALU_DEP_1) | instskip(NEXT) | instid1(VALU_DEP_1)
	v_subrev_nc_u32_e32 v9, 29, v8
	v_dual_lshlrev_b32 v6, v9, v6 :: v_dual_sub_nc_u32 v8, 30, v8
	s_delay_alu instid0(VALU_DEP_1) | instskip(NEXT) | instid1(VALU_DEP_1)
	v_dual_lshlrev_b32 v1, 24, v1 :: v_dual_bitop2_b32 v6, 3, v6 bitop3:0x40
	v_dual_cndmask_b32 v8, v10, v8, vcc_lo :: v_dual_cndmask_b32 v6, v7, v6, vcc_lo
	s_delay_alu instid0(VALU_DEP_2) | instskip(NEXT) | instid1(VALU_DEP_2)
	v_and_b32_e32 v1, 0x80000000, v1
	v_lshl_add_u32 v7, v8, 23, 0x37800000
	s_delay_alu instid0(VALU_DEP_3) | instskip(NEXT) | instid1(VALU_DEP_1)
	v_lshlrev_b32_e32 v6, 21, v6
	v_or3_b32 v8, v1, v7, v6
.LBB14_1210:
	s_or_b32 exec_lo, exec_lo, s14
	s_mov_b32 s13, 0
	s_branch .LBB14_1216
.LBB14_1211:
	s_mov_b32 s13, -1
                                        ; implicit-def: $vgpr8
	s_branch .LBB14_1222
.LBB14_1212:
	s_or_saveexec_b32 s15, s15
	v_mov_b32_e32 v8, 0x7f800001
	s_xor_b32 exec_lo, exec_lo, s15
	s_cbranch_execz .LBB14_1196
.LBB14_1213:
	v_cmp_ne_u16_e32 vcc_lo, 0, v1
	v_mov_b32_e32 v8, 0
	s_and_not1_b32 s14, s14, exec_lo
	s_and_b32 s16, vcc_lo, exec_lo
	s_delay_alu instid0(SALU_CYCLE_1)
	s_or_b32 s14, s14, s16
	s_or_b32 exec_lo, exec_lo, s15
	s_and_saveexec_b32 s15, s14
	s_cbranch_execnz .LBB14_1197
	s_branch .LBB14_1198
.LBB14_1214:
	s_mov_b32 s13, -1
                                        ; implicit-def: $vgpr8
	s_branch .LBB14_1219
.LBB14_1215:
	s_mov_b32 s13, -1
                                        ; implicit-def: $vgpr8
.LBB14_1216:
	s_delay_alu instid0(SALU_CYCLE_1)
	s_and_b32 vcc_lo, exec_lo, s13
	s_cbranch_vccz .LBB14_1218
; %bb.1217:
	global_load_u8 v1, v[2:3], off
	s_wait_loadcnt 0x0
	v_lshlrev_b32_e32 v1, 24, v1
	s_delay_alu instid0(VALU_DEP_1) | instskip(NEXT) | instid1(VALU_DEP_1)
	v_and_b32_e32 v6, 0x7f000000, v1
	v_clz_i32_u32_e32 v7, v6
	v_cmp_ne_u32_e32 vcc_lo, 0, v6
	v_add_nc_u32_e32 v9, 0x1000000, v6
	s_delay_alu instid0(VALU_DEP_3) | instskip(NEXT) | instid1(VALU_DEP_1)
	v_min_u32_e32 v7, 32, v7
	v_sub_nc_u32_e64 v7, v7, 4 clamp
	s_delay_alu instid0(VALU_DEP_1) | instskip(NEXT) | instid1(VALU_DEP_1)
	v_dual_lshlrev_b32 v8, v7, v6 :: v_dual_lshlrev_b32 v7, 23, v7
	v_lshrrev_b32_e32 v8, 4, v8
	s_delay_alu instid0(VALU_DEP_1) | instskip(NEXT) | instid1(VALU_DEP_1)
	v_dual_sub_nc_u32 v7, v8, v7 :: v_dual_ashrrev_i32 v8, 8, v9
	v_add_nc_u32_e32 v7, 0x3c000000, v7
	s_delay_alu instid0(VALU_DEP_1) | instskip(NEXT) | instid1(VALU_DEP_1)
	v_and_or_b32 v7, 0x7f800000, v8, v7
	v_cndmask_b32_e32 v6, 0, v7, vcc_lo
	s_delay_alu instid0(VALU_DEP_1)
	v_and_or_b32 v8, 0x80000000, v1, v6
.LBB14_1218:
	s_mov_b32 s13, 0
.LBB14_1219:
	s_delay_alu instid0(SALU_CYCLE_1)
	s_and_not1_b32 vcc_lo, exec_lo, s13
	s_cbranch_vccnz .LBB14_1221
; %bb.1220:
	global_load_u8 v1, v[2:3], off
	s_wait_loadcnt 0x0
	v_lshlrev_b32_e32 v6, 25, v1
	v_lshlrev_b16 v1, 8, v1
	s_delay_alu instid0(VALU_DEP_1) | instskip(SKIP_1) | instid1(VALU_DEP_2)
	v_and_or_b32 v8, 0x7f00, v1, 0.5
	v_bfe_i32 v1, v1, 0, 16
	v_dual_add_f32 v8, -0.5, v8 :: v_dual_lshrrev_b32 v7, 4, v6
	v_cmp_gt_u32_e32 vcc_lo, 0x8000000, v6
	s_delay_alu instid0(VALU_DEP_2) | instskip(NEXT) | instid1(VALU_DEP_1)
	v_or_b32_e32 v7, 0x70000000, v7
	v_mul_f32_e32 v7, 0x7800000, v7
	s_delay_alu instid0(VALU_DEP_1) | instskip(NEXT) | instid1(VALU_DEP_1)
	v_cndmask_b32_e32 v6, v7, v8, vcc_lo
	v_and_or_b32 v8, 0x80000000, v1, v6
.LBB14_1221:
	s_mov_b32 s13, 0
	s_mov_b32 s14, -1
.LBB14_1222:
	s_and_not1_b32 vcc_lo, exec_lo, s13
	s_mov_b32 s13, 0
	s_cbranch_vccnz .LBB14_1233
; %bb.1223:
	s_cmp_gt_i32 s0, 14
	s_cbranch_scc0 .LBB14_1226
; %bb.1224:
	s_cmp_eq_u32 s0, 15
	s_cbranch_scc0 .LBB14_1229
; %bb.1225:
	global_load_u16 v1, v[2:3], off
	s_mov_b32 s9, 0
	s_mov_b32 s14, -1
	s_wait_loadcnt 0x0
	v_lshlrev_b32_e32 v8, 16, v1
	s_branch .LBB14_1231
.LBB14_1226:
	s_mov_b32 s13, -1
	s_branch .LBB14_1230
.LBB14_1227:
	s_or_saveexec_b32 s14, s14
	v_mov_b32_e32 v8, 0x7f800001
	s_xor_b32 exec_lo, exec_lo, s14
	s_cbranch_execz .LBB14_1208
.LBB14_1228:
	v_cmp_ne_u16_e32 vcc_lo, 0, v1
	v_mov_b32_e32 v8, 0
	s_and_not1_b32 s13, s13, exec_lo
	s_and_b32 s15, vcc_lo, exec_lo
	s_delay_alu instid0(SALU_CYCLE_1)
	s_or_b32 s13, s13, s15
	s_or_b32 exec_lo, exec_lo, s14
	s_and_saveexec_b32 s14, s13
	s_cbranch_execnz .LBB14_1209
	s_branch .LBB14_1210
.LBB14_1229:
	s_mov_b32 s9, -1
.LBB14_1230:
                                        ; implicit-def: $vgpr8
.LBB14_1231:
	s_and_b32 vcc_lo, exec_lo, s13
	s_mov_b32 s13, 0
	s_cbranch_vccz .LBB14_1233
; %bb.1232:
	s_cmp_lg_u32 s0, 11
	s_mov_b32 s13, -1
	s_cselect_b32 s9, -1, 0
.LBB14_1233:
	s_delay_alu instid0(SALU_CYCLE_1)
	s_and_b32 vcc_lo, exec_lo, s9
	s_cbranch_vccnz .LBB14_1296
; %bb.1234:
	s_and_not1_b32 vcc_lo, exec_lo, s13
	s_cbranch_vccnz .LBB14_1236
.LBB14_1235:
	global_load_u8 v1, v[2:3], off
	s_mov_b32 s14, -1
	s_wait_loadcnt 0x0
	v_cmp_ne_u16_e32 vcc_lo, 0, v1
	v_cndmask_b32_e64 v8, 0, 1.0, vcc_lo
.LBB14_1236:
	s_branch .LBB14_1162
.LBB14_1237:
	s_cmp_lt_i32 s0, 5
	s_cbranch_scc1 .LBB14_1242
; %bb.1238:
	s_cmp_lt_i32 s0, 8
	s_cbranch_scc1 .LBB14_1243
; %bb.1239:
	;; [unrolled: 3-line block ×3, first 2 shown]
	s_cmp_gt_i32 s0, 9
	s_cbranch_scc0 .LBB14_1245
; %bb.1241:
	global_load_b64 v[6:7], v[2:3], off
	s_mov_b32 s9, 0
	s_wait_loadcnt 0x0
	v_cvt_f32_f64_e32 v8, v[6:7]
	s_branch .LBB14_1246
.LBB14_1242:
                                        ; implicit-def: $vgpr8
	s_branch .LBB14_1264
.LBB14_1243:
	s_mov_b32 s9, -1
                                        ; implicit-def: $vgpr8
	s_branch .LBB14_1252
.LBB14_1244:
	s_mov_b32 s9, -1
                                        ; implicit-def: $vgpr8
	s_branch .LBB14_1249
.LBB14_1245:
	s_mov_b32 s9, -1
                                        ; implicit-def: $vgpr8
.LBB14_1246:
	s_delay_alu instid0(SALU_CYCLE_1)
	s_and_not1_b32 vcc_lo, exec_lo, s9
	s_cbranch_vccnz .LBB14_1248
; %bb.1247:
	global_load_b32 v8, v[2:3], off
.LBB14_1248:
	s_mov_b32 s9, 0
.LBB14_1249:
	s_delay_alu instid0(SALU_CYCLE_1)
	s_and_not1_b32 vcc_lo, exec_lo, s9
	s_cbranch_vccnz .LBB14_1251
; %bb.1250:
	global_load_b32 v1, v[2:3], off
	s_wait_loadcnt 0x0
	v_cvt_f32_f16_e32 v8, v1
.LBB14_1251:
	s_mov_b32 s9, 0
.LBB14_1252:
	s_delay_alu instid0(SALU_CYCLE_1)
	s_and_not1_b32 vcc_lo, exec_lo, s9
	s_cbranch_vccnz .LBB14_1263
; %bb.1253:
	s_cmp_lt_i32 s0, 6
	s_cbranch_scc1 .LBB14_1256
; %bb.1254:
	s_cmp_gt_i32 s0, 6
	s_cbranch_scc0 .LBB14_1257
; %bb.1255:
	global_load_b64 v[6:7], v[2:3], off
	s_mov_b32 s9, 0
	s_wait_loadcnt 0x0
	v_cvt_f32_f64_e32 v8, v[6:7]
	s_branch .LBB14_1258
.LBB14_1256:
	s_mov_b32 s9, -1
                                        ; implicit-def: $vgpr8
	s_branch .LBB14_1261
.LBB14_1257:
	s_mov_b32 s9, -1
                                        ; implicit-def: $vgpr8
.LBB14_1258:
	s_delay_alu instid0(SALU_CYCLE_1)
	s_and_not1_b32 vcc_lo, exec_lo, s9
	s_cbranch_vccnz .LBB14_1260
; %bb.1259:
	s_wait_loadcnt 0x0
	global_load_b32 v8, v[2:3], off
.LBB14_1260:
	s_mov_b32 s9, 0
.LBB14_1261:
	s_delay_alu instid0(SALU_CYCLE_1)
	s_and_not1_b32 vcc_lo, exec_lo, s9
	s_cbranch_vccnz .LBB14_1263
; %bb.1262:
	global_load_u16 v1, v[2:3], off
	s_wait_loadcnt 0x0
	v_cvt_f32_f16_e32 v8, v1
.LBB14_1263:
	s_cbranch_execnz .LBB14_1283
.LBB14_1264:
	s_cmp_lt_i32 s0, 2
	s_cbranch_scc1 .LBB14_1268
; %bb.1265:
	s_cmp_lt_i32 s0, 3
	s_cbranch_scc1 .LBB14_1269
; %bb.1266:
	s_cmp_gt_i32 s0, 3
	s_cbranch_scc0 .LBB14_1270
; %bb.1267:
	global_load_b64 v[6:7], v[2:3], off
	s_mov_b32 s9, 0
	s_wait_loadcnt 0x0
	v_xor_b32_e32 v1, v6, v7
	v_cls_i32_e32 v8, v7
	s_delay_alu instid0(VALU_DEP_2) | instskip(NEXT) | instid1(VALU_DEP_1)
	v_ashrrev_i32_e32 v1, 31, v1
	v_add_nc_u32_e32 v1, 32, v1
	s_delay_alu instid0(VALU_DEP_1) | instskip(NEXT) | instid1(VALU_DEP_1)
	v_add_min_u32_e64 v1, v8, -1, v1
	v_lshlrev_b64_e32 v[6:7], v1, v[6:7]
	v_sub_nc_u32_e32 v1, 32, v1
	s_delay_alu instid0(VALU_DEP_2) | instskip(NEXT) | instid1(VALU_DEP_1)
	v_min_u32_e32 v6, 1, v6
	v_or_b32_e32 v6, v7, v6
	s_delay_alu instid0(VALU_DEP_1) | instskip(NEXT) | instid1(VALU_DEP_1)
	v_cvt_f32_i32_e32 v6, v6
	v_ldexp_f32 v8, v6, v1
	s_branch .LBB14_1271
.LBB14_1268:
	s_mov_b32 s9, -1
                                        ; implicit-def: $vgpr8
	s_branch .LBB14_1277
.LBB14_1269:
	s_mov_b32 s9, -1
                                        ; implicit-def: $vgpr8
	s_branch .LBB14_1274
.LBB14_1270:
	s_mov_b32 s9, -1
                                        ; implicit-def: $vgpr8
.LBB14_1271:
	s_delay_alu instid0(SALU_CYCLE_1)
	s_and_not1_b32 vcc_lo, exec_lo, s9
	s_cbranch_vccnz .LBB14_1273
; %bb.1272:
	global_load_b32 v1, v[2:3], off
	s_wait_loadcnt 0x0
	v_cvt_f32_i32_e32 v8, v1
.LBB14_1273:
	s_mov_b32 s9, 0
.LBB14_1274:
	s_delay_alu instid0(SALU_CYCLE_1)
	s_and_not1_b32 vcc_lo, exec_lo, s9
	s_cbranch_vccnz .LBB14_1276
; %bb.1275:
	global_load_i16 v1, v[2:3], off
	s_wait_loadcnt 0x0
	v_cvt_f32_i32_e32 v8, v1
.LBB14_1276:
	s_mov_b32 s9, 0
.LBB14_1277:
	s_delay_alu instid0(SALU_CYCLE_1)
	s_and_not1_b32 vcc_lo, exec_lo, s9
	s_cbranch_vccnz .LBB14_1283
; %bb.1278:
	s_cmp_gt_i32 s0, 0
	s_mov_b32 s9, 0
	s_cbranch_scc0 .LBB14_1280
; %bb.1279:
	global_load_i8 v1, v[2:3], off
	s_wait_loadcnt 0x0
	v_cvt_f32_i32_e32 v8, v1
	s_branch .LBB14_1281
.LBB14_1280:
	s_mov_b32 s9, -1
                                        ; implicit-def: $vgpr8
.LBB14_1281:
	s_delay_alu instid0(SALU_CYCLE_1)
	s_and_not1_b32 vcc_lo, exec_lo, s9
	s_cbranch_vccnz .LBB14_1283
; %bb.1282:
	global_load_u8 v1, v[2:3], off
	s_wait_loadcnt 0x0
	v_cvt_f32_ubyte0_e32 v8, v1
.LBB14_1283:
.LBB14_1284:
	v_add_nc_u32_e32 v0, s2, v0
	s_cmp_lt_i32 s0, 11
	s_delay_alu instid0(VALU_DEP_1) | instskip(SKIP_1) | instid1(VALU_DEP_1)
	v_ashrrev_i32_e32 v1, 31, v0
	s_wait_xcnt 0x0
	v_add_nc_u64_e32 v[2:3], s[6:7], v[0:1]
	s_cbranch_scc1 .LBB14_1291
; %bb.1285:
	s_cmp_gt_i32 s0, 25
	s_mov_b32 s13, 0
	s_cbranch_scc0 .LBB14_1293
; %bb.1286:
	s_cmp_gt_i32 s0, 28
	s_cbranch_scc0 .LBB14_1294
; %bb.1287:
	s_cmp_gt_i32 s0, 43
	;; [unrolled: 3-line block ×3, first 2 shown]
	s_cbranch_scc0 .LBB14_1297
; %bb.1289:
	s_cmp_eq_u32 s0, 46
	s_mov_b32 s15, 0
	s_cbranch_scc0 .LBB14_1298
; %bb.1290:
	global_load_b32 v1, v[2:3], off
	s_mov_b32 s9, 0
	s_mov_b32 s14, -1
	s_wait_loadcnt 0x0
	v_lshlrev_b32_e32 v7, 16, v1
	s_branch .LBB14_1300
.LBB14_1291:
	s_mov_b32 s14, 0
                                        ; implicit-def: $vgpr7
	s_cbranch_execnz .LBB14_1366
.LBB14_1292:
	s_and_not1_b32 vcc_lo, exec_lo, s14
	s_cbranch_vccz .LBB14_1414
	s_branch .LBB14_1975
.LBB14_1293:
	s_mov_b32 s15, -1
	s_mov_b32 s14, 0
	s_mov_b32 s9, 0
                                        ; implicit-def: $vgpr7
	s_branch .LBB14_1329
.LBB14_1294:
	s_mov_b32 s15, -1
	s_mov_b32 s14, 0
	s_mov_b32 s9, 0
                                        ; implicit-def: $vgpr7
	s_branch .LBB14_1310
.LBB14_1295:
	s_mov_b32 s15, -1
	s_mov_b32 s14, 0
	s_mov_b32 s9, 0
                                        ; implicit-def: $vgpr7
	s_branch .LBB14_1305
.LBB14_1296:
	s_or_b32 s1, s1, exec_lo
	s_trap 2
	s_cbranch_execz .LBB14_1235
	s_branch .LBB14_1236
.LBB14_1297:
	s_mov_b32 s15, -1
	s_mov_b32 s14, 0
	s_mov_b32 s9, 0
	s_branch .LBB14_1299
.LBB14_1298:
	s_mov_b32 s9, -1
	s_mov_b32 s14, 0
.LBB14_1299:
                                        ; implicit-def: $vgpr7
.LBB14_1300:
	s_and_b32 vcc_lo, exec_lo, s15
	s_cbranch_vccz .LBB14_1304
; %bb.1301:
	s_cmp_eq_u32 s0, 44
	s_cbranch_scc0 .LBB14_1303
; %bb.1302:
	global_load_u8 v1, v[2:3], off
	s_mov_b32 s9, 0
	s_mov_b32 s14, -1
	s_wait_loadcnt 0x0
	v_lshlrev_b32_e32 v6, 23, v1
	v_cmp_ne_u32_e32 vcc_lo, 0xff, v1
	s_delay_alu instid0(VALU_DEP_2) | instskip(SKIP_1) | instid1(VALU_DEP_2)
	v_cndmask_b32_e32 v6, 0x7f800001, v6, vcc_lo
	v_cmp_ne_u32_e32 vcc_lo, 0, v1
	v_cndmask_b32_e32 v7, 0x400000, v6, vcc_lo
	s_branch .LBB14_1304
.LBB14_1303:
	s_mov_b32 s9, -1
                                        ; implicit-def: $vgpr7
.LBB14_1304:
	s_mov_b32 s15, 0
.LBB14_1305:
	s_delay_alu instid0(SALU_CYCLE_1)
	s_and_b32 vcc_lo, exec_lo, s15
	s_cbranch_vccz .LBB14_1309
; %bb.1306:
	s_cmp_eq_u32 s0, 29
	s_cbranch_scc0 .LBB14_1308
; %bb.1307:
	global_load_b64 v[6:7], v[2:3], off
	s_mov_b32 s9, 0
	s_mov_b32 s14, -1
	s_mov_b32 s15, 0
	s_wait_loadcnt 0x0
	v_clz_i32_u32_e32 v1, v7
	s_delay_alu instid0(VALU_DEP_1) | instskip(NEXT) | instid1(VALU_DEP_1)
	v_min_u32_e32 v1, 32, v1
	v_lshlrev_b64_e32 v[6:7], v1, v[6:7]
	v_sub_nc_u32_e32 v1, 32, v1
	s_delay_alu instid0(VALU_DEP_2) | instskip(NEXT) | instid1(VALU_DEP_1)
	v_min_u32_e32 v6, 1, v6
	v_or_b32_e32 v6, v7, v6
	s_delay_alu instid0(VALU_DEP_1) | instskip(NEXT) | instid1(VALU_DEP_1)
	v_cvt_f32_u32_e32 v6, v6
	v_ldexp_f32 v7, v6, v1
	s_branch .LBB14_1310
.LBB14_1308:
	s_mov_b32 s9, -1
                                        ; implicit-def: $vgpr7
.LBB14_1309:
	s_mov_b32 s15, 0
.LBB14_1310:
	s_delay_alu instid0(SALU_CYCLE_1)
	s_and_b32 vcc_lo, exec_lo, s15
	s_cbranch_vccz .LBB14_1328
; %bb.1311:
	s_cmp_lt_i32 s0, 27
	s_cbranch_scc1 .LBB14_1314
; %bb.1312:
	s_cmp_gt_i32 s0, 27
	s_cbranch_scc0 .LBB14_1315
; %bb.1313:
	global_load_b32 v1, v[2:3], off
	s_mov_b32 s14, 0
	s_wait_loadcnt 0x0
	v_cvt_f32_u32_e32 v7, v1
	s_branch .LBB14_1316
.LBB14_1314:
	s_mov_b32 s14, -1
                                        ; implicit-def: $vgpr7
	s_branch .LBB14_1319
.LBB14_1315:
	s_mov_b32 s14, -1
                                        ; implicit-def: $vgpr7
.LBB14_1316:
	s_delay_alu instid0(SALU_CYCLE_1)
	s_and_not1_b32 vcc_lo, exec_lo, s14
	s_cbranch_vccnz .LBB14_1318
; %bb.1317:
	global_load_u16 v1, v[2:3], off
	s_wait_loadcnt 0x0
	v_cvt_f32_u32_e32 v7, v1
.LBB14_1318:
	s_mov_b32 s14, 0
.LBB14_1319:
	s_delay_alu instid0(SALU_CYCLE_1)
	s_and_not1_b32 vcc_lo, exec_lo, s14
	s_cbranch_vccnz .LBB14_1327
; %bb.1320:
	global_load_u8 v1, v[2:3], off
	s_mov_b32 s14, 0
	s_mov_b32 s15, exec_lo
	s_wait_loadcnt 0x0
	v_cmpx_lt_i16_e32 0x7f, v1
	s_xor_b32 s15, exec_lo, s15
	s_cbranch_execz .LBB14_1341
; %bb.1321:
	s_mov_b32 s14, -1
	s_mov_b32 s16, exec_lo
	v_cmpx_eq_u16_e32 0x80, v1
; %bb.1322:
	s_xor_b32 s14, exec_lo, -1
; %bb.1323:
	s_or_b32 exec_lo, exec_lo, s16
	s_delay_alu instid0(SALU_CYCLE_1)
	s_and_b32 s14, s14, exec_lo
	s_or_saveexec_b32 s15, s15
	v_mov_b32_e32 v7, 0x7f800001
	s_xor_b32 exec_lo, exec_lo, s15
	s_cbranch_execnz .LBB14_1342
.LBB14_1324:
	s_or_b32 exec_lo, exec_lo, s15
	s_and_saveexec_b32 s15, s14
	s_cbranch_execz .LBB14_1326
.LBB14_1325:
	v_and_b32_e32 v6, 0xffff, v1
	s_delay_alu instid0(VALU_DEP_1) | instskip(SKIP_1) | instid1(VALU_DEP_2)
	v_and_b32_e32 v7, 7, v6
	v_bfe_u32 v11, v6, 3, 4
	v_clz_i32_u32_e32 v9, v7
	s_delay_alu instid0(VALU_DEP_2) | instskip(NEXT) | instid1(VALU_DEP_2)
	v_cmp_eq_u32_e32 vcc_lo, 0, v11
	v_min_u32_e32 v9, 32, v9
	s_delay_alu instid0(VALU_DEP_1) | instskip(NEXT) | instid1(VALU_DEP_1)
	v_subrev_nc_u32_e32 v10, 28, v9
	v_dual_lshlrev_b32 v6, v10, v6 :: v_dual_sub_nc_u32 v9, 29, v9
	s_delay_alu instid0(VALU_DEP_1) | instskip(NEXT) | instid1(VALU_DEP_1)
	v_dual_lshlrev_b32 v1, 24, v1 :: v_dual_bitop2_b32 v6, 7, v6 bitop3:0x40
	v_cndmask_b32_e32 v6, v7, v6, vcc_lo
	s_delay_alu instid0(VALU_DEP_3) | instskip(NEXT) | instid1(VALU_DEP_3)
	v_cndmask_b32_e32 v9, v11, v9, vcc_lo
	v_and_b32_e32 v1, 0x80000000, v1
	s_delay_alu instid0(VALU_DEP_3) | instskip(NEXT) | instid1(VALU_DEP_3)
	v_lshlrev_b32_e32 v6, 20, v6
	v_lshl_add_u32 v7, v9, 23, 0x3b800000
	s_delay_alu instid0(VALU_DEP_1)
	v_or3_b32 v7, v1, v7, v6
.LBB14_1326:
	s_or_b32 exec_lo, exec_lo, s15
.LBB14_1327:
	s_mov_b32 s14, -1
.LBB14_1328:
	s_mov_b32 s15, 0
.LBB14_1329:
	s_delay_alu instid0(SALU_CYCLE_1)
	s_and_b32 vcc_lo, exec_lo, s15
	s_cbranch_vccz .LBB14_1362
; %bb.1330:
	s_cmp_gt_i32 s0, 22
	s_cbranch_scc0 .LBB14_1340
; %bb.1331:
	s_cmp_lt_i32 s0, 24
	s_cbranch_scc1 .LBB14_1343
; %bb.1332:
	s_cmp_gt_i32 s0, 24
	s_cbranch_scc0 .LBB14_1344
; %bb.1333:
	global_load_u8 v1, v[2:3], off
	s_mov_b32 s14, exec_lo
	s_wait_loadcnt 0x0
	v_cmpx_lt_i16_e32 0x7f, v1
	s_xor_b32 s14, exec_lo, s14
	s_cbranch_execz .LBB14_1356
; %bb.1334:
	s_mov_b32 s13, -1
	s_mov_b32 s15, exec_lo
	v_cmpx_eq_u16_e32 0x80, v1
; %bb.1335:
	s_xor_b32 s13, exec_lo, -1
; %bb.1336:
	s_or_b32 exec_lo, exec_lo, s15
	s_delay_alu instid0(SALU_CYCLE_1)
	s_and_b32 s13, s13, exec_lo
	s_or_saveexec_b32 s14, s14
	v_mov_b32_e32 v7, 0x7f800001
	s_xor_b32 exec_lo, exec_lo, s14
	s_cbranch_execnz .LBB14_1357
.LBB14_1337:
	s_or_b32 exec_lo, exec_lo, s14
	s_and_saveexec_b32 s14, s13
	s_cbranch_execz .LBB14_1339
.LBB14_1338:
	v_and_b32_e32 v6, 0xffff, v1
	s_delay_alu instid0(VALU_DEP_1) | instskip(SKIP_1) | instid1(VALU_DEP_2)
	v_and_b32_e32 v7, 3, v6
	v_bfe_u32 v11, v6, 2, 5
	v_clz_i32_u32_e32 v9, v7
	s_delay_alu instid0(VALU_DEP_2) | instskip(NEXT) | instid1(VALU_DEP_2)
	v_cmp_eq_u32_e32 vcc_lo, 0, v11
	v_min_u32_e32 v9, 32, v9
	s_delay_alu instid0(VALU_DEP_1) | instskip(NEXT) | instid1(VALU_DEP_1)
	v_subrev_nc_u32_e32 v10, 29, v9
	v_dual_lshlrev_b32 v6, v10, v6 :: v_dual_sub_nc_u32 v9, 30, v9
	s_delay_alu instid0(VALU_DEP_1) | instskip(NEXT) | instid1(VALU_DEP_1)
	v_dual_lshlrev_b32 v1, 24, v1 :: v_dual_bitop2_b32 v6, 3, v6 bitop3:0x40
	v_cndmask_b32_e32 v6, v7, v6, vcc_lo
	s_delay_alu instid0(VALU_DEP_3) | instskip(NEXT) | instid1(VALU_DEP_3)
	v_cndmask_b32_e32 v9, v11, v9, vcc_lo
	v_and_b32_e32 v1, 0x80000000, v1
	s_delay_alu instid0(VALU_DEP_3) | instskip(NEXT) | instid1(VALU_DEP_3)
	v_lshlrev_b32_e32 v6, 21, v6
	v_lshl_add_u32 v7, v9, 23, 0x37800000
	s_delay_alu instid0(VALU_DEP_1)
	v_or3_b32 v7, v1, v7, v6
.LBB14_1339:
	s_or_b32 exec_lo, exec_lo, s14
	s_mov_b32 s13, 0
	s_branch .LBB14_1345
.LBB14_1340:
	s_mov_b32 s13, -1
                                        ; implicit-def: $vgpr7
	s_branch .LBB14_1351
.LBB14_1341:
	s_or_saveexec_b32 s15, s15
	v_mov_b32_e32 v7, 0x7f800001
	s_xor_b32 exec_lo, exec_lo, s15
	s_cbranch_execz .LBB14_1324
.LBB14_1342:
	v_cmp_ne_u16_e32 vcc_lo, 0, v1
	v_mov_b32_e32 v7, 0
	s_and_not1_b32 s14, s14, exec_lo
	s_and_b32 s16, vcc_lo, exec_lo
	s_delay_alu instid0(SALU_CYCLE_1)
	s_or_b32 s14, s14, s16
	s_or_b32 exec_lo, exec_lo, s15
	s_and_saveexec_b32 s15, s14
	s_cbranch_execnz .LBB14_1325
	s_branch .LBB14_1326
.LBB14_1343:
	s_mov_b32 s13, -1
                                        ; implicit-def: $vgpr7
	s_branch .LBB14_1348
.LBB14_1344:
	s_mov_b32 s13, -1
                                        ; implicit-def: $vgpr7
.LBB14_1345:
	s_delay_alu instid0(SALU_CYCLE_1)
	s_and_b32 vcc_lo, exec_lo, s13
	s_cbranch_vccz .LBB14_1347
; %bb.1346:
	global_load_u8 v1, v[2:3], off
	s_wait_loadcnt 0x0
	v_lshlrev_b32_e32 v1, 24, v1
	s_delay_alu instid0(VALU_DEP_1) | instskip(NEXT) | instid1(VALU_DEP_1)
	v_and_b32_e32 v6, 0x7f000000, v1
	v_clz_i32_u32_e32 v7, v6
	v_add_nc_u32_e32 v10, 0x1000000, v6
	v_cmp_ne_u32_e32 vcc_lo, 0, v6
	s_delay_alu instid0(VALU_DEP_3) | instskip(NEXT) | instid1(VALU_DEP_1)
	v_min_u32_e32 v7, 32, v7
	v_sub_nc_u32_e64 v7, v7, 4 clamp
	s_delay_alu instid0(VALU_DEP_1) | instskip(NEXT) | instid1(VALU_DEP_1)
	v_dual_lshlrev_b32 v9, v7, v6 :: v_dual_lshlrev_b32 v7, 23, v7
	v_lshrrev_b32_e32 v9, 4, v9
	s_delay_alu instid0(VALU_DEP_1) | instskip(NEXT) | instid1(VALU_DEP_1)
	v_dual_sub_nc_u32 v7, v9, v7 :: v_dual_ashrrev_i32 v9, 8, v10
	v_add_nc_u32_e32 v7, 0x3c000000, v7
	s_delay_alu instid0(VALU_DEP_1) | instskip(NEXT) | instid1(VALU_DEP_1)
	v_and_or_b32 v7, 0x7f800000, v9, v7
	v_cndmask_b32_e32 v6, 0, v7, vcc_lo
	s_delay_alu instid0(VALU_DEP_1)
	v_and_or_b32 v7, 0x80000000, v1, v6
.LBB14_1347:
	s_mov_b32 s13, 0
.LBB14_1348:
	s_delay_alu instid0(SALU_CYCLE_1)
	s_and_not1_b32 vcc_lo, exec_lo, s13
	s_cbranch_vccnz .LBB14_1350
; %bb.1349:
	global_load_u8 v1, v[2:3], off
	s_wait_loadcnt 0x0
	v_lshlrev_b32_e32 v6, 25, v1
	v_lshlrev_b16 v1, 8, v1
	s_delay_alu instid0(VALU_DEP_1) | instskip(NEXT) | instid1(VALU_DEP_3)
	v_and_or_b32 v9, 0x7f00, v1, 0.5
	v_lshrrev_b32_e32 v7, 4, v6
	v_bfe_i32 v1, v1, 0, 16
	s_delay_alu instid0(VALU_DEP_3) | instskip(NEXT) | instid1(VALU_DEP_3)
	v_add_f32_e32 v9, -0.5, v9
	v_or_b32_e32 v7, 0x70000000, v7
	s_delay_alu instid0(VALU_DEP_1) | instskip(SKIP_1) | instid1(VALU_DEP_2)
	v_mul_f32_e32 v7, 0x7800000, v7
	v_cmp_gt_u32_e32 vcc_lo, 0x8000000, v6
	v_cndmask_b32_e32 v6, v7, v9, vcc_lo
	s_delay_alu instid0(VALU_DEP_1)
	v_and_or_b32 v7, 0x80000000, v1, v6
.LBB14_1350:
	s_mov_b32 s13, 0
	s_mov_b32 s14, -1
.LBB14_1351:
	s_and_not1_b32 vcc_lo, exec_lo, s13
	s_mov_b32 s13, 0
	s_cbranch_vccnz .LBB14_1362
; %bb.1352:
	s_cmp_gt_i32 s0, 14
	s_cbranch_scc0 .LBB14_1355
; %bb.1353:
	s_cmp_eq_u32 s0, 15
	s_cbranch_scc0 .LBB14_1358
; %bb.1354:
	global_load_u16 v1, v[2:3], off
	s_mov_b32 s9, 0
	s_mov_b32 s14, -1
	s_wait_loadcnt 0x0
	v_lshlrev_b32_e32 v7, 16, v1
	s_branch .LBB14_1360
.LBB14_1355:
	s_mov_b32 s13, -1
	s_branch .LBB14_1359
.LBB14_1356:
	s_or_saveexec_b32 s14, s14
	v_mov_b32_e32 v7, 0x7f800001
	s_xor_b32 exec_lo, exec_lo, s14
	s_cbranch_execz .LBB14_1337
.LBB14_1357:
	v_cmp_ne_u16_e32 vcc_lo, 0, v1
	v_mov_b32_e32 v7, 0
	s_and_not1_b32 s13, s13, exec_lo
	s_and_b32 s15, vcc_lo, exec_lo
	s_delay_alu instid0(SALU_CYCLE_1)
	s_or_b32 s13, s13, s15
	s_or_b32 exec_lo, exec_lo, s14
	s_and_saveexec_b32 s14, s13
	s_cbranch_execnz .LBB14_1338
	s_branch .LBB14_1339
.LBB14_1358:
	s_mov_b32 s9, -1
.LBB14_1359:
                                        ; implicit-def: $vgpr7
.LBB14_1360:
	s_and_b32 vcc_lo, exec_lo, s13
	s_mov_b32 s13, 0
	s_cbranch_vccz .LBB14_1362
; %bb.1361:
	s_cmp_lg_u32 s0, 11
	s_mov_b32 s13, -1
	s_cselect_b32 s9, -1, 0
.LBB14_1362:
	s_delay_alu instid0(SALU_CYCLE_1)
	s_and_b32 vcc_lo, exec_lo, s9
	s_cbranch_vccnz .LBB14_1425
; %bb.1363:
	s_and_not1_b32 vcc_lo, exec_lo, s13
	s_cbranch_vccnz .LBB14_1365
.LBB14_1364:
	global_load_u8 v1, v[2:3], off
	s_mov_b32 s14, -1
	s_wait_loadcnt 0x0
	v_cmp_ne_u16_e32 vcc_lo, 0, v1
	v_cndmask_b32_e64 v7, 0, 1.0, vcc_lo
.LBB14_1365:
	s_branch .LBB14_1292
.LBB14_1366:
	s_cmp_lt_i32 s0, 5
	s_cbranch_scc1 .LBB14_1371
; %bb.1367:
	s_cmp_lt_i32 s0, 8
	s_cbranch_scc1 .LBB14_1372
; %bb.1368:
	;; [unrolled: 3-line block ×3, first 2 shown]
	s_cmp_gt_i32 s0, 9
	s_cbranch_scc0 .LBB14_1374
; %bb.1370:
	global_load_b64 v[6:7], v[2:3], off
	s_mov_b32 s9, 0
	s_wait_loadcnt 0x0
	v_cvt_f32_f64_e32 v7, v[6:7]
	s_branch .LBB14_1375
.LBB14_1371:
	s_mov_b32 s9, -1
                                        ; implicit-def: $vgpr7
	s_branch .LBB14_1393
.LBB14_1372:
	s_mov_b32 s9, -1
                                        ; implicit-def: $vgpr7
	s_branch .LBB14_1381
.LBB14_1373:
	s_mov_b32 s9, -1
                                        ; implicit-def: $vgpr7
	s_branch .LBB14_1378
.LBB14_1374:
	s_mov_b32 s9, -1
                                        ; implicit-def: $vgpr7
.LBB14_1375:
	s_delay_alu instid0(SALU_CYCLE_1)
	s_and_not1_b32 vcc_lo, exec_lo, s9
	s_cbranch_vccnz .LBB14_1377
; %bb.1376:
	global_load_b32 v7, v[2:3], off
.LBB14_1377:
	s_mov_b32 s9, 0
.LBB14_1378:
	s_delay_alu instid0(SALU_CYCLE_1)
	s_and_not1_b32 vcc_lo, exec_lo, s9
	s_cbranch_vccnz .LBB14_1380
; %bb.1379:
	global_load_b32 v1, v[2:3], off
	s_wait_loadcnt 0x0
	v_cvt_f32_f16_e32 v7, v1
.LBB14_1380:
	s_mov_b32 s9, 0
.LBB14_1381:
	s_delay_alu instid0(SALU_CYCLE_1)
	s_and_not1_b32 vcc_lo, exec_lo, s9
	s_cbranch_vccnz .LBB14_1392
; %bb.1382:
	s_cmp_lt_i32 s0, 6
	s_cbranch_scc1 .LBB14_1385
; %bb.1383:
	s_cmp_gt_i32 s0, 6
	s_cbranch_scc0 .LBB14_1386
; %bb.1384:
	s_wait_loadcnt 0x0
	global_load_b64 v[6:7], v[2:3], off
	s_mov_b32 s9, 0
	s_wait_loadcnt 0x0
	v_cvt_f32_f64_e32 v7, v[6:7]
	s_branch .LBB14_1387
.LBB14_1385:
	s_mov_b32 s9, -1
                                        ; implicit-def: $vgpr7
	s_branch .LBB14_1390
.LBB14_1386:
	s_mov_b32 s9, -1
                                        ; implicit-def: $vgpr7
.LBB14_1387:
	s_delay_alu instid0(SALU_CYCLE_1)
	s_and_not1_b32 vcc_lo, exec_lo, s9
	s_cbranch_vccnz .LBB14_1389
; %bb.1388:
	s_wait_loadcnt 0x0
	global_load_b32 v7, v[2:3], off
.LBB14_1389:
	s_mov_b32 s9, 0
.LBB14_1390:
	s_delay_alu instid0(SALU_CYCLE_1)
	s_and_not1_b32 vcc_lo, exec_lo, s9
	s_cbranch_vccnz .LBB14_1392
; %bb.1391:
	global_load_u16 v1, v[2:3], off
	s_wait_loadcnt 0x0
	v_cvt_f32_f16_e32 v7, v1
.LBB14_1392:
	s_mov_b32 s9, 0
.LBB14_1393:
	s_delay_alu instid0(SALU_CYCLE_1)
	s_and_not1_b32 vcc_lo, exec_lo, s9
	s_cbranch_vccnz .LBB14_1413
; %bb.1394:
	s_cmp_lt_i32 s0, 2
	s_cbranch_scc1 .LBB14_1398
; %bb.1395:
	s_cmp_lt_i32 s0, 3
	s_cbranch_scc1 .LBB14_1399
; %bb.1396:
	s_cmp_gt_i32 s0, 3
	s_cbranch_scc0 .LBB14_1400
; %bb.1397:
	s_wait_loadcnt 0x0
	global_load_b64 v[6:7], v[2:3], off
	s_mov_b32 s9, 0
	s_wait_loadcnt 0x0
	v_xor_b32_e32 v1, v6, v7
	v_cls_i32_e32 v9, v7
	s_delay_alu instid0(VALU_DEP_2) | instskip(NEXT) | instid1(VALU_DEP_1)
	v_ashrrev_i32_e32 v1, 31, v1
	v_add_nc_u32_e32 v1, 32, v1
	s_delay_alu instid0(VALU_DEP_1) | instskip(NEXT) | instid1(VALU_DEP_1)
	v_add_min_u32_e64 v1, v9, -1, v1
	v_lshlrev_b64_e32 v[6:7], v1, v[6:7]
	v_sub_nc_u32_e32 v1, 32, v1
	s_delay_alu instid0(VALU_DEP_2) | instskip(NEXT) | instid1(VALU_DEP_1)
	v_min_u32_e32 v6, 1, v6
	v_or_b32_e32 v6, v7, v6
	s_delay_alu instid0(VALU_DEP_1) | instskip(NEXT) | instid1(VALU_DEP_1)
	v_cvt_f32_i32_e32 v6, v6
	v_ldexp_f32 v7, v6, v1
	s_branch .LBB14_1401
.LBB14_1398:
	s_mov_b32 s9, -1
                                        ; implicit-def: $vgpr7
	s_branch .LBB14_1407
.LBB14_1399:
	s_mov_b32 s9, -1
                                        ; implicit-def: $vgpr7
	s_branch .LBB14_1404
.LBB14_1400:
	s_mov_b32 s9, -1
                                        ; implicit-def: $vgpr7
.LBB14_1401:
	s_delay_alu instid0(SALU_CYCLE_1)
	s_and_not1_b32 vcc_lo, exec_lo, s9
	s_cbranch_vccnz .LBB14_1403
; %bb.1402:
	global_load_b32 v1, v[2:3], off
	s_wait_loadcnt 0x0
	v_cvt_f32_i32_e32 v7, v1
.LBB14_1403:
	s_mov_b32 s9, 0
.LBB14_1404:
	s_delay_alu instid0(SALU_CYCLE_1)
	s_and_not1_b32 vcc_lo, exec_lo, s9
	s_cbranch_vccnz .LBB14_1406
; %bb.1405:
	global_load_i16 v1, v[2:3], off
	s_wait_loadcnt 0x0
	v_cvt_f32_i32_e32 v7, v1
.LBB14_1406:
	s_mov_b32 s9, 0
.LBB14_1407:
	s_delay_alu instid0(SALU_CYCLE_1)
	s_and_not1_b32 vcc_lo, exec_lo, s9
	s_cbranch_vccnz .LBB14_1413
; %bb.1408:
	s_cmp_gt_i32 s0, 0
	s_mov_b32 s9, 0
	s_cbranch_scc0 .LBB14_1410
; %bb.1409:
	global_load_i8 v1, v[2:3], off
	s_wait_loadcnt 0x0
	v_cvt_f32_i32_e32 v7, v1
	s_branch .LBB14_1411
.LBB14_1410:
	s_mov_b32 s9, -1
                                        ; implicit-def: $vgpr7
.LBB14_1411:
	s_delay_alu instid0(SALU_CYCLE_1)
	s_and_not1_b32 vcc_lo, exec_lo, s9
	s_cbranch_vccnz .LBB14_1413
; %bb.1412:
	global_load_u8 v1, v[2:3], off
	s_wait_loadcnt 0x0
	v_cvt_f32_ubyte0_e32 v7, v1
.LBB14_1413:
.LBB14_1414:
	v_add_nc_u32_e32 v0, s2, v0
	s_cmp_lt_i32 s0, 11
	s_delay_alu instid0(VALU_DEP_1) | instskip(NEXT) | instid1(VALU_DEP_1)
	v_ashrrev_i32_e32 v1, 31, v0
	v_add_nc_u64_e32 v[0:1], s[6:7], v[0:1]
	s_cbranch_scc1 .LBB14_1421
; %bb.1415:
	s_cmp_gt_i32 s0, 25
	s_mov_b32 s6, 0
	s_cbranch_scc0 .LBB14_1422
; %bb.1416:
	s_cmp_gt_i32 s0, 28
	s_cbranch_scc0 .LBB14_1423
; %bb.1417:
	s_cmp_gt_i32 s0, 43
	;; [unrolled: 3-line block ×3, first 2 shown]
	s_cbranch_scc0 .LBB14_1426
; %bb.1419:
	s_cmp_eq_u32 s0, 46
	s_mov_b32 s9, 0
	s_cbranch_scc0 .LBB14_1427
; %bb.1420:
	global_load_b32 v2, v[0:1], off
	s_mov_b32 s2, 0
	s_mov_b32 s7, -1
	s_wait_loadcnt 0x0
	v_lshlrev_b32_e32 v6, 16, v2
	s_branch .LBB14_1429
.LBB14_1421:
	s_mov_b32 s2, -1
	s_mov_b32 s7, 0
                                        ; implicit-def: $vgpr6
	s_branch .LBB14_1495
.LBB14_1422:
	s_mov_b32 s9, -1
	s_mov_b32 s7, 0
	s_mov_b32 s2, 0
                                        ; implicit-def: $vgpr6
	s_branch .LBB14_1458
.LBB14_1423:
	s_mov_b32 s9, -1
	s_mov_b32 s7, 0
	s_mov_b32 s2, 0
                                        ; implicit-def: $vgpr6
	s_branch .LBB14_1439
.LBB14_1424:
	s_mov_b32 s9, -1
	s_mov_b32 s7, 0
	s_mov_b32 s2, 0
                                        ; implicit-def: $vgpr6
	s_branch .LBB14_1434
.LBB14_1425:
	s_or_b32 s1, s1, exec_lo
	s_trap 2
	s_cbranch_execz .LBB14_1364
	s_branch .LBB14_1365
.LBB14_1426:
	s_mov_b32 s9, -1
	s_mov_b32 s7, 0
	s_mov_b32 s2, 0
	s_branch .LBB14_1428
.LBB14_1427:
	s_mov_b32 s2, -1
	s_mov_b32 s7, 0
.LBB14_1428:
                                        ; implicit-def: $vgpr6
.LBB14_1429:
	s_and_b32 vcc_lo, exec_lo, s9
	s_cbranch_vccz .LBB14_1433
; %bb.1430:
	s_cmp_eq_u32 s0, 44
	s_cbranch_scc0 .LBB14_1432
; %bb.1431:
	global_load_u8 v2, v[0:1], off
	s_mov_b32 s2, 0
	s_mov_b32 s7, -1
	s_wait_loadcnt 0x0
	v_lshlrev_b32_e32 v3, 23, v2
	v_cmp_ne_u32_e32 vcc_lo, 0xff, v2
	s_delay_alu instid0(VALU_DEP_2) | instskip(SKIP_1) | instid1(VALU_DEP_2)
	v_cndmask_b32_e32 v3, 0x7f800001, v3, vcc_lo
	v_cmp_ne_u32_e32 vcc_lo, 0, v2
	v_cndmask_b32_e32 v6, 0x400000, v3, vcc_lo
	s_branch .LBB14_1433
.LBB14_1432:
	s_mov_b32 s2, -1
                                        ; implicit-def: $vgpr6
.LBB14_1433:
	s_mov_b32 s9, 0
.LBB14_1434:
	s_delay_alu instid0(SALU_CYCLE_1)
	s_and_b32 vcc_lo, exec_lo, s9
	s_cbranch_vccz .LBB14_1438
; %bb.1435:
	s_cmp_eq_u32 s0, 29
	s_cbranch_scc0 .LBB14_1437
; %bb.1436:
	global_load_b64 v[2:3], v[0:1], off
	s_mov_b32 s2, 0
	s_mov_b32 s7, -1
	s_mov_b32 s9, 0
	s_wait_loadcnt 0x0
	v_clz_i32_u32_e32 v6, v3
	s_delay_alu instid0(VALU_DEP_1) | instskip(NEXT) | instid1(VALU_DEP_1)
	v_min_u32_e32 v6, 32, v6
	v_lshlrev_b64_e32 v[2:3], v6, v[2:3]
	s_delay_alu instid0(VALU_DEP_1) | instskip(NEXT) | instid1(VALU_DEP_1)
	v_min_u32_e32 v2, 1, v2
	v_or_b32_e32 v2, v3, v2
	v_sub_nc_u32_e32 v3, 32, v6
	s_delay_alu instid0(VALU_DEP_2) | instskip(NEXT) | instid1(VALU_DEP_1)
	v_cvt_f32_u32_e32 v2, v2
	v_ldexp_f32 v6, v2, v3
	s_branch .LBB14_1439
.LBB14_1437:
	s_mov_b32 s2, -1
                                        ; implicit-def: $vgpr6
.LBB14_1438:
	s_mov_b32 s9, 0
.LBB14_1439:
	s_delay_alu instid0(SALU_CYCLE_1)
	s_and_b32 vcc_lo, exec_lo, s9
	s_cbranch_vccz .LBB14_1457
; %bb.1440:
	s_cmp_lt_i32 s0, 27
	s_cbranch_scc1 .LBB14_1443
; %bb.1441:
	s_cmp_gt_i32 s0, 27
	s_cbranch_scc0 .LBB14_1444
; %bb.1442:
	global_load_b32 v2, v[0:1], off
	s_mov_b32 s7, 0
	s_wait_loadcnt 0x0
	v_cvt_f32_u32_e32 v6, v2
	s_branch .LBB14_1445
.LBB14_1443:
	s_mov_b32 s7, -1
                                        ; implicit-def: $vgpr6
	s_branch .LBB14_1448
.LBB14_1444:
	s_mov_b32 s7, -1
                                        ; implicit-def: $vgpr6
.LBB14_1445:
	s_delay_alu instid0(SALU_CYCLE_1)
	s_and_not1_b32 vcc_lo, exec_lo, s7
	s_cbranch_vccnz .LBB14_1447
; %bb.1446:
	global_load_u16 v2, v[0:1], off
	s_wait_loadcnt 0x0
	v_cvt_f32_u32_e32 v6, v2
.LBB14_1447:
	s_mov_b32 s7, 0
.LBB14_1448:
	s_delay_alu instid0(SALU_CYCLE_1)
	s_and_not1_b32 vcc_lo, exec_lo, s7
	s_cbranch_vccnz .LBB14_1456
; %bb.1449:
	global_load_u8 v2, v[0:1], off
	s_mov_b32 s7, 0
	s_mov_b32 s9, exec_lo
	s_wait_loadcnt 0x0
	v_cmpx_lt_i16_e32 0x7f, v2
	s_xor_b32 s9, exec_lo, s9
	s_cbranch_execz .LBB14_1470
; %bb.1450:
	s_mov_b32 s7, -1
	s_mov_b32 s13, exec_lo
	v_cmpx_eq_u16_e32 0x80, v2
; %bb.1451:
	s_xor_b32 s7, exec_lo, -1
; %bb.1452:
	s_or_b32 exec_lo, exec_lo, s13
	s_delay_alu instid0(SALU_CYCLE_1)
	s_and_b32 s7, s7, exec_lo
	s_or_saveexec_b32 s9, s9
	v_mov_b32_e32 v6, 0x7f800001
	s_xor_b32 exec_lo, exec_lo, s9
	s_cbranch_execnz .LBB14_1471
.LBB14_1453:
	s_or_b32 exec_lo, exec_lo, s9
	s_and_saveexec_b32 s9, s7
	s_cbranch_execz .LBB14_1455
.LBB14_1454:
	v_and_b32_e32 v3, 0xffff, v2
	s_delay_alu instid0(VALU_DEP_1) | instskip(SKIP_1) | instid1(VALU_DEP_2)
	v_and_b32_e32 v6, 7, v3
	v_bfe_u32 v11, v3, 3, 4
	v_clz_i32_u32_e32 v9, v6
	s_delay_alu instid0(VALU_DEP_2) | instskip(NEXT) | instid1(VALU_DEP_2)
	v_cmp_eq_u32_e32 vcc_lo, 0, v11
	v_min_u32_e32 v9, 32, v9
	s_delay_alu instid0(VALU_DEP_1) | instskip(NEXT) | instid1(VALU_DEP_1)
	v_subrev_nc_u32_e32 v10, 28, v9
	v_dual_lshlrev_b32 v3, v10, v3 :: v_dual_sub_nc_u32 v9, 29, v9
	s_delay_alu instid0(VALU_DEP_1) | instskip(NEXT) | instid1(VALU_DEP_1)
	v_dual_lshlrev_b32 v2, 24, v2 :: v_dual_bitop2_b32 v3, 7, v3 bitop3:0x40
	v_dual_cndmask_b32 v9, v11, v9, vcc_lo :: v_dual_cndmask_b32 v3, v6, v3, vcc_lo
	s_delay_alu instid0(VALU_DEP_2) | instskip(NEXT) | instid1(VALU_DEP_2)
	v_and_b32_e32 v2, 0x80000000, v2
	v_lshl_add_u32 v6, v9, 23, 0x3b800000
	s_delay_alu instid0(VALU_DEP_3) | instskip(NEXT) | instid1(VALU_DEP_1)
	v_lshlrev_b32_e32 v3, 20, v3
	v_or3_b32 v6, v2, v6, v3
.LBB14_1455:
	s_or_b32 exec_lo, exec_lo, s9
.LBB14_1456:
	s_mov_b32 s7, -1
.LBB14_1457:
	s_mov_b32 s9, 0
.LBB14_1458:
	s_delay_alu instid0(SALU_CYCLE_1)
	s_and_b32 vcc_lo, exec_lo, s9
	s_cbranch_vccz .LBB14_1491
; %bb.1459:
	s_cmp_gt_i32 s0, 22
	s_cbranch_scc0 .LBB14_1469
; %bb.1460:
	s_cmp_lt_i32 s0, 24
	s_cbranch_scc1 .LBB14_1472
; %bb.1461:
	s_cmp_gt_i32 s0, 24
	s_cbranch_scc0 .LBB14_1473
; %bb.1462:
	global_load_u8 v2, v[0:1], off
	s_mov_b32 s7, exec_lo
	s_wait_loadcnt 0x0
	v_cmpx_lt_i16_e32 0x7f, v2
	s_xor_b32 s7, exec_lo, s7
	s_cbranch_execz .LBB14_1485
; %bb.1463:
	s_mov_b32 s6, -1
	s_mov_b32 s9, exec_lo
	v_cmpx_eq_u16_e32 0x80, v2
; %bb.1464:
	s_xor_b32 s6, exec_lo, -1
; %bb.1465:
	s_or_b32 exec_lo, exec_lo, s9
	s_delay_alu instid0(SALU_CYCLE_1)
	s_and_b32 s6, s6, exec_lo
	s_or_saveexec_b32 s7, s7
	v_mov_b32_e32 v6, 0x7f800001
	s_xor_b32 exec_lo, exec_lo, s7
	s_cbranch_execnz .LBB14_1486
.LBB14_1466:
	s_or_b32 exec_lo, exec_lo, s7
	s_and_saveexec_b32 s7, s6
	s_cbranch_execz .LBB14_1468
.LBB14_1467:
	v_and_b32_e32 v3, 0xffff, v2
	s_delay_alu instid0(VALU_DEP_1) | instskip(SKIP_1) | instid1(VALU_DEP_2)
	v_and_b32_e32 v6, 3, v3
	v_bfe_u32 v11, v3, 2, 5
	v_clz_i32_u32_e32 v9, v6
	s_delay_alu instid0(VALU_DEP_2) | instskip(NEXT) | instid1(VALU_DEP_2)
	v_cmp_eq_u32_e32 vcc_lo, 0, v11
	v_min_u32_e32 v9, 32, v9
	s_delay_alu instid0(VALU_DEP_1) | instskip(NEXT) | instid1(VALU_DEP_1)
	v_subrev_nc_u32_e32 v10, 29, v9
	v_dual_lshlrev_b32 v3, v10, v3 :: v_dual_sub_nc_u32 v9, 30, v9
	s_delay_alu instid0(VALU_DEP_1) | instskip(NEXT) | instid1(VALU_DEP_1)
	v_dual_lshlrev_b32 v2, 24, v2 :: v_dual_bitop2_b32 v3, 3, v3 bitop3:0x40
	v_dual_cndmask_b32 v9, v11, v9, vcc_lo :: v_dual_cndmask_b32 v3, v6, v3, vcc_lo
	s_delay_alu instid0(VALU_DEP_2) | instskip(NEXT) | instid1(VALU_DEP_2)
	v_and_b32_e32 v2, 0x80000000, v2
	v_lshl_add_u32 v6, v9, 23, 0x37800000
	s_delay_alu instid0(VALU_DEP_3) | instskip(NEXT) | instid1(VALU_DEP_1)
	v_lshlrev_b32_e32 v3, 21, v3
	v_or3_b32 v6, v2, v6, v3
.LBB14_1468:
	s_or_b32 exec_lo, exec_lo, s7
	s_mov_b32 s6, 0
	s_branch .LBB14_1474
.LBB14_1469:
	s_mov_b32 s6, -1
                                        ; implicit-def: $vgpr6
	s_branch .LBB14_1480
.LBB14_1470:
	s_or_saveexec_b32 s9, s9
	v_mov_b32_e32 v6, 0x7f800001
	s_xor_b32 exec_lo, exec_lo, s9
	s_cbranch_execz .LBB14_1453
.LBB14_1471:
	v_cmp_ne_u16_e32 vcc_lo, 0, v2
	v_mov_b32_e32 v6, 0
	s_and_not1_b32 s7, s7, exec_lo
	s_and_b32 s13, vcc_lo, exec_lo
	s_delay_alu instid0(SALU_CYCLE_1)
	s_or_b32 s7, s7, s13
	s_or_b32 exec_lo, exec_lo, s9
	s_and_saveexec_b32 s9, s7
	s_cbranch_execnz .LBB14_1454
	s_branch .LBB14_1455
.LBB14_1472:
	s_mov_b32 s6, -1
                                        ; implicit-def: $vgpr6
	s_branch .LBB14_1477
.LBB14_1473:
	s_mov_b32 s6, -1
                                        ; implicit-def: $vgpr6
.LBB14_1474:
	s_delay_alu instid0(SALU_CYCLE_1)
	s_and_b32 vcc_lo, exec_lo, s6
	s_cbranch_vccz .LBB14_1476
; %bb.1475:
	global_load_u8 v2, v[0:1], off
	s_wait_loadcnt 0x0
	v_lshlrev_b32_e32 v2, 24, v2
	s_delay_alu instid0(VALU_DEP_1) | instskip(NEXT) | instid1(VALU_DEP_1)
	v_and_b32_e32 v3, 0x7f000000, v2
	v_clz_i32_u32_e32 v6, v3
	v_cmp_ne_u32_e32 vcc_lo, 0, v3
	v_add_nc_u32_e32 v10, 0x1000000, v3
	s_delay_alu instid0(VALU_DEP_3) | instskip(NEXT) | instid1(VALU_DEP_1)
	v_min_u32_e32 v6, 32, v6
	v_sub_nc_u32_e64 v6, v6, 4 clamp
	s_delay_alu instid0(VALU_DEP_1) | instskip(NEXT) | instid1(VALU_DEP_1)
	v_dual_lshlrev_b32 v9, v6, v3 :: v_dual_lshlrev_b32 v6, 23, v6
	v_lshrrev_b32_e32 v9, 4, v9
	s_delay_alu instid0(VALU_DEP_1) | instskip(SKIP_1) | instid1(VALU_DEP_2)
	v_sub_nc_u32_e32 v6, v9, v6
	v_ashrrev_i32_e32 v9, 8, v10
	v_add_nc_u32_e32 v6, 0x3c000000, v6
	s_delay_alu instid0(VALU_DEP_1) | instskip(NEXT) | instid1(VALU_DEP_1)
	v_and_or_b32 v6, 0x7f800000, v9, v6
	v_cndmask_b32_e32 v3, 0, v6, vcc_lo
	s_delay_alu instid0(VALU_DEP_1)
	v_and_or_b32 v6, 0x80000000, v2, v3
.LBB14_1476:
	s_mov_b32 s6, 0
.LBB14_1477:
	s_delay_alu instid0(SALU_CYCLE_1)
	s_and_not1_b32 vcc_lo, exec_lo, s6
	s_cbranch_vccnz .LBB14_1479
; %bb.1478:
	global_load_u8 v2, v[0:1], off
	s_wait_loadcnt 0x0
	v_lshlrev_b32_e32 v3, 25, v2
	v_lshlrev_b16 v2, 8, v2
	s_delay_alu instid0(VALU_DEP_1) | instskip(SKIP_1) | instid1(VALU_DEP_2)
	v_and_or_b32 v9, 0x7f00, v2, 0.5
	v_bfe_i32 v2, v2, 0, 16
	v_dual_add_f32 v9, -0.5, v9 :: v_dual_lshrrev_b32 v6, 4, v3
	v_cmp_gt_u32_e32 vcc_lo, 0x8000000, v3
	s_delay_alu instid0(VALU_DEP_2) | instskip(NEXT) | instid1(VALU_DEP_1)
	v_or_b32_e32 v6, 0x70000000, v6
	v_mul_f32_e32 v6, 0x7800000, v6
	s_delay_alu instid0(VALU_DEP_1) | instskip(NEXT) | instid1(VALU_DEP_1)
	v_cndmask_b32_e32 v3, v6, v9, vcc_lo
	v_and_or_b32 v6, 0x80000000, v2, v3
.LBB14_1479:
	s_mov_b32 s6, 0
	s_mov_b32 s7, -1
.LBB14_1480:
	s_and_not1_b32 vcc_lo, exec_lo, s6
	s_mov_b32 s6, 0
	s_cbranch_vccnz .LBB14_1491
; %bb.1481:
	s_cmp_gt_i32 s0, 14
	s_cbranch_scc0 .LBB14_1484
; %bb.1482:
	s_cmp_eq_u32 s0, 15
	s_cbranch_scc0 .LBB14_1487
; %bb.1483:
	global_load_u16 v2, v[0:1], off
	s_mov_b32 s2, 0
	s_mov_b32 s7, -1
	s_wait_loadcnt 0x0
	v_lshlrev_b32_e32 v6, 16, v2
	s_branch .LBB14_1489
.LBB14_1484:
	s_mov_b32 s6, -1
	s_branch .LBB14_1488
.LBB14_1485:
	s_or_saveexec_b32 s7, s7
	v_mov_b32_e32 v6, 0x7f800001
	s_xor_b32 exec_lo, exec_lo, s7
	s_cbranch_execz .LBB14_1466
.LBB14_1486:
	v_cmp_ne_u16_e32 vcc_lo, 0, v2
	v_mov_b32_e32 v6, 0
	s_and_not1_b32 s6, s6, exec_lo
	s_and_b32 s9, vcc_lo, exec_lo
	s_delay_alu instid0(SALU_CYCLE_1)
	s_or_b32 s6, s6, s9
	s_or_b32 exec_lo, exec_lo, s7
	s_and_saveexec_b32 s7, s6
	s_cbranch_execnz .LBB14_1467
	s_branch .LBB14_1468
.LBB14_1487:
	s_mov_b32 s2, -1
.LBB14_1488:
                                        ; implicit-def: $vgpr6
.LBB14_1489:
	s_and_b32 vcc_lo, exec_lo, s6
	s_mov_b32 s6, 0
	s_cbranch_vccz .LBB14_1491
; %bb.1490:
	s_cmp_lg_u32 s0, 11
	s_mov_b32 s6, -1
	s_cselect_b32 s2, -1, 0
.LBB14_1491:
	s_delay_alu instid0(SALU_CYCLE_1)
	s_and_b32 vcc_lo, exec_lo, s2
	s_cbranch_vccnz .LBB14_2020
; %bb.1492:
	s_and_not1_b32 vcc_lo, exec_lo, s6
	s_cbranch_vccnz .LBB14_1494
.LBB14_1493:
	global_load_u8 v2, v[0:1], off
	s_mov_b32 s7, -1
	s_wait_loadcnt 0x0
	v_cmp_ne_u16_e32 vcc_lo, 0, v2
	v_cndmask_b32_e64 v6, 0, 1.0, vcc_lo
.LBB14_1494:
	s_mov_b32 s2, 0
.LBB14_1495:
	s_delay_alu instid0(SALU_CYCLE_1)
	s_and_b32 vcc_lo, exec_lo, s2
	s_cbranch_vccz .LBB14_1544
; %bb.1496:
	s_cmp_lt_i32 s0, 5
	s_cbranch_scc1 .LBB14_1501
; %bb.1497:
	s_cmp_lt_i32 s0, 8
	s_cbranch_scc1 .LBB14_1502
	;; [unrolled: 3-line block ×3, first 2 shown]
; %bb.1499:
	s_cmp_gt_i32 s0, 9
	s_cbranch_scc0 .LBB14_1504
; %bb.1500:
	global_load_b64 v[2:3], v[0:1], off
	s_mov_b32 s2, 0
	s_wait_loadcnt 0x0
	v_cvt_f32_f64_e32 v6, v[2:3]
	s_branch .LBB14_1505
.LBB14_1501:
	s_mov_b32 s2, -1
                                        ; implicit-def: $vgpr6
	s_branch .LBB14_1523
.LBB14_1502:
	s_mov_b32 s2, -1
                                        ; implicit-def: $vgpr6
	s_branch .LBB14_1511
.LBB14_1503:
	s_mov_b32 s2, -1
                                        ; implicit-def: $vgpr6
	s_branch .LBB14_1508
.LBB14_1504:
	s_mov_b32 s2, -1
                                        ; implicit-def: $vgpr6
.LBB14_1505:
	s_delay_alu instid0(SALU_CYCLE_1)
	s_and_not1_b32 vcc_lo, exec_lo, s2
	s_cbranch_vccnz .LBB14_1507
; %bb.1506:
	global_load_b32 v6, v[0:1], off
.LBB14_1507:
	s_mov_b32 s2, 0
.LBB14_1508:
	s_delay_alu instid0(SALU_CYCLE_1)
	s_and_not1_b32 vcc_lo, exec_lo, s2
	s_cbranch_vccnz .LBB14_1510
; %bb.1509:
	global_load_b32 v2, v[0:1], off
	s_wait_loadcnt 0x0
	v_cvt_f32_f16_e32 v6, v2
.LBB14_1510:
	s_mov_b32 s2, 0
.LBB14_1511:
	s_delay_alu instid0(SALU_CYCLE_1)
	s_and_not1_b32 vcc_lo, exec_lo, s2
	s_cbranch_vccnz .LBB14_1522
; %bb.1512:
	s_cmp_lt_i32 s0, 6
	s_cbranch_scc1 .LBB14_1515
; %bb.1513:
	s_cmp_gt_i32 s0, 6
	s_cbranch_scc0 .LBB14_1516
; %bb.1514:
	global_load_b64 v[2:3], v[0:1], off
	s_mov_b32 s2, 0
	s_wait_loadcnt 0x0
	v_cvt_f32_f64_e32 v6, v[2:3]
	s_branch .LBB14_1517
.LBB14_1515:
	s_mov_b32 s2, -1
                                        ; implicit-def: $vgpr6
	s_branch .LBB14_1520
.LBB14_1516:
	s_mov_b32 s2, -1
                                        ; implicit-def: $vgpr6
.LBB14_1517:
	s_delay_alu instid0(SALU_CYCLE_1)
	s_and_not1_b32 vcc_lo, exec_lo, s2
	s_cbranch_vccnz .LBB14_1519
; %bb.1518:
	s_wait_loadcnt 0x0
	global_load_b32 v6, v[0:1], off
.LBB14_1519:
	s_mov_b32 s2, 0
.LBB14_1520:
	s_delay_alu instid0(SALU_CYCLE_1)
	s_and_not1_b32 vcc_lo, exec_lo, s2
	s_cbranch_vccnz .LBB14_1522
; %bb.1521:
	global_load_u16 v2, v[0:1], off
	s_wait_loadcnt 0x0
	v_cvt_f32_f16_e32 v6, v2
.LBB14_1522:
	s_mov_b32 s2, 0
.LBB14_1523:
	s_delay_alu instid0(SALU_CYCLE_1)
	s_and_not1_b32 vcc_lo, exec_lo, s2
	s_cbranch_vccnz .LBB14_1543
; %bb.1524:
	s_cmp_lt_i32 s0, 2
	s_cbranch_scc1 .LBB14_1528
; %bb.1525:
	s_cmp_lt_i32 s0, 3
	s_cbranch_scc1 .LBB14_1529
; %bb.1526:
	s_cmp_gt_i32 s0, 3
	s_cbranch_scc0 .LBB14_1530
; %bb.1527:
	global_load_b64 v[2:3], v[0:1], off
	s_mov_b32 s2, 0
	s_wait_loadcnt 0x0
	v_xor_b32_e32 v6, v2, v3
	v_cls_i32_e32 v9, v3
	s_delay_alu instid0(VALU_DEP_2) | instskip(NEXT) | instid1(VALU_DEP_1)
	v_ashrrev_i32_e32 v6, 31, v6
	v_add_nc_u32_e32 v6, 32, v6
	s_delay_alu instid0(VALU_DEP_1) | instskip(NEXT) | instid1(VALU_DEP_1)
	v_add_min_u32_e64 v6, v9, -1, v6
	v_lshlrev_b64_e32 v[2:3], v6, v[2:3]
	s_delay_alu instid0(VALU_DEP_1) | instskip(NEXT) | instid1(VALU_DEP_1)
	v_min_u32_e32 v2, 1, v2
	v_or_b32_e32 v2, v3, v2
	v_sub_nc_u32_e32 v3, 32, v6
	s_delay_alu instid0(VALU_DEP_2) | instskip(NEXT) | instid1(VALU_DEP_1)
	v_cvt_f32_i32_e32 v2, v2
	v_ldexp_f32 v6, v2, v3
	s_branch .LBB14_1531
.LBB14_1528:
	s_mov_b32 s2, -1
                                        ; implicit-def: $vgpr6
	s_branch .LBB14_1537
.LBB14_1529:
	s_mov_b32 s2, -1
                                        ; implicit-def: $vgpr6
	s_branch .LBB14_1534
.LBB14_1530:
	s_mov_b32 s2, -1
                                        ; implicit-def: $vgpr6
.LBB14_1531:
	s_delay_alu instid0(SALU_CYCLE_1)
	s_and_not1_b32 vcc_lo, exec_lo, s2
	s_cbranch_vccnz .LBB14_1533
; %bb.1532:
	global_load_b32 v2, v[0:1], off
	s_wait_loadcnt 0x0
	v_cvt_f32_i32_e32 v6, v2
.LBB14_1533:
	s_mov_b32 s2, 0
.LBB14_1534:
	s_delay_alu instid0(SALU_CYCLE_1)
	s_and_not1_b32 vcc_lo, exec_lo, s2
	s_cbranch_vccnz .LBB14_1536
; %bb.1535:
	global_load_i16 v2, v[0:1], off
	s_wait_loadcnt 0x0
	v_cvt_f32_i32_e32 v6, v2
.LBB14_1536:
	s_mov_b32 s2, 0
.LBB14_1537:
	s_delay_alu instid0(SALU_CYCLE_1)
	s_and_not1_b32 vcc_lo, exec_lo, s2
	s_cbranch_vccnz .LBB14_1543
; %bb.1538:
	s_cmp_gt_i32 s0, 0
	s_mov_b32 s0, 0
	s_cbranch_scc0 .LBB14_1540
; %bb.1539:
	global_load_i8 v2, v[0:1], off
	s_wait_loadcnt 0x0
	v_cvt_f32_i32_e32 v6, v2
	s_branch .LBB14_1541
.LBB14_1540:
	s_mov_b32 s0, -1
                                        ; implicit-def: $vgpr6
.LBB14_1541:
	s_delay_alu instid0(SALU_CYCLE_1)
	s_and_not1_b32 vcc_lo, exec_lo, s0
	s_cbranch_vccnz .LBB14_1543
; %bb.1542:
	global_load_u8 v0, v[0:1], off
	s_wait_loadcnt 0x0
	v_cvt_f32_ubyte0_e32 v6, v0
.LBB14_1543:
	s_mov_b32 s7, -1
.LBB14_1544:
	s_delay_alu instid0(SALU_CYCLE_1)
	s_and_not1_b32 vcc_lo, exec_lo, s7
	s_cbranch_vccnz .LBB14_1975
; %bb.1545:
	s_wait_xcnt 0x0
	v_mul_lo_u32 v0, s8, v4
	s_wait_loadcnt 0x0
	v_cmp_nge_f32_e64 s0, v5, -s10
	v_cmp_nge_f32_e32 vcc_lo, s10, v5
	s_and_b32 s13, s11, 0xff
	s_mov_b32 s7, 0
	s_or_b32 vcc_lo, s0, vcc_lo
	s_cmp_lt_i32 s13, 11
	s_mov_b32 s0, -1
	v_dual_cndmask_b32 v4, 0, v5 :: v_dual_ashrrev_i32 v1, 31, v0
	s_delay_alu instid0(VALU_DEP_1)
	v_add_nc_u64_e32 v[2:3], s[4:5], v[0:1]
	s_cbranch_scc1 .LBB14_1624
; %bb.1546:
	s_and_b32 s2, 0xffff, s13
	s_mov_b32 s9, -1
	s_mov_b32 s6, 0
	s_cmp_gt_i32 s2, 25
	s_mov_b32 s0, 0
	s_cbranch_scc0 .LBB14_1579
; %bb.1547:
	s_cmp_gt_i32 s2, 28
	s_cbranch_scc0 .LBB14_1562
; %bb.1548:
	s_cmp_gt_i32 s2, 43
	;; [unrolled: 3-line block ×3, first 2 shown]
	s_cbranch_scc0 .LBB14_1552
; %bb.1550:
	s_mov_b32 s0, -1
	s_mov_b32 s9, 0
	s_cmp_eq_u32 s2, 46
	s_cbranch_scc0 .LBB14_1552
; %bb.1551:
	v_bfe_u32 v1, v4, 16, 1
	v_cmp_o_f32_e32 vcc_lo, v4, v4
	s_mov_b32 s0, 0
	s_mov_b32 s7, -1
	s_delay_alu instid0(VALU_DEP_2) | instskip(NEXT) | instid1(VALU_DEP_1)
	v_add3_u32 v1, v4, v1, 0x7fff
	v_lshrrev_b32_e32 v1, 16, v1
	s_delay_alu instid0(VALU_DEP_1)
	v_cndmask_b32_e32 v1, 0x7fc0, v1, vcc_lo
	global_store_b32 v[2:3], v1, off
.LBB14_1552:
	s_and_b32 vcc_lo, exec_lo, s9
	s_cbranch_vccz .LBB14_1557
; %bb.1553:
	s_cmp_eq_u32 s2, 44
	s_mov_b32 s0, -1
	s_cbranch_scc0 .LBB14_1557
; %bb.1554:
	v_bfe_u32 v5, v4, 23, 8
	s_wait_xcnt 0x0
	v_mov_b32_e32 v1, 0xff
	s_mov_b32 s7, exec_lo
	s_delay_alu instid0(VALU_DEP_2)
	v_cmpx_ne_u32_e32 0xff, v5
	s_cbranch_execz .LBB14_1556
; %bb.1555:
	v_and_b32_e32 v1, 0x400000, v4
	v_and_or_b32 v5, 0x3fffff, v4, v5
	s_delay_alu instid0(VALU_DEP_2) | instskip(NEXT) | instid1(VALU_DEP_2)
	v_cmp_ne_u32_e32 vcc_lo, 0, v1
	v_cmp_ne_u32_e64 s0, 0, v5
	v_lshrrev_b32_e32 v1, 23, v4
	s_and_b32 s0, vcc_lo, s0
	s_delay_alu instid0(SALU_CYCLE_1) | instskip(NEXT) | instid1(VALU_DEP_1)
	v_cndmask_b32_e64 v5, 0, 1, s0
	v_add_nc_u32_e32 v1, v1, v5
.LBB14_1556:
	s_or_b32 exec_lo, exec_lo, s7
	s_mov_b32 s0, 0
	s_mov_b32 s7, -1
	global_store_b8 v[2:3], v1, off
.LBB14_1557:
	s_mov_b32 s9, 0
.LBB14_1558:
	s_delay_alu instid0(SALU_CYCLE_1)
	s_and_b32 vcc_lo, exec_lo, s9
	s_cbranch_vccz .LBB14_1561
; %bb.1559:
	s_cmp_eq_u32 s2, 29
	s_mov_b32 s0, -1
	s_cbranch_scc0 .LBB14_1561
; %bb.1560:
	s_wait_xcnt 0x0
	v_trunc_f32_e32 v1, v4
	s_mov_b32 s0, 0
	s_mov_b32 s7, -1
	s_delay_alu instid0(VALU_DEP_1) | instskip(NEXT) | instid1(VALU_DEP_1)
	v_mul_f32_e32 v5, 0x2f800000, v1
	v_floor_f32_e32 v5, v5
	s_delay_alu instid0(VALU_DEP_1) | instskip(SKIP_1) | instid1(VALU_DEP_2)
	v_fmamk_f32 v1, v5, 0xcf800000, v1
	v_cvt_u32_f32_e32 v11, v5
	v_cvt_u32_f32_e32 v10, v1
	global_store_b64 v[2:3], v[10:11], off
.LBB14_1561:
	s_mov_b32 s9, 0
.LBB14_1562:
	s_delay_alu instid0(SALU_CYCLE_1)
	s_and_b32 vcc_lo, exec_lo, s9
	s_cbranch_vccz .LBB14_1578
; %bb.1563:
	s_cmp_lt_i32 s2, 27
	s_mov_b32 s7, -1
	s_cbranch_scc1 .LBB14_1569
; %bb.1564:
	s_wait_xcnt 0x0
	v_cvt_u32_f32_e32 v1, v4
	s_cmp_gt_i32 s2, 27
	s_cbranch_scc0 .LBB14_1566
; %bb.1565:
	s_mov_b32 s7, 0
	global_store_b32 v[2:3], v1, off
.LBB14_1566:
	s_and_not1_b32 vcc_lo, exec_lo, s7
	s_cbranch_vccnz .LBB14_1568
; %bb.1567:
	global_store_b16 v[2:3], v1, off
.LBB14_1568:
	s_mov_b32 s7, 0
.LBB14_1569:
	s_delay_alu instid0(SALU_CYCLE_1)
	s_and_not1_b32 vcc_lo, exec_lo, s7
	s_cbranch_vccnz .LBB14_1577
; %bb.1570:
	s_wait_xcnt 0x0
	v_and_b32_e32 v1, 0x7fffffff, v4
	v_mov_b32_e32 v5, 0x80
	s_mov_b32 s7, exec_lo
	s_delay_alu instid0(VALU_DEP_2)
	v_cmpx_gt_u32_e32 0x43800000, v1
	s_cbranch_execz .LBB14_1576
; %bb.1571:
	v_cmp_lt_u32_e32 vcc_lo, 0x3bffffff, v1
	s_mov_b32 s9, 0
                                        ; implicit-def: $vgpr1
	s_and_saveexec_b32 s11, vcc_lo
	s_delay_alu instid0(SALU_CYCLE_1)
	s_xor_b32 s11, exec_lo, s11
	s_cbranch_execz .LBB14_2021
; %bb.1572:
	v_bfe_u32 v1, v4, 20, 1
	s_mov_b32 s9, exec_lo
	s_delay_alu instid0(VALU_DEP_1) | instskip(NEXT) | instid1(VALU_DEP_1)
	v_add3_u32 v1, v4, v1, 0x487ffff
	v_lshrrev_b32_e32 v1, 20, v1
	s_and_not1_saveexec_b32 s11, s11
	s_cbranch_execnz .LBB14_2022
.LBB14_1573:
	s_or_b32 exec_lo, exec_lo, s11
	v_mov_b32_e32 v5, 0
	s_and_saveexec_b32 s11, s9
.LBB14_1574:
	v_lshrrev_b32_e32 v5, 24, v4
	s_delay_alu instid0(VALU_DEP_1)
	v_and_or_b32 v5, 0x80, v5, v1
.LBB14_1575:
	s_or_b32 exec_lo, exec_lo, s11
.LBB14_1576:
	s_delay_alu instid0(SALU_CYCLE_1)
	s_or_b32 exec_lo, exec_lo, s7
	global_store_b8 v[2:3], v5, off
.LBB14_1577:
	s_mov_b32 s7, -1
.LBB14_1578:
	s_mov_b32 s9, 0
.LBB14_1579:
	s_delay_alu instid0(SALU_CYCLE_1)
	s_and_b32 vcc_lo, exec_lo, s9
	s_cbranch_vccz .LBB14_1619
; %bb.1580:
	s_cmp_gt_i32 s2, 22
	s_mov_b32 s6, -1
	s_cbranch_scc0 .LBB14_1612
; %bb.1581:
	s_cmp_lt_i32 s2, 24
	s_cbranch_scc1 .LBB14_1601
; %bb.1582:
	s_cmp_gt_i32 s2, 24
	s_cbranch_scc0 .LBB14_1590
; %bb.1583:
	s_wait_xcnt 0x0
	v_and_b32_e32 v1, 0x7fffffff, v4
	v_mov_b32_e32 v5, 0x80
	s_mov_b32 s6, exec_lo
	s_delay_alu instid0(VALU_DEP_2)
	v_cmpx_gt_u32_e32 0x47800000, v1
	s_cbranch_execz .LBB14_1589
; %bb.1584:
	v_cmp_lt_u32_e32 vcc_lo, 0x37ffffff, v1
	s_mov_b32 s7, 0
                                        ; implicit-def: $vgpr1
	s_and_saveexec_b32 s9, vcc_lo
	s_delay_alu instid0(SALU_CYCLE_1)
	s_xor_b32 s9, exec_lo, s9
	s_cbranch_execz .LBB14_2024
; %bb.1585:
	v_bfe_u32 v1, v4, 21, 1
	s_mov_b32 s7, exec_lo
	s_delay_alu instid0(VALU_DEP_1) | instskip(NEXT) | instid1(VALU_DEP_1)
	v_add3_u32 v1, v4, v1, 0x88fffff
	v_lshrrev_b32_e32 v1, 21, v1
	s_and_not1_saveexec_b32 s9, s9
	s_cbranch_execnz .LBB14_2025
.LBB14_1586:
	s_or_b32 exec_lo, exec_lo, s9
	v_mov_b32_e32 v5, 0
	s_and_saveexec_b32 s9, s7
.LBB14_1587:
	v_lshrrev_b32_e32 v5, 24, v4
	s_delay_alu instid0(VALU_DEP_1)
	v_and_or_b32 v5, 0x80, v5, v1
.LBB14_1588:
	s_or_b32 exec_lo, exec_lo, s9
.LBB14_1589:
	s_delay_alu instid0(SALU_CYCLE_1)
	s_or_b32 exec_lo, exec_lo, s6
	s_mov_b32 s6, 0
	global_store_b8 v[2:3], v5, off
.LBB14_1590:
	s_and_b32 vcc_lo, exec_lo, s6
	s_cbranch_vccz .LBB14_1600
; %bb.1591:
	s_wait_xcnt 0x0
	v_and_b32_e32 v5, 0x7fffffff, v4
	s_mov_b32 s6, exec_lo
                                        ; implicit-def: $vgpr1
	s_delay_alu instid0(VALU_DEP_1)
	v_cmpx_gt_u32_e32 0x43f00000, v5
	s_xor_b32 s6, exec_lo, s6
	s_cbranch_execz .LBB14_1597
; %bb.1592:
	s_mov_b32 s7, exec_lo
                                        ; implicit-def: $vgpr1
	v_cmpx_lt_u32_e32 0x3c7fffff, v5
	s_xor_b32 s7, exec_lo, s7
; %bb.1593:
	v_bfe_u32 v1, v4, 20, 1
	s_delay_alu instid0(VALU_DEP_1) | instskip(NEXT) | instid1(VALU_DEP_1)
	v_add3_u32 v1, v4, v1, 0x407ffff
	v_and_b32_e32 v5, 0xff00000, v1
	v_lshrrev_b32_e32 v1, 20, v1
	s_delay_alu instid0(VALU_DEP_2) | instskip(NEXT) | instid1(VALU_DEP_2)
	v_cmp_ne_u32_e32 vcc_lo, 0x7f00000, v5
	v_cndmask_b32_e32 v1, 0x7e, v1, vcc_lo
; %bb.1594:
	s_and_not1_saveexec_b32 s7, s7
; %bb.1595:
	v_add_f32_e64 v1, 0x46800000, |v4|
; %bb.1596:
	s_or_b32 exec_lo, exec_lo, s7
                                        ; implicit-def: $vgpr5
.LBB14_1597:
	s_and_not1_saveexec_b32 s6, s6
; %bb.1598:
	v_mov_b32_e32 v1, 0x7f
	v_cmp_lt_u32_e32 vcc_lo, 0x7f800000, v5
	s_delay_alu instid0(VALU_DEP_2)
	v_cndmask_b32_e32 v1, 0x7e, v1, vcc_lo
; %bb.1599:
	s_or_b32 exec_lo, exec_lo, s6
	v_lshrrev_b32_e32 v5, 24, v4
	s_delay_alu instid0(VALU_DEP_1)
	v_and_or_b32 v1, 0x80, v5, v1
	global_store_b8 v[2:3], v1, off
.LBB14_1600:
	s_mov_b32 s6, 0
.LBB14_1601:
	s_delay_alu instid0(SALU_CYCLE_1)
	s_and_not1_b32 vcc_lo, exec_lo, s6
	s_cbranch_vccnz .LBB14_1611
; %bb.1602:
	s_wait_xcnt 0x0
	v_and_b32_e32 v5, 0x7fffffff, v4
	s_mov_b32 s6, exec_lo
                                        ; implicit-def: $vgpr1
	s_delay_alu instid0(VALU_DEP_1)
	v_cmpx_gt_u32_e32 0x47800000, v5
	s_xor_b32 s6, exec_lo, s6
	s_cbranch_execz .LBB14_1608
; %bb.1603:
	s_mov_b32 s7, exec_lo
                                        ; implicit-def: $vgpr1
	v_cmpx_lt_u32_e32 0x387fffff, v5
	s_xor_b32 s7, exec_lo, s7
; %bb.1604:
	v_bfe_u32 v1, v4, 21, 1
	s_delay_alu instid0(VALU_DEP_1) | instskip(NEXT) | instid1(VALU_DEP_1)
	v_add3_u32 v1, v4, v1, 0x80fffff
	v_lshrrev_b32_e32 v1, 21, v1
; %bb.1605:
	s_and_not1_saveexec_b32 s7, s7
; %bb.1606:
	v_add_f32_e64 v1, 0x43000000, |v4|
; %bb.1607:
	s_or_b32 exec_lo, exec_lo, s7
                                        ; implicit-def: $vgpr5
.LBB14_1608:
	s_and_not1_saveexec_b32 s6, s6
; %bb.1609:
	v_mov_b32_e32 v1, 0x7f
	v_cmp_lt_u32_e32 vcc_lo, 0x7f800000, v5
	s_delay_alu instid0(VALU_DEP_2)
	v_cndmask_b32_e32 v1, 0x7c, v1, vcc_lo
; %bb.1610:
	s_or_b32 exec_lo, exec_lo, s6
	v_lshrrev_b32_e32 v5, 24, v4
	s_delay_alu instid0(VALU_DEP_1)
	v_and_or_b32 v1, 0x80, v5, v1
	global_store_b8 v[2:3], v1, off
.LBB14_1611:
	s_mov_b32 s6, 0
	s_mov_b32 s7, -1
.LBB14_1612:
	s_and_not1_b32 vcc_lo, exec_lo, s6
	s_mov_b32 s6, 0
	s_cbranch_vccnz .LBB14_1619
; %bb.1613:
	s_cmp_gt_i32 s2, 14
	s_mov_b32 s6, -1
	s_cbranch_scc0 .LBB14_1617
; %bb.1614:
	s_cmp_eq_u32 s2, 15
	s_mov_b32 s0, -1
	s_cbranch_scc0 .LBB14_1616
; %bb.1615:
	s_wait_xcnt 0x0
	v_bfe_u32 v1, v4, 16, 1
	v_cmp_o_f32_e32 vcc_lo, v4, v4
	s_mov_b32 s0, 0
	s_mov_b32 s7, -1
	s_delay_alu instid0(VALU_DEP_2) | instskip(NEXT) | instid1(VALU_DEP_1)
	v_add3_u32 v1, v4, v1, 0x7fff
	v_lshrrev_b32_e32 v1, 16, v1
	s_delay_alu instid0(VALU_DEP_1)
	v_cndmask_b32_e32 v1, 0x7fc0, v1, vcc_lo
	global_store_b16 v[2:3], v1, off
.LBB14_1616:
	s_mov_b32 s6, 0
.LBB14_1617:
	s_delay_alu instid0(SALU_CYCLE_1)
	s_and_b32 vcc_lo, exec_lo, s6
	s_mov_b32 s6, 0
	s_cbranch_vccz .LBB14_1619
; %bb.1618:
	s_cmp_lg_u32 s2, 11
	s_mov_b32 s6, -1
	s_cselect_b32 s0, -1, 0
.LBB14_1619:
	s_delay_alu instid0(SALU_CYCLE_1)
	s_and_b32 vcc_lo, exec_lo, s0
	s_cbranch_vccnz .LBB14_2023
; %bb.1620:
	s_and_not1_b32 vcc_lo, exec_lo, s6
	s_cbranch_vccnz .LBB14_1622
.LBB14_1621:
	v_cmp_neq_f32_e32 vcc_lo, 0, v4
	s_mov_b32 s7, -1
	s_wait_xcnt 0x0
	v_cndmask_b32_e64 v1, 0, 1, vcc_lo
	global_store_b8 v[2:3], v1, off
.LBB14_1622:
.LBB14_1623:
	s_and_not1_b32 vcc_lo, exec_lo, s7
	s_cbranch_vccz .LBB14_1663
	s_branch .LBB14_1975
.LBB14_1624:
	s_and_b32 vcc_lo, exec_lo, s0
	s_cbranch_vccz .LBB14_1623
; %bb.1625:
	s_and_b32 s0, 0xffff, s13
	s_mov_b32 s2, -1
	s_cmp_lt_i32 s0, 5
	s_cbranch_scc1 .LBB14_1646
; %bb.1626:
	s_cmp_lt_i32 s0, 8
	s_cbranch_scc1 .LBB14_1636
; %bb.1627:
	;; [unrolled: 3-line block ×3, first 2 shown]
	s_cmp_gt_i32 s0, 9
	s_cbranch_scc0 .LBB14_1630
; %bb.1629:
	s_wait_xcnt 0x0
	v_cvt_f64_f32_e32 v[10:11], v4
	v_mov_b32_e32 v12, 0
	s_mov_b32 s2, 0
	s_delay_alu instid0(VALU_DEP_1)
	v_mov_b32_e32 v13, v12
	global_store_b128 v[2:3], v[10:13], off
.LBB14_1630:
	s_and_not1_b32 vcc_lo, exec_lo, s2
	s_cbranch_vccnz .LBB14_1632
; %bb.1631:
	s_wait_xcnt 0x0
	v_mov_b32_e32 v5, 0
	global_store_b64 v[2:3], v[4:5], off
.LBB14_1632:
	s_mov_b32 s2, 0
.LBB14_1633:
	s_delay_alu instid0(SALU_CYCLE_1)
	s_and_not1_b32 vcc_lo, exec_lo, s2
	s_cbranch_vccnz .LBB14_1635
; %bb.1634:
	s_wait_xcnt 0x0
	v_cvt_f16_f32_e32 v1, v4
	s_delay_alu instid0(VALU_DEP_1)
	v_and_b32_e32 v1, 0xffff, v1
	global_store_b32 v[2:3], v1, off
.LBB14_1635:
	s_mov_b32 s2, 0
.LBB14_1636:
	s_delay_alu instid0(SALU_CYCLE_1)
	s_and_not1_b32 vcc_lo, exec_lo, s2
	s_cbranch_vccnz .LBB14_1645
; %bb.1637:
	s_cmp_lt_i32 s0, 6
	s_mov_b32 s2, -1
	s_cbranch_scc1 .LBB14_1643
; %bb.1638:
	s_cmp_gt_i32 s0, 6
	s_cbranch_scc0 .LBB14_1640
; %bb.1639:
	s_wait_xcnt 0x0
	v_cvt_f64_f32_e32 v[10:11], v4
	s_mov_b32 s2, 0
	global_store_b64 v[2:3], v[10:11], off
.LBB14_1640:
	s_and_not1_b32 vcc_lo, exec_lo, s2
	s_cbranch_vccnz .LBB14_1642
; %bb.1641:
	global_store_b32 v[2:3], v4, off
.LBB14_1642:
	s_mov_b32 s2, 0
.LBB14_1643:
	s_delay_alu instid0(SALU_CYCLE_1)
	s_and_not1_b32 vcc_lo, exec_lo, s2
	s_cbranch_vccnz .LBB14_1645
; %bb.1644:
	s_wait_xcnt 0x0
	v_cvt_f16_f32_e32 v1, v4
	global_store_b16 v[2:3], v1, off
.LBB14_1645:
	s_mov_b32 s2, 0
.LBB14_1646:
	s_delay_alu instid0(SALU_CYCLE_1)
	s_and_not1_b32 vcc_lo, exec_lo, s2
	s_cbranch_vccnz .LBB14_1662
; %bb.1647:
	s_cmp_lt_i32 s0, 2
	s_mov_b32 s2, -1
	s_cbranch_scc1 .LBB14_1657
; %bb.1648:
	s_cmp_lt_i32 s0, 3
	s_cbranch_scc1 .LBB14_1654
; %bb.1649:
	s_cmp_gt_i32 s0, 3
	s_cbranch_scc0 .LBB14_1651
; %bb.1650:
	s_wait_xcnt 0x0
	v_trunc_f32_e32 v1, v4
	s_mov_b32 s2, 0
	s_delay_alu instid0(VALU_DEP_1) | instskip(SKIP_1) | instid1(VALU_DEP_2)
	v_mul_f32_e64 v5, 0x2f800000, |v1|
	v_ashrrev_i32_e32 v10, 31, v1
	v_floor_f32_e32 v5, v5
	s_delay_alu instid0(VALU_DEP_1) | instskip(SKIP_1) | instid1(VALU_DEP_4)
	v_fma_f32 v9, 0xcf800000, v5, |v1|
	v_cvt_u32_f32_e32 v1, v5
	v_mov_b32_e32 v11, v10
	s_delay_alu instid0(VALU_DEP_3) | instskip(NEXT) | instid1(VALU_DEP_3)
	v_cvt_u32_f32_e32 v5, v9
	v_xor_b32_e32 v13, v1, v10
	s_delay_alu instid0(VALU_DEP_2) | instskip(NEXT) | instid1(VALU_DEP_1)
	v_xor_b32_e32 v12, v5, v10
	v_sub_nc_u64_e32 v[10:11], v[12:13], v[10:11]
	global_store_b64 v[2:3], v[10:11], off
.LBB14_1651:
	s_and_not1_b32 vcc_lo, exec_lo, s2
	s_cbranch_vccnz .LBB14_1653
; %bb.1652:
	s_wait_xcnt 0x0
	v_cvt_i32_f32_e32 v1, v4
	global_store_b32 v[2:3], v1, off
.LBB14_1653:
	s_mov_b32 s2, 0
.LBB14_1654:
	s_delay_alu instid0(SALU_CYCLE_1)
	s_and_not1_b32 vcc_lo, exec_lo, s2
	s_cbranch_vccnz .LBB14_1656
; %bb.1655:
	s_wait_xcnt 0x0
	v_cvt_i32_f32_e32 v1, v4
	global_store_b16 v[2:3], v1, off
.LBB14_1656:
	s_mov_b32 s2, 0
.LBB14_1657:
	s_delay_alu instid0(SALU_CYCLE_1)
	s_and_not1_b32 vcc_lo, exec_lo, s2
	s_cbranch_vccnz .LBB14_1662
; %bb.1658:
	s_cmp_gt_i32 s0, 0
	s_mov_b32 s0, -1
	s_cbranch_scc0 .LBB14_1660
; %bb.1659:
	s_wait_xcnt 0x0
	v_cvt_i32_f32_e32 v1, v4
	s_mov_b32 s0, 0
	global_store_b8 v[2:3], v1, off
.LBB14_1660:
	s_and_not1_b32 vcc_lo, exec_lo, s0
	s_cbranch_vccnz .LBB14_1662
; %bb.1661:
	s_wait_xcnt 0x0
	v_trunc_f32_e32 v1, v4
	s_delay_alu instid0(VALU_DEP_1) | instskip(NEXT) | instid1(VALU_DEP_1)
	v_mul_f32_e64 v4, 0x2f800000, |v1|
	v_floor_f32_e32 v4, v4
	s_delay_alu instid0(VALU_DEP_1) | instskip(SKIP_1) | instid1(VALU_DEP_2)
	v_fma_f32 v4, 0xcf800000, v4, |v1|
	v_ashrrev_i32_e32 v1, 31, v1
	v_cvt_u32_f32_e32 v4, v4
	s_delay_alu instid0(VALU_DEP_1) | instskip(NEXT) | instid1(VALU_DEP_1)
	v_xor_b32_e32 v4, v4, v1
	v_sub_nc_u32_e32 v1, v4, v1
	global_store_b8 v[2:3], v1, off
.LBB14_1662:
.LBB14_1663:
	s_lshl_b32 s2, s8, 7
	v_cmp_nge_f32_e64 s0, v8, -s10
	v_add_nc_u32_e32 v0, s2, v0
	v_cmp_nge_f32_e32 vcc_lo, s10, v8
	s_mov_b32 s8, 0
	s_wait_xcnt 0x0
	s_delay_alu instid0(VALU_DEP_2)
	v_ashrrev_i32_e32 v1, 31, v0
	s_or_b32 vcc_lo, s0, vcc_lo
	s_cmp_lt_i32 s13, 11
	v_cndmask_b32_e32 v4, 0, v8, vcc_lo
	s_mov_b32 s0, -1
	v_add_nc_u64_e32 v[2:3], s[4:5], v[0:1]
	s_cbranch_scc1 .LBB14_1742
; %bb.1664:
	s_and_b32 s6, 0xffff, s13
	s_mov_b32 s9, -1
	s_mov_b32 s7, 0
	s_cmp_gt_i32 s6, 25
	s_mov_b32 s0, 0
	s_cbranch_scc0 .LBB14_1697
; %bb.1665:
	s_cmp_gt_i32 s6, 28
	s_cbranch_scc0 .LBB14_1680
; %bb.1666:
	s_cmp_gt_i32 s6, 43
	;; [unrolled: 3-line block ×3, first 2 shown]
	s_cbranch_scc0 .LBB14_1670
; %bb.1668:
	s_mov_b32 s0, -1
	s_mov_b32 s9, 0
	s_cmp_eq_u32 s6, 46
	s_cbranch_scc0 .LBB14_1670
; %bb.1669:
	v_bfe_u32 v1, v4, 16, 1
	v_cmp_o_f32_e32 vcc_lo, v4, v4
	s_mov_b32 s0, 0
	s_mov_b32 s8, -1
	s_delay_alu instid0(VALU_DEP_2) | instskip(NEXT) | instid1(VALU_DEP_1)
	v_add3_u32 v1, v4, v1, 0x7fff
	v_lshrrev_b32_e32 v1, 16, v1
	s_delay_alu instid0(VALU_DEP_1)
	v_cndmask_b32_e32 v1, 0x7fc0, v1, vcc_lo
	global_store_b32 v[2:3], v1, off
.LBB14_1670:
	s_and_b32 vcc_lo, exec_lo, s9
	s_cbranch_vccz .LBB14_1675
; %bb.1671:
	s_cmp_eq_u32 s6, 44
	s_mov_b32 s0, -1
	s_cbranch_scc0 .LBB14_1675
; %bb.1672:
	v_bfe_u32 v5, v4, 23, 8
	s_wait_xcnt 0x0
	v_mov_b32_e32 v1, 0xff
	s_mov_b32 s8, exec_lo
	s_delay_alu instid0(VALU_DEP_2)
	v_cmpx_ne_u32_e32 0xff, v5
	s_cbranch_execz .LBB14_1674
; %bb.1673:
	v_and_b32_e32 v1, 0x400000, v4
	v_and_or_b32 v5, 0x3fffff, v4, v5
	s_delay_alu instid0(VALU_DEP_2) | instskip(NEXT) | instid1(VALU_DEP_2)
	v_cmp_ne_u32_e32 vcc_lo, 0, v1
	v_cmp_ne_u32_e64 s0, 0, v5
	v_lshrrev_b32_e32 v1, 23, v4
	s_and_b32 s0, vcc_lo, s0
	s_delay_alu instid0(SALU_CYCLE_1) | instskip(NEXT) | instid1(VALU_DEP_1)
	v_cndmask_b32_e64 v5, 0, 1, s0
	v_add_nc_u32_e32 v1, v1, v5
.LBB14_1674:
	s_or_b32 exec_lo, exec_lo, s8
	s_mov_b32 s0, 0
	s_mov_b32 s8, -1
	global_store_b8 v[2:3], v1, off
.LBB14_1675:
	s_mov_b32 s9, 0
.LBB14_1676:
	s_delay_alu instid0(SALU_CYCLE_1)
	s_and_b32 vcc_lo, exec_lo, s9
	s_cbranch_vccz .LBB14_1679
; %bb.1677:
	s_cmp_eq_u32 s6, 29
	s_mov_b32 s0, -1
	s_cbranch_scc0 .LBB14_1679
; %bb.1678:
	s_wait_xcnt 0x0
	v_trunc_f32_e32 v1, v4
	s_mov_b32 s0, 0
	s_mov_b32 s8, -1
	s_delay_alu instid0(VALU_DEP_1) | instskip(NEXT) | instid1(VALU_DEP_1)
	v_mul_f32_e32 v5, 0x2f800000, v1
	v_floor_f32_e32 v5, v5
	s_delay_alu instid0(VALU_DEP_1) | instskip(SKIP_1) | instid1(VALU_DEP_2)
	v_fmamk_f32 v1, v5, 0xcf800000, v1
	v_cvt_u32_f32_e32 v9, v5
	v_cvt_u32_f32_e32 v8, v1
	global_store_b64 v[2:3], v[8:9], off
.LBB14_1679:
	s_mov_b32 s9, 0
.LBB14_1680:
	s_delay_alu instid0(SALU_CYCLE_1)
	s_and_b32 vcc_lo, exec_lo, s9
	s_cbranch_vccz .LBB14_1696
; %bb.1681:
	s_cmp_lt_i32 s6, 27
	s_mov_b32 s8, -1
	s_cbranch_scc1 .LBB14_1687
; %bb.1682:
	s_wait_xcnt 0x0
	v_cvt_u32_f32_e32 v1, v4
	s_cmp_gt_i32 s6, 27
	s_cbranch_scc0 .LBB14_1684
; %bb.1683:
	s_mov_b32 s8, 0
	global_store_b32 v[2:3], v1, off
.LBB14_1684:
	s_and_not1_b32 vcc_lo, exec_lo, s8
	s_cbranch_vccnz .LBB14_1686
; %bb.1685:
	global_store_b16 v[2:3], v1, off
.LBB14_1686:
	s_mov_b32 s8, 0
.LBB14_1687:
	s_delay_alu instid0(SALU_CYCLE_1)
	s_and_not1_b32 vcc_lo, exec_lo, s8
	s_cbranch_vccnz .LBB14_1695
; %bb.1688:
	s_wait_xcnt 0x0
	v_and_b32_e32 v1, 0x7fffffff, v4
	v_mov_b32_e32 v5, 0x80
	s_mov_b32 s8, exec_lo
	s_delay_alu instid0(VALU_DEP_2)
	v_cmpx_gt_u32_e32 0x43800000, v1
	s_cbranch_execz .LBB14_1694
; %bb.1689:
	v_cmp_lt_u32_e32 vcc_lo, 0x3bffffff, v1
	s_mov_b32 s9, 0
                                        ; implicit-def: $vgpr1
	s_and_saveexec_b32 s11, vcc_lo
	s_delay_alu instid0(SALU_CYCLE_1)
	s_xor_b32 s11, exec_lo, s11
	s_cbranch_execz .LBB14_2026
; %bb.1690:
	v_bfe_u32 v1, v4, 20, 1
	s_mov_b32 s9, exec_lo
	s_delay_alu instid0(VALU_DEP_1) | instskip(NEXT) | instid1(VALU_DEP_1)
	v_add3_u32 v1, v4, v1, 0x487ffff
	v_lshrrev_b32_e32 v1, 20, v1
	s_and_not1_saveexec_b32 s11, s11
	s_cbranch_execnz .LBB14_2027
.LBB14_1691:
	s_or_b32 exec_lo, exec_lo, s11
	v_mov_b32_e32 v5, 0
	s_and_saveexec_b32 s11, s9
.LBB14_1692:
	v_lshrrev_b32_e32 v5, 24, v4
	s_delay_alu instid0(VALU_DEP_1)
	v_and_or_b32 v5, 0x80, v5, v1
.LBB14_1693:
	s_or_b32 exec_lo, exec_lo, s11
.LBB14_1694:
	s_delay_alu instid0(SALU_CYCLE_1)
	s_or_b32 exec_lo, exec_lo, s8
	global_store_b8 v[2:3], v5, off
.LBB14_1695:
	s_mov_b32 s8, -1
.LBB14_1696:
	s_mov_b32 s9, 0
.LBB14_1697:
	s_delay_alu instid0(SALU_CYCLE_1)
	s_and_b32 vcc_lo, exec_lo, s9
	s_cbranch_vccz .LBB14_1737
; %bb.1698:
	s_cmp_gt_i32 s6, 22
	s_mov_b32 s7, -1
	s_cbranch_scc0 .LBB14_1730
; %bb.1699:
	s_cmp_lt_i32 s6, 24
	s_cbranch_scc1 .LBB14_1719
; %bb.1700:
	s_cmp_gt_i32 s6, 24
	s_cbranch_scc0 .LBB14_1708
; %bb.1701:
	s_wait_xcnt 0x0
	v_and_b32_e32 v1, 0x7fffffff, v4
	v_mov_b32_e32 v5, 0x80
	s_mov_b32 s7, exec_lo
	s_delay_alu instid0(VALU_DEP_2)
	v_cmpx_gt_u32_e32 0x47800000, v1
	s_cbranch_execz .LBB14_1707
; %bb.1702:
	v_cmp_lt_u32_e32 vcc_lo, 0x37ffffff, v1
	s_mov_b32 s8, 0
                                        ; implicit-def: $vgpr1
	s_and_saveexec_b32 s9, vcc_lo
	s_delay_alu instid0(SALU_CYCLE_1)
	s_xor_b32 s9, exec_lo, s9
	s_cbranch_execz .LBB14_2029
; %bb.1703:
	v_bfe_u32 v1, v4, 21, 1
	s_mov_b32 s8, exec_lo
	s_delay_alu instid0(VALU_DEP_1) | instskip(NEXT) | instid1(VALU_DEP_1)
	v_add3_u32 v1, v4, v1, 0x88fffff
	v_lshrrev_b32_e32 v1, 21, v1
	s_and_not1_saveexec_b32 s9, s9
	s_cbranch_execnz .LBB14_2030
.LBB14_1704:
	s_or_b32 exec_lo, exec_lo, s9
	v_mov_b32_e32 v5, 0
	s_and_saveexec_b32 s9, s8
.LBB14_1705:
	v_lshrrev_b32_e32 v5, 24, v4
	s_delay_alu instid0(VALU_DEP_1)
	v_and_or_b32 v5, 0x80, v5, v1
.LBB14_1706:
	s_or_b32 exec_lo, exec_lo, s9
.LBB14_1707:
	s_delay_alu instid0(SALU_CYCLE_1)
	s_or_b32 exec_lo, exec_lo, s7
	s_mov_b32 s7, 0
	global_store_b8 v[2:3], v5, off
.LBB14_1708:
	s_and_b32 vcc_lo, exec_lo, s7
	s_cbranch_vccz .LBB14_1718
; %bb.1709:
	s_wait_xcnt 0x0
	v_and_b32_e32 v5, 0x7fffffff, v4
	s_mov_b32 s7, exec_lo
                                        ; implicit-def: $vgpr1
	s_delay_alu instid0(VALU_DEP_1)
	v_cmpx_gt_u32_e32 0x43f00000, v5
	s_xor_b32 s7, exec_lo, s7
	s_cbranch_execz .LBB14_1715
; %bb.1710:
	s_mov_b32 s8, exec_lo
                                        ; implicit-def: $vgpr1
	v_cmpx_lt_u32_e32 0x3c7fffff, v5
	s_xor_b32 s8, exec_lo, s8
; %bb.1711:
	v_bfe_u32 v1, v4, 20, 1
	s_delay_alu instid0(VALU_DEP_1) | instskip(NEXT) | instid1(VALU_DEP_1)
	v_add3_u32 v1, v4, v1, 0x407ffff
	v_and_b32_e32 v5, 0xff00000, v1
	v_lshrrev_b32_e32 v1, 20, v1
	s_delay_alu instid0(VALU_DEP_2) | instskip(NEXT) | instid1(VALU_DEP_2)
	v_cmp_ne_u32_e32 vcc_lo, 0x7f00000, v5
	v_cndmask_b32_e32 v1, 0x7e, v1, vcc_lo
; %bb.1712:
	s_and_not1_saveexec_b32 s8, s8
; %bb.1713:
	v_add_f32_e64 v1, 0x46800000, |v4|
; %bb.1714:
	s_or_b32 exec_lo, exec_lo, s8
                                        ; implicit-def: $vgpr5
.LBB14_1715:
	s_and_not1_saveexec_b32 s7, s7
; %bb.1716:
	v_mov_b32_e32 v1, 0x7f
	v_cmp_lt_u32_e32 vcc_lo, 0x7f800000, v5
	s_delay_alu instid0(VALU_DEP_2)
	v_cndmask_b32_e32 v1, 0x7e, v1, vcc_lo
; %bb.1717:
	s_or_b32 exec_lo, exec_lo, s7
	v_lshrrev_b32_e32 v5, 24, v4
	s_delay_alu instid0(VALU_DEP_1)
	v_and_or_b32 v1, 0x80, v5, v1
	global_store_b8 v[2:3], v1, off
.LBB14_1718:
	s_mov_b32 s7, 0
.LBB14_1719:
	s_delay_alu instid0(SALU_CYCLE_1)
	s_and_not1_b32 vcc_lo, exec_lo, s7
	s_cbranch_vccnz .LBB14_1729
; %bb.1720:
	s_wait_xcnt 0x0
	v_and_b32_e32 v5, 0x7fffffff, v4
	s_mov_b32 s7, exec_lo
                                        ; implicit-def: $vgpr1
	s_delay_alu instid0(VALU_DEP_1)
	v_cmpx_gt_u32_e32 0x47800000, v5
	s_xor_b32 s7, exec_lo, s7
	s_cbranch_execz .LBB14_1726
; %bb.1721:
	s_mov_b32 s8, exec_lo
                                        ; implicit-def: $vgpr1
	v_cmpx_lt_u32_e32 0x387fffff, v5
	s_xor_b32 s8, exec_lo, s8
; %bb.1722:
	v_bfe_u32 v1, v4, 21, 1
	s_delay_alu instid0(VALU_DEP_1) | instskip(NEXT) | instid1(VALU_DEP_1)
	v_add3_u32 v1, v4, v1, 0x80fffff
	v_lshrrev_b32_e32 v1, 21, v1
; %bb.1723:
	s_and_not1_saveexec_b32 s8, s8
; %bb.1724:
	v_add_f32_e64 v1, 0x43000000, |v4|
; %bb.1725:
	s_or_b32 exec_lo, exec_lo, s8
                                        ; implicit-def: $vgpr5
.LBB14_1726:
	s_and_not1_saveexec_b32 s7, s7
; %bb.1727:
	v_mov_b32_e32 v1, 0x7f
	v_cmp_lt_u32_e32 vcc_lo, 0x7f800000, v5
	s_delay_alu instid0(VALU_DEP_2)
	v_cndmask_b32_e32 v1, 0x7c, v1, vcc_lo
; %bb.1728:
	s_or_b32 exec_lo, exec_lo, s7
	v_lshrrev_b32_e32 v5, 24, v4
	s_delay_alu instid0(VALU_DEP_1)
	v_and_or_b32 v1, 0x80, v5, v1
	global_store_b8 v[2:3], v1, off
.LBB14_1729:
	s_mov_b32 s7, 0
	s_mov_b32 s8, -1
.LBB14_1730:
	s_and_not1_b32 vcc_lo, exec_lo, s7
	s_mov_b32 s7, 0
	s_cbranch_vccnz .LBB14_1737
; %bb.1731:
	s_cmp_gt_i32 s6, 14
	s_mov_b32 s7, -1
	s_cbranch_scc0 .LBB14_1735
; %bb.1732:
	s_cmp_eq_u32 s6, 15
	s_mov_b32 s0, -1
	s_cbranch_scc0 .LBB14_1734
; %bb.1733:
	s_wait_xcnt 0x0
	v_bfe_u32 v1, v4, 16, 1
	v_cmp_o_f32_e32 vcc_lo, v4, v4
	s_mov_b32 s0, 0
	s_mov_b32 s8, -1
	s_delay_alu instid0(VALU_DEP_2) | instskip(NEXT) | instid1(VALU_DEP_1)
	v_add3_u32 v1, v4, v1, 0x7fff
	v_lshrrev_b32_e32 v1, 16, v1
	s_delay_alu instid0(VALU_DEP_1)
	v_cndmask_b32_e32 v1, 0x7fc0, v1, vcc_lo
	global_store_b16 v[2:3], v1, off
.LBB14_1734:
	s_mov_b32 s7, 0
.LBB14_1735:
	s_delay_alu instid0(SALU_CYCLE_1)
	s_and_b32 vcc_lo, exec_lo, s7
	s_mov_b32 s7, 0
	s_cbranch_vccz .LBB14_1737
; %bb.1736:
	s_cmp_lg_u32 s6, 11
	s_mov_b32 s7, -1
	s_cselect_b32 s0, -1, 0
.LBB14_1737:
	s_delay_alu instid0(SALU_CYCLE_1)
	s_and_b32 vcc_lo, exec_lo, s0
	s_cbranch_vccnz .LBB14_2028
; %bb.1738:
	s_and_not1_b32 vcc_lo, exec_lo, s7
	s_cbranch_vccnz .LBB14_1740
.LBB14_1739:
	v_cmp_neq_f32_e32 vcc_lo, 0, v4
	s_mov_b32 s8, -1
	s_wait_xcnt 0x0
	v_cndmask_b32_e64 v1, 0, 1, vcc_lo
	global_store_b8 v[2:3], v1, off
.LBB14_1740:
.LBB14_1741:
	s_and_not1_b32 vcc_lo, exec_lo, s8
	s_cbranch_vccz .LBB14_1781
	s_branch .LBB14_1975
.LBB14_1742:
	s_and_b32 vcc_lo, exec_lo, s0
	s_cbranch_vccz .LBB14_1741
; %bb.1743:
	s_and_b32 s0, 0xffff, s13
	s_mov_b32 s6, -1
	s_cmp_lt_i32 s0, 5
	s_cbranch_scc1 .LBB14_1764
; %bb.1744:
	s_cmp_lt_i32 s0, 8
	s_cbranch_scc1 .LBB14_1754
; %bb.1745:
	;; [unrolled: 3-line block ×3, first 2 shown]
	s_cmp_gt_i32 s0, 9
	s_cbranch_scc0 .LBB14_1748
; %bb.1747:
	s_wait_xcnt 0x0
	v_cvt_f64_f32_e32 v[8:9], v4
	v_mov_b32_e32 v10, 0
	s_mov_b32 s6, 0
	s_delay_alu instid0(VALU_DEP_1)
	v_mov_b32_e32 v11, v10
	global_store_b128 v[2:3], v[8:11], off
.LBB14_1748:
	s_and_not1_b32 vcc_lo, exec_lo, s6
	s_cbranch_vccnz .LBB14_1750
; %bb.1749:
	s_wait_xcnt 0x0
	v_mov_b32_e32 v5, 0
	global_store_b64 v[2:3], v[4:5], off
.LBB14_1750:
	s_mov_b32 s6, 0
.LBB14_1751:
	s_delay_alu instid0(SALU_CYCLE_1)
	s_and_not1_b32 vcc_lo, exec_lo, s6
	s_cbranch_vccnz .LBB14_1753
; %bb.1752:
	s_wait_xcnt 0x0
	v_cvt_f16_f32_e32 v1, v4
	s_delay_alu instid0(VALU_DEP_1)
	v_and_b32_e32 v1, 0xffff, v1
	global_store_b32 v[2:3], v1, off
.LBB14_1753:
	s_mov_b32 s6, 0
.LBB14_1754:
	s_delay_alu instid0(SALU_CYCLE_1)
	s_and_not1_b32 vcc_lo, exec_lo, s6
	s_cbranch_vccnz .LBB14_1763
; %bb.1755:
	s_cmp_lt_i32 s0, 6
	s_mov_b32 s6, -1
	s_cbranch_scc1 .LBB14_1761
; %bb.1756:
	s_cmp_gt_i32 s0, 6
	s_cbranch_scc0 .LBB14_1758
; %bb.1757:
	s_wait_xcnt 0x0
	v_cvt_f64_f32_e32 v[8:9], v4
	s_mov_b32 s6, 0
	global_store_b64 v[2:3], v[8:9], off
.LBB14_1758:
	s_and_not1_b32 vcc_lo, exec_lo, s6
	s_cbranch_vccnz .LBB14_1760
; %bb.1759:
	global_store_b32 v[2:3], v4, off
.LBB14_1760:
	s_mov_b32 s6, 0
.LBB14_1761:
	s_delay_alu instid0(SALU_CYCLE_1)
	s_and_not1_b32 vcc_lo, exec_lo, s6
	s_cbranch_vccnz .LBB14_1763
; %bb.1762:
	s_wait_xcnt 0x0
	v_cvt_f16_f32_e32 v1, v4
	global_store_b16 v[2:3], v1, off
.LBB14_1763:
	s_mov_b32 s6, 0
.LBB14_1764:
	s_delay_alu instid0(SALU_CYCLE_1)
	s_and_not1_b32 vcc_lo, exec_lo, s6
	s_cbranch_vccnz .LBB14_1780
; %bb.1765:
	s_cmp_lt_i32 s0, 2
	s_mov_b32 s6, -1
	s_cbranch_scc1 .LBB14_1775
; %bb.1766:
	s_cmp_lt_i32 s0, 3
	s_cbranch_scc1 .LBB14_1772
; %bb.1767:
	s_cmp_gt_i32 s0, 3
	s_cbranch_scc0 .LBB14_1769
; %bb.1768:
	s_wait_xcnt 0x0
	v_trunc_f32_e32 v1, v4
	s_mov_b32 s6, 0
	s_delay_alu instid0(VALU_DEP_1) | instskip(SKIP_1) | instid1(VALU_DEP_2)
	v_mul_f32_e64 v5, 0x2f800000, |v1|
	v_ashrrev_i32_e32 v8, 31, v1
	v_floor_f32_e32 v5, v5
	s_delay_alu instid0(VALU_DEP_1) | instskip(SKIP_1) | instid1(VALU_DEP_2)
	v_fma_f32 v9, 0xcf800000, v5, |v1|
	v_cvt_u32_f32_e32 v1, v5
	v_cvt_u32_f32_e32 v5, v9
	s_delay_alu instid0(VALU_DEP_2) | instskip(NEXT) | instid1(VALU_DEP_2)
	v_dual_mov_b32 v9, v8 :: v_dual_bitop2_b32 v11, v1, v8 bitop3:0x14
	v_xor_b32_e32 v10, v5, v8
	s_delay_alu instid0(VALU_DEP_1)
	v_sub_nc_u64_e32 v[8:9], v[10:11], v[8:9]
	global_store_b64 v[2:3], v[8:9], off
.LBB14_1769:
	s_and_not1_b32 vcc_lo, exec_lo, s6
	s_cbranch_vccnz .LBB14_1771
; %bb.1770:
	s_wait_xcnt 0x0
	v_cvt_i32_f32_e32 v1, v4
	global_store_b32 v[2:3], v1, off
.LBB14_1771:
	s_mov_b32 s6, 0
.LBB14_1772:
	s_delay_alu instid0(SALU_CYCLE_1)
	s_and_not1_b32 vcc_lo, exec_lo, s6
	s_cbranch_vccnz .LBB14_1774
; %bb.1773:
	s_wait_xcnt 0x0
	v_cvt_i32_f32_e32 v1, v4
	global_store_b16 v[2:3], v1, off
.LBB14_1774:
	s_mov_b32 s6, 0
.LBB14_1775:
	s_delay_alu instid0(SALU_CYCLE_1)
	s_and_not1_b32 vcc_lo, exec_lo, s6
	s_cbranch_vccnz .LBB14_1780
; %bb.1776:
	s_cmp_gt_i32 s0, 0
	s_mov_b32 s0, -1
	s_cbranch_scc0 .LBB14_1778
; %bb.1777:
	s_wait_xcnt 0x0
	v_cvt_i32_f32_e32 v1, v4
	s_mov_b32 s0, 0
	global_store_b8 v[2:3], v1, off
.LBB14_1778:
	s_and_not1_b32 vcc_lo, exec_lo, s0
	s_cbranch_vccnz .LBB14_1780
; %bb.1779:
	s_wait_xcnt 0x0
	v_trunc_f32_e32 v1, v4
	s_delay_alu instid0(VALU_DEP_1) | instskip(NEXT) | instid1(VALU_DEP_1)
	v_mul_f32_e64 v4, 0x2f800000, |v1|
	v_floor_f32_e32 v4, v4
	s_delay_alu instid0(VALU_DEP_1) | instskip(SKIP_1) | instid1(VALU_DEP_2)
	v_fma_f32 v4, 0xcf800000, v4, |v1|
	v_ashrrev_i32_e32 v1, 31, v1
	v_cvt_u32_f32_e32 v4, v4
	s_delay_alu instid0(VALU_DEP_1) | instskip(NEXT) | instid1(VALU_DEP_1)
	v_xor_b32_e32 v4, v4, v1
	v_sub_nc_u32_e32 v1, v4, v1
	global_store_b8 v[2:3], v1, off
.LBB14_1780:
.LBB14_1781:
	v_cmp_nge_f32_e64 s0, v7, -s10
	v_cmp_nge_f32_e32 vcc_lo, s10, v7
	s_mov_b32 s8, 0
	s_or_b32 vcc_lo, s0, vcc_lo
	s_wait_xcnt 0x0
	v_dual_add_nc_u32 v0, s2, v0 :: v_dual_cndmask_b32 v4, 0, v7, vcc_lo
	s_cmp_lt_i32 s13, 11
	s_mov_b32 s0, -1
	s_delay_alu instid0(VALU_DEP_1) | instskip(NEXT) | instid1(VALU_DEP_1)
	v_ashrrev_i32_e32 v1, 31, v0
	v_add_nc_u64_e32 v[2:3], s[4:5], v[0:1]
	s_cbranch_scc1 .LBB14_1936
; %bb.1782:
	s_and_b32 s6, 0xffff, s13
	s_mov_b32 s9, -1
	s_mov_b32 s7, 0
	s_cmp_gt_i32 s6, 25
	s_mov_b32 s0, 0
	s_cbranch_scc0 .LBB14_1815
; %bb.1783:
	s_cmp_gt_i32 s6, 28
	s_cbranch_scc0 .LBB14_1798
; %bb.1784:
	s_cmp_gt_i32 s6, 43
	;; [unrolled: 3-line block ×3, first 2 shown]
	s_cbranch_scc0 .LBB14_1788
; %bb.1786:
	s_mov_b32 s0, -1
	s_mov_b32 s9, 0
	s_cmp_eq_u32 s6, 46
	s_cbranch_scc0 .LBB14_1788
; %bb.1787:
	v_bfe_u32 v1, v4, 16, 1
	v_cmp_o_f32_e32 vcc_lo, v4, v4
	s_mov_b32 s0, 0
	s_mov_b32 s8, -1
	s_delay_alu instid0(VALU_DEP_2) | instskip(NEXT) | instid1(VALU_DEP_1)
	v_add3_u32 v1, v4, v1, 0x7fff
	v_lshrrev_b32_e32 v1, 16, v1
	s_delay_alu instid0(VALU_DEP_1)
	v_cndmask_b32_e32 v1, 0x7fc0, v1, vcc_lo
	global_store_b32 v[2:3], v1, off
.LBB14_1788:
	s_and_b32 vcc_lo, exec_lo, s9
	s_cbranch_vccz .LBB14_1793
; %bb.1789:
	s_cmp_eq_u32 s6, 44
	s_mov_b32 s0, -1
	s_cbranch_scc0 .LBB14_1793
; %bb.1790:
	v_bfe_u32 v5, v4, 23, 8
	s_wait_xcnt 0x0
	v_mov_b32_e32 v1, 0xff
	s_mov_b32 s8, exec_lo
	s_delay_alu instid0(VALU_DEP_2)
	v_cmpx_ne_u32_e32 0xff, v5
	s_cbranch_execz .LBB14_1792
; %bb.1791:
	v_and_b32_e32 v1, 0x400000, v4
	v_and_or_b32 v5, 0x3fffff, v4, v5
	s_delay_alu instid0(VALU_DEP_2) | instskip(NEXT) | instid1(VALU_DEP_2)
	v_cmp_ne_u32_e32 vcc_lo, 0, v1
	v_cmp_ne_u32_e64 s0, 0, v5
	v_lshrrev_b32_e32 v1, 23, v4
	s_and_b32 s0, vcc_lo, s0
	s_delay_alu instid0(SALU_CYCLE_1) | instskip(NEXT) | instid1(VALU_DEP_1)
	v_cndmask_b32_e64 v5, 0, 1, s0
	v_add_nc_u32_e32 v1, v1, v5
.LBB14_1792:
	s_or_b32 exec_lo, exec_lo, s8
	s_mov_b32 s0, 0
	s_mov_b32 s8, -1
	global_store_b8 v[2:3], v1, off
.LBB14_1793:
	s_mov_b32 s9, 0
.LBB14_1794:
	s_delay_alu instid0(SALU_CYCLE_1)
	s_and_b32 vcc_lo, exec_lo, s9
	s_cbranch_vccz .LBB14_1797
; %bb.1795:
	s_cmp_eq_u32 s6, 29
	s_mov_b32 s0, -1
	s_cbranch_scc0 .LBB14_1797
; %bb.1796:
	s_wait_xcnt 0x0
	v_trunc_f32_e32 v1, v4
	s_mov_b32 s0, 0
	s_mov_b32 s8, -1
	s_delay_alu instid0(VALU_DEP_1) | instskip(NEXT) | instid1(VALU_DEP_1)
	v_mul_f32_e32 v5, 0x2f800000, v1
	v_floor_f32_e32 v5, v5
	s_delay_alu instid0(VALU_DEP_1) | instskip(SKIP_1) | instid1(VALU_DEP_2)
	v_fmamk_f32 v1, v5, 0xcf800000, v1
	v_cvt_u32_f32_e32 v9, v5
	v_cvt_u32_f32_e32 v8, v1
	global_store_b64 v[2:3], v[8:9], off
.LBB14_1797:
	s_mov_b32 s9, 0
.LBB14_1798:
	s_delay_alu instid0(SALU_CYCLE_1)
	s_and_b32 vcc_lo, exec_lo, s9
	s_cbranch_vccz .LBB14_1814
; %bb.1799:
	s_cmp_lt_i32 s6, 27
	s_mov_b32 s8, -1
	s_cbranch_scc1 .LBB14_1805
; %bb.1800:
	s_wait_xcnt 0x0
	v_cvt_u32_f32_e32 v1, v4
	s_cmp_gt_i32 s6, 27
	s_cbranch_scc0 .LBB14_1802
; %bb.1801:
	s_mov_b32 s8, 0
	global_store_b32 v[2:3], v1, off
.LBB14_1802:
	s_and_not1_b32 vcc_lo, exec_lo, s8
	s_cbranch_vccnz .LBB14_1804
; %bb.1803:
	global_store_b16 v[2:3], v1, off
.LBB14_1804:
	s_mov_b32 s8, 0
.LBB14_1805:
	s_delay_alu instid0(SALU_CYCLE_1)
	s_and_not1_b32 vcc_lo, exec_lo, s8
	s_cbranch_vccnz .LBB14_1813
; %bb.1806:
	s_wait_xcnt 0x0
	v_and_b32_e32 v1, 0x7fffffff, v4
	v_mov_b32_e32 v5, 0x80
	s_mov_b32 s8, exec_lo
	s_delay_alu instid0(VALU_DEP_2)
	v_cmpx_gt_u32_e32 0x43800000, v1
	s_cbranch_execz .LBB14_1812
; %bb.1807:
	v_cmp_lt_u32_e32 vcc_lo, 0x3bffffff, v1
	s_mov_b32 s9, 0
                                        ; implicit-def: $vgpr1
	s_and_saveexec_b32 s11, vcc_lo
	s_delay_alu instid0(SALU_CYCLE_1)
	s_xor_b32 s11, exec_lo, s11
	s_cbranch_execz .LBB14_2031
; %bb.1808:
	v_bfe_u32 v1, v4, 20, 1
	s_mov_b32 s9, exec_lo
	s_delay_alu instid0(VALU_DEP_1) | instskip(NEXT) | instid1(VALU_DEP_1)
	v_add3_u32 v1, v4, v1, 0x487ffff
	v_lshrrev_b32_e32 v1, 20, v1
	s_and_not1_saveexec_b32 s11, s11
	s_cbranch_execnz .LBB14_2032
.LBB14_1809:
	s_or_b32 exec_lo, exec_lo, s11
	v_mov_b32_e32 v5, 0
	s_and_saveexec_b32 s11, s9
.LBB14_1810:
	v_lshrrev_b32_e32 v5, 24, v4
	s_delay_alu instid0(VALU_DEP_1)
	v_and_or_b32 v5, 0x80, v5, v1
.LBB14_1811:
	s_or_b32 exec_lo, exec_lo, s11
.LBB14_1812:
	s_delay_alu instid0(SALU_CYCLE_1)
	s_or_b32 exec_lo, exec_lo, s8
	global_store_b8 v[2:3], v5, off
.LBB14_1813:
	s_mov_b32 s8, -1
.LBB14_1814:
	s_mov_b32 s9, 0
.LBB14_1815:
	s_delay_alu instid0(SALU_CYCLE_1)
	s_and_b32 vcc_lo, exec_lo, s9
	s_cbranch_vccz .LBB14_1855
; %bb.1816:
	s_cmp_gt_i32 s6, 22
	s_mov_b32 s7, -1
	s_cbranch_scc0 .LBB14_1848
; %bb.1817:
	s_cmp_lt_i32 s6, 24
	s_cbranch_scc1 .LBB14_1837
; %bb.1818:
	s_cmp_gt_i32 s6, 24
	s_cbranch_scc0 .LBB14_1826
; %bb.1819:
	s_wait_xcnt 0x0
	v_and_b32_e32 v1, 0x7fffffff, v4
	v_mov_b32_e32 v5, 0x80
	s_mov_b32 s7, exec_lo
	s_delay_alu instid0(VALU_DEP_2)
	v_cmpx_gt_u32_e32 0x47800000, v1
	s_cbranch_execz .LBB14_1825
; %bb.1820:
	v_cmp_lt_u32_e32 vcc_lo, 0x37ffffff, v1
	s_mov_b32 s8, 0
                                        ; implicit-def: $vgpr1
	s_and_saveexec_b32 s9, vcc_lo
	s_delay_alu instid0(SALU_CYCLE_1)
	s_xor_b32 s9, exec_lo, s9
	s_cbranch_execz .LBB14_2034
; %bb.1821:
	v_bfe_u32 v1, v4, 21, 1
	s_mov_b32 s8, exec_lo
	s_delay_alu instid0(VALU_DEP_1) | instskip(NEXT) | instid1(VALU_DEP_1)
	v_add3_u32 v1, v4, v1, 0x88fffff
	v_lshrrev_b32_e32 v1, 21, v1
	s_and_not1_saveexec_b32 s9, s9
	s_cbranch_execnz .LBB14_2035
.LBB14_1822:
	s_or_b32 exec_lo, exec_lo, s9
	v_mov_b32_e32 v5, 0
	s_and_saveexec_b32 s9, s8
.LBB14_1823:
	v_lshrrev_b32_e32 v5, 24, v4
	s_delay_alu instid0(VALU_DEP_1)
	v_and_or_b32 v5, 0x80, v5, v1
.LBB14_1824:
	s_or_b32 exec_lo, exec_lo, s9
.LBB14_1825:
	s_delay_alu instid0(SALU_CYCLE_1)
	s_or_b32 exec_lo, exec_lo, s7
	s_mov_b32 s7, 0
	global_store_b8 v[2:3], v5, off
.LBB14_1826:
	s_and_b32 vcc_lo, exec_lo, s7
	s_cbranch_vccz .LBB14_1836
; %bb.1827:
	s_wait_xcnt 0x0
	v_and_b32_e32 v5, 0x7fffffff, v4
	s_mov_b32 s7, exec_lo
                                        ; implicit-def: $vgpr1
	s_delay_alu instid0(VALU_DEP_1)
	v_cmpx_gt_u32_e32 0x43f00000, v5
	s_xor_b32 s7, exec_lo, s7
	s_cbranch_execz .LBB14_1833
; %bb.1828:
	s_mov_b32 s8, exec_lo
                                        ; implicit-def: $vgpr1
	v_cmpx_lt_u32_e32 0x3c7fffff, v5
	s_xor_b32 s8, exec_lo, s8
; %bb.1829:
	v_bfe_u32 v1, v4, 20, 1
	s_delay_alu instid0(VALU_DEP_1) | instskip(NEXT) | instid1(VALU_DEP_1)
	v_add3_u32 v1, v4, v1, 0x407ffff
	v_and_b32_e32 v5, 0xff00000, v1
	v_lshrrev_b32_e32 v1, 20, v1
	s_delay_alu instid0(VALU_DEP_2) | instskip(NEXT) | instid1(VALU_DEP_2)
	v_cmp_ne_u32_e32 vcc_lo, 0x7f00000, v5
	v_cndmask_b32_e32 v1, 0x7e, v1, vcc_lo
; %bb.1830:
	s_and_not1_saveexec_b32 s8, s8
; %bb.1831:
	v_add_f32_e64 v1, 0x46800000, |v4|
; %bb.1832:
	s_or_b32 exec_lo, exec_lo, s8
                                        ; implicit-def: $vgpr5
.LBB14_1833:
	s_and_not1_saveexec_b32 s7, s7
; %bb.1834:
	v_mov_b32_e32 v1, 0x7f
	v_cmp_lt_u32_e32 vcc_lo, 0x7f800000, v5
	s_delay_alu instid0(VALU_DEP_2)
	v_cndmask_b32_e32 v1, 0x7e, v1, vcc_lo
; %bb.1835:
	s_or_b32 exec_lo, exec_lo, s7
	v_lshrrev_b32_e32 v5, 24, v4
	s_delay_alu instid0(VALU_DEP_1)
	v_and_or_b32 v1, 0x80, v5, v1
	global_store_b8 v[2:3], v1, off
.LBB14_1836:
	s_mov_b32 s7, 0
.LBB14_1837:
	s_delay_alu instid0(SALU_CYCLE_1)
	s_and_not1_b32 vcc_lo, exec_lo, s7
	s_cbranch_vccnz .LBB14_1847
; %bb.1838:
	s_wait_xcnt 0x0
	v_and_b32_e32 v5, 0x7fffffff, v4
	s_mov_b32 s7, exec_lo
                                        ; implicit-def: $vgpr1
	s_delay_alu instid0(VALU_DEP_1)
	v_cmpx_gt_u32_e32 0x47800000, v5
	s_xor_b32 s7, exec_lo, s7
	s_cbranch_execz .LBB14_1844
; %bb.1839:
	s_mov_b32 s8, exec_lo
                                        ; implicit-def: $vgpr1
	v_cmpx_lt_u32_e32 0x387fffff, v5
	s_xor_b32 s8, exec_lo, s8
; %bb.1840:
	v_bfe_u32 v1, v4, 21, 1
	s_delay_alu instid0(VALU_DEP_1) | instskip(NEXT) | instid1(VALU_DEP_1)
	v_add3_u32 v1, v4, v1, 0x80fffff
	v_lshrrev_b32_e32 v1, 21, v1
; %bb.1841:
	s_and_not1_saveexec_b32 s8, s8
; %bb.1842:
	v_add_f32_e64 v1, 0x43000000, |v4|
; %bb.1843:
	s_or_b32 exec_lo, exec_lo, s8
                                        ; implicit-def: $vgpr5
.LBB14_1844:
	s_and_not1_saveexec_b32 s7, s7
; %bb.1845:
	v_mov_b32_e32 v1, 0x7f
	v_cmp_lt_u32_e32 vcc_lo, 0x7f800000, v5
	s_delay_alu instid0(VALU_DEP_2)
	v_cndmask_b32_e32 v1, 0x7c, v1, vcc_lo
; %bb.1846:
	s_or_b32 exec_lo, exec_lo, s7
	v_lshrrev_b32_e32 v5, 24, v4
	s_delay_alu instid0(VALU_DEP_1)
	v_and_or_b32 v1, 0x80, v5, v1
	global_store_b8 v[2:3], v1, off
.LBB14_1847:
	s_mov_b32 s7, 0
	s_mov_b32 s8, -1
.LBB14_1848:
	s_and_not1_b32 vcc_lo, exec_lo, s7
	s_mov_b32 s7, 0
	s_cbranch_vccnz .LBB14_1855
; %bb.1849:
	s_cmp_gt_i32 s6, 14
	s_mov_b32 s7, -1
	s_cbranch_scc0 .LBB14_1853
; %bb.1850:
	s_cmp_eq_u32 s6, 15
	s_mov_b32 s0, -1
	s_cbranch_scc0 .LBB14_1852
; %bb.1851:
	s_wait_xcnt 0x0
	v_bfe_u32 v1, v4, 16, 1
	v_cmp_o_f32_e32 vcc_lo, v4, v4
	s_mov_b32 s0, 0
	s_mov_b32 s8, -1
	s_delay_alu instid0(VALU_DEP_2) | instskip(NEXT) | instid1(VALU_DEP_1)
	v_add3_u32 v1, v4, v1, 0x7fff
	v_lshrrev_b32_e32 v1, 16, v1
	s_delay_alu instid0(VALU_DEP_1)
	v_cndmask_b32_e32 v1, 0x7fc0, v1, vcc_lo
	global_store_b16 v[2:3], v1, off
.LBB14_1852:
	s_mov_b32 s7, 0
.LBB14_1853:
	s_delay_alu instid0(SALU_CYCLE_1)
	s_and_b32 vcc_lo, exec_lo, s7
	s_mov_b32 s7, 0
	s_cbranch_vccz .LBB14_1855
; %bb.1854:
	s_cmp_lg_u32 s6, 11
	s_mov_b32 s7, -1
	s_cselect_b32 s0, -1, 0
.LBB14_1855:
	s_delay_alu instid0(SALU_CYCLE_1)
	s_and_b32 vcc_lo, exec_lo, s0
	s_cbranch_vccnz .LBB14_2033
; %bb.1856:
	s_and_not1_b32 vcc_lo, exec_lo, s7
	s_cbranch_vccnz .LBB14_1858
.LBB14_1857:
	v_cmp_neq_f32_e32 vcc_lo, 0, v4
	s_mov_b32 s8, -1
	s_wait_xcnt 0x0
	v_cndmask_b32_e64 v1, 0, 1, vcc_lo
	global_store_b8 v[2:3], v1, off
.LBB14_1858:
.LBB14_1859:
	s_and_not1_b32 vcc_lo, exec_lo, s8
	s_cbranch_vccnz .LBB14_1975
.LBB14_1860:
	v_cmp_nge_f32_e64 s0, v6, -s10
	v_cmp_nge_f32_e32 vcc_lo, s10, v6
	s_or_b32 vcc_lo, s0, vcc_lo
	s_wait_xcnt 0x0
	v_dual_add_nc_u32 v0, s2, v0 :: v_dual_cndmask_b32 v2, 0, v6, vcc_lo
	s_cmp_lt_i32 s13, 11
	s_mov_b32 s0, -1
	s_delay_alu instid0(VALU_DEP_1) | instskip(NEXT) | instid1(VALU_DEP_1)
	v_ashrrev_i32_e32 v1, 31, v0
	v_add_nc_u64_e32 v[0:1], s[4:5], v[0:1]
	s_mov_b32 s4, 0
	s_cbranch_scc1 .LBB14_1976
; %bb.1861:
	s_and_b32 s2, 0xffff, s13
	s_mov_b32 s5, -1
	s_cmp_gt_i32 s2, 25
	s_mov_b32 s0, 0
	s_cbranch_scc0 .LBB14_1894
; %bb.1862:
	s_cmp_gt_i32 s2, 28
	s_cbranch_scc0 .LBB14_1878
; %bb.1863:
	s_cmp_gt_i32 s2, 43
	;; [unrolled: 3-line block ×3, first 2 shown]
	s_cbranch_scc0 .LBB14_1868
; %bb.1865:
	s_cmp_eq_u32 s2, 46
	s_mov_b32 s0, -1
	s_cbranch_scc0 .LBB14_1867
; %bb.1866:
	v_bfe_u32 v3, v2, 16, 1
	v_cmp_o_f32_e32 vcc_lo, v2, v2
	s_mov_b32 s0, 0
	s_delay_alu instid0(VALU_DEP_2) | instskip(NEXT) | instid1(VALU_DEP_1)
	v_add3_u32 v3, v2, v3, 0x7fff
	v_lshrrev_b32_e32 v3, 16, v3
	s_delay_alu instid0(VALU_DEP_1)
	v_cndmask_b32_e32 v3, 0x7fc0, v3, vcc_lo
	global_store_b32 v[0:1], v3, off
.LBB14_1867:
	s_mov_b32 s5, 0
.LBB14_1868:
	s_delay_alu instid0(SALU_CYCLE_1)
	s_and_b32 vcc_lo, exec_lo, s5
	s_cbranch_vccz .LBB14_1873
; %bb.1869:
	s_cmp_eq_u32 s2, 44
	s_mov_b32 s0, -1
	s_cbranch_scc0 .LBB14_1873
; %bb.1870:
	v_bfe_u32 v4, v2, 23, 8
	s_wait_xcnt 0x0
	v_mov_b32_e32 v3, 0xff
	s_mov_b32 s5, exec_lo
	s_delay_alu instid0(VALU_DEP_2)
	v_cmpx_ne_u32_e32 0xff, v4
	s_cbranch_execz .LBB14_1872
; %bb.1871:
	v_and_b32_e32 v3, 0x400000, v2
	v_and_or_b32 v4, 0x3fffff, v2, v4
	s_delay_alu instid0(VALU_DEP_2) | instskip(NEXT) | instid1(VALU_DEP_2)
	v_cmp_ne_u32_e32 vcc_lo, 0, v3
	v_cmp_ne_u32_e64 s0, 0, v4
	v_lshrrev_b32_e32 v3, 23, v2
	s_and_b32 s0, vcc_lo, s0
	s_delay_alu instid0(SALU_CYCLE_1) | instskip(NEXT) | instid1(VALU_DEP_1)
	v_cndmask_b32_e64 v4, 0, 1, s0
	v_add_nc_u32_e32 v3, v3, v4
.LBB14_1872:
	s_or_b32 exec_lo, exec_lo, s5
	s_mov_b32 s0, 0
	global_store_b8 v[0:1], v3, off
.LBB14_1873:
	s_mov_b32 s5, 0
.LBB14_1874:
	s_delay_alu instid0(SALU_CYCLE_1)
	s_and_b32 vcc_lo, exec_lo, s5
	s_cbranch_vccz .LBB14_1877
; %bb.1875:
	s_cmp_eq_u32 s2, 29
	s_mov_b32 s0, -1
	s_cbranch_scc0 .LBB14_1877
; %bb.1876:
	s_wait_xcnt 0x0
	v_trunc_f32_e32 v3, v2
	s_mov_b32 s0, 0
	s_delay_alu instid0(VALU_DEP_1) | instskip(NEXT) | instid1(VALU_DEP_1)
	v_mul_f32_e32 v4, 0x2f800000, v3
	v_floor_f32_e32 v4, v4
	s_delay_alu instid0(VALU_DEP_1) | instskip(SKIP_1) | instid1(VALU_DEP_2)
	v_fmamk_f32 v3, v4, 0xcf800000, v3
	v_cvt_u32_f32_e32 v5, v4
	v_cvt_u32_f32_e32 v4, v3
	global_store_b64 v[0:1], v[4:5], off
.LBB14_1877:
	s_mov_b32 s5, 0
.LBB14_1878:
	s_delay_alu instid0(SALU_CYCLE_1)
	s_and_b32 vcc_lo, exec_lo, s5
	s_cbranch_vccz .LBB14_1893
; %bb.1879:
	s_cmp_lt_i32 s2, 27
	s_mov_b32 s5, -1
	s_cbranch_scc1 .LBB14_1885
; %bb.1880:
	s_wait_xcnt 0x0
	v_cvt_u32_f32_e32 v3, v2
	s_cmp_gt_i32 s2, 27
	s_cbranch_scc0 .LBB14_1882
; %bb.1881:
	s_mov_b32 s5, 0
	global_store_b32 v[0:1], v3, off
.LBB14_1882:
	s_and_not1_b32 vcc_lo, exec_lo, s5
	s_cbranch_vccnz .LBB14_1884
; %bb.1883:
	global_store_b16 v[0:1], v3, off
.LBB14_1884:
	s_mov_b32 s5, 0
.LBB14_1885:
	s_delay_alu instid0(SALU_CYCLE_1)
	s_and_not1_b32 vcc_lo, exec_lo, s5
	s_cbranch_vccnz .LBB14_1893
; %bb.1886:
	s_wait_xcnt 0x0
	v_and_b32_e32 v3, 0x7fffffff, v2
	v_mov_b32_e32 v4, 0x80
	s_mov_b32 s5, exec_lo
	s_delay_alu instid0(VALU_DEP_2)
	v_cmpx_gt_u32_e32 0x43800000, v3
	s_cbranch_execz .LBB14_1892
; %bb.1887:
	v_cmp_lt_u32_e32 vcc_lo, 0x3bffffff, v3
	s_mov_b32 s6, 0
                                        ; implicit-def: $vgpr3
	s_and_saveexec_b32 s7, vcc_lo
	s_delay_alu instid0(SALU_CYCLE_1)
	s_xor_b32 s7, exec_lo, s7
	s_cbranch_execz .LBB14_2036
; %bb.1888:
	v_bfe_u32 v3, v2, 20, 1
	s_mov_b32 s6, exec_lo
	s_delay_alu instid0(VALU_DEP_1) | instskip(NEXT) | instid1(VALU_DEP_1)
	v_add3_u32 v3, v2, v3, 0x487ffff
	v_lshrrev_b32_e32 v3, 20, v3
	s_and_not1_saveexec_b32 s7, s7
	s_cbranch_execnz .LBB14_2037
.LBB14_1889:
	s_or_b32 exec_lo, exec_lo, s7
	v_mov_b32_e32 v4, 0
	s_and_saveexec_b32 s7, s6
.LBB14_1890:
	v_lshrrev_b32_e32 v4, 24, v2
	s_delay_alu instid0(VALU_DEP_1)
	v_and_or_b32 v4, 0x80, v4, v3
.LBB14_1891:
	s_or_b32 exec_lo, exec_lo, s7
.LBB14_1892:
	s_delay_alu instid0(SALU_CYCLE_1)
	s_or_b32 exec_lo, exec_lo, s5
	global_store_b8 v[0:1], v4, off
.LBB14_1893:
	s_mov_b32 s5, 0
.LBB14_1894:
	s_delay_alu instid0(SALU_CYCLE_1)
	s_and_b32 vcc_lo, exec_lo, s5
	s_cbranch_vccz .LBB14_1934
; %bb.1895:
	s_cmp_gt_i32 s2, 22
	s_mov_b32 s4, -1
	s_cbranch_scc0 .LBB14_1927
; %bb.1896:
	s_cmp_lt_i32 s2, 24
	s_cbranch_scc1 .LBB14_1916
; %bb.1897:
	s_cmp_gt_i32 s2, 24
	s_cbranch_scc0 .LBB14_1905
; %bb.1898:
	s_wait_xcnt 0x0
	v_and_b32_e32 v3, 0x7fffffff, v2
	v_mov_b32_e32 v4, 0x80
	s_mov_b32 s4, exec_lo
	s_delay_alu instid0(VALU_DEP_2)
	v_cmpx_gt_u32_e32 0x47800000, v3
	s_cbranch_execz .LBB14_1904
; %bb.1899:
	v_cmp_lt_u32_e32 vcc_lo, 0x37ffffff, v3
	s_mov_b32 s5, 0
                                        ; implicit-def: $vgpr3
	s_and_saveexec_b32 s6, vcc_lo
	s_delay_alu instid0(SALU_CYCLE_1)
	s_xor_b32 s6, exec_lo, s6
	s_cbranch_execz .LBB14_2039
; %bb.1900:
	v_bfe_u32 v3, v2, 21, 1
	s_mov_b32 s5, exec_lo
	s_delay_alu instid0(VALU_DEP_1) | instskip(NEXT) | instid1(VALU_DEP_1)
	v_add3_u32 v3, v2, v3, 0x88fffff
	v_lshrrev_b32_e32 v3, 21, v3
	s_and_not1_saveexec_b32 s6, s6
	s_cbranch_execnz .LBB14_2040
.LBB14_1901:
	s_or_b32 exec_lo, exec_lo, s6
	v_mov_b32_e32 v4, 0
	s_and_saveexec_b32 s6, s5
.LBB14_1902:
	v_lshrrev_b32_e32 v4, 24, v2
	s_delay_alu instid0(VALU_DEP_1)
	v_and_or_b32 v4, 0x80, v4, v3
.LBB14_1903:
	s_or_b32 exec_lo, exec_lo, s6
.LBB14_1904:
	s_delay_alu instid0(SALU_CYCLE_1)
	s_or_b32 exec_lo, exec_lo, s4
	s_mov_b32 s4, 0
	global_store_b8 v[0:1], v4, off
.LBB14_1905:
	s_and_b32 vcc_lo, exec_lo, s4
	s_cbranch_vccz .LBB14_1915
; %bb.1906:
	s_wait_xcnt 0x0
	v_and_b32_e32 v4, 0x7fffffff, v2
	s_mov_b32 s4, exec_lo
                                        ; implicit-def: $vgpr3
	s_delay_alu instid0(VALU_DEP_1)
	v_cmpx_gt_u32_e32 0x43f00000, v4
	s_xor_b32 s4, exec_lo, s4
	s_cbranch_execz .LBB14_1912
; %bb.1907:
	s_mov_b32 s5, exec_lo
                                        ; implicit-def: $vgpr3
	v_cmpx_lt_u32_e32 0x3c7fffff, v4
	s_xor_b32 s5, exec_lo, s5
; %bb.1908:
	v_bfe_u32 v3, v2, 20, 1
	s_delay_alu instid0(VALU_DEP_1) | instskip(NEXT) | instid1(VALU_DEP_1)
	v_add3_u32 v3, v2, v3, 0x407ffff
	v_and_b32_e32 v4, 0xff00000, v3
	v_lshrrev_b32_e32 v3, 20, v3
	s_delay_alu instid0(VALU_DEP_2) | instskip(NEXT) | instid1(VALU_DEP_2)
	v_cmp_ne_u32_e32 vcc_lo, 0x7f00000, v4
	v_cndmask_b32_e32 v3, 0x7e, v3, vcc_lo
; %bb.1909:
	s_and_not1_saveexec_b32 s5, s5
; %bb.1910:
	v_add_f32_e64 v3, 0x46800000, |v2|
; %bb.1911:
	s_or_b32 exec_lo, exec_lo, s5
                                        ; implicit-def: $vgpr4
.LBB14_1912:
	s_and_not1_saveexec_b32 s4, s4
; %bb.1913:
	v_mov_b32_e32 v3, 0x7f
	v_cmp_lt_u32_e32 vcc_lo, 0x7f800000, v4
	s_delay_alu instid0(VALU_DEP_2)
	v_cndmask_b32_e32 v3, 0x7e, v3, vcc_lo
; %bb.1914:
	s_or_b32 exec_lo, exec_lo, s4
	v_lshrrev_b32_e32 v4, 24, v2
	s_delay_alu instid0(VALU_DEP_1)
	v_and_or_b32 v3, 0x80, v4, v3
	global_store_b8 v[0:1], v3, off
.LBB14_1915:
	s_mov_b32 s4, 0
.LBB14_1916:
	s_delay_alu instid0(SALU_CYCLE_1)
	s_and_not1_b32 vcc_lo, exec_lo, s4
	s_cbranch_vccnz .LBB14_1926
; %bb.1917:
	s_wait_xcnt 0x0
	v_and_b32_e32 v4, 0x7fffffff, v2
	s_mov_b32 s4, exec_lo
                                        ; implicit-def: $vgpr3
	s_delay_alu instid0(VALU_DEP_1)
	v_cmpx_gt_u32_e32 0x47800000, v4
	s_xor_b32 s4, exec_lo, s4
	s_cbranch_execz .LBB14_1923
; %bb.1918:
	s_mov_b32 s5, exec_lo
                                        ; implicit-def: $vgpr3
	v_cmpx_lt_u32_e32 0x387fffff, v4
	s_xor_b32 s5, exec_lo, s5
; %bb.1919:
	v_bfe_u32 v3, v2, 21, 1
	s_delay_alu instid0(VALU_DEP_1) | instskip(NEXT) | instid1(VALU_DEP_1)
	v_add3_u32 v3, v2, v3, 0x80fffff
	v_lshrrev_b32_e32 v3, 21, v3
; %bb.1920:
	s_and_not1_saveexec_b32 s5, s5
; %bb.1921:
	v_add_f32_e64 v3, 0x43000000, |v2|
; %bb.1922:
	s_or_b32 exec_lo, exec_lo, s5
                                        ; implicit-def: $vgpr4
.LBB14_1923:
	s_and_not1_saveexec_b32 s4, s4
; %bb.1924:
	v_mov_b32_e32 v3, 0x7f
	v_cmp_lt_u32_e32 vcc_lo, 0x7f800000, v4
	s_delay_alu instid0(VALU_DEP_2)
	v_cndmask_b32_e32 v3, 0x7c, v3, vcc_lo
; %bb.1925:
	s_or_b32 exec_lo, exec_lo, s4
	v_lshrrev_b32_e32 v4, 24, v2
	s_delay_alu instid0(VALU_DEP_1)
	v_and_or_b32 v3, 0x80, v4, v3
	global_store_b8 v[0:1], v3, off
.LBB14_1926:
	s_mov_b32 s4, 0
.LBB14_1927:
	s_delay_alu instid0(SALU_CYCLE_1)
	s_and_not1_b32 vcc_lo, exec_lo, s4
	s_mov_b32 s4, 0
	s_cbranch_vccnz .LBB14_1934
; %bb.1928:
	s_cmp_gt_i32 s2, 14
	s_mov_b32 s4, -1
	s_cbranch_scc0 .LBB14_1932
; %bb.1929:
	s_cmp_eq_u32 s2, 15
	s_mov_b32 s0, -1
	s_cbranch_scc0 .LBB14_1931
; %bb.1930:
	s_wait_xcnt 0x0
	v_bfe_u32 v3, v2, 16, 1
	v_cmp_o_f32_e32 vcc_lo, v2, v2
	s_mov_b32 s0, 0
	s_delay_alu instid0(VALU_DEP_2) | instskip(NEXT) | instid1(VALU_DEP_1)
	v_add3_u32 v3, v2, v3, 0x7fff
	v_lshrrev_b32_e32 v3, 16, v3
	s_delay_alu instid0(VALU_DEP_1)
	v_cndmask_b32_e32 v3, 0x7fc0, v3, vcc_lo
	global_store_b16 v[0:1], v3, off
.LBB14_1931:
	s_mov_b32 s4, 0
.LBB14_1932:
	s_delay_alu instid0(SALU_CYCLE_1)
	s_and_b32 vcc_lo, exec_lo, s4
	s_mov_b32 s4, 0
	s_cbranch_vccz .LBB14_1934
; %bb.1933:
	s_cmp_lg_u32 s2, 11
	s_mov_b32 s4, -1
	s_cselect_b32 s0, -1, 0
.LBB14_1934:
	s_delay_alu instid0(SALU_CYCLE_1)
	s_and_b32 vcc_lo, exec_lo, s0
	s_cbranch_vccnz .LBB14_2038
.LBB14_1935:
	s_mov_b32 s0, 0
	s_branch .LBB14_1976
.LBB14_1936:
	s_and_b32 vcc_lo, exec_lo, s0
	s_cbranch_vccz .LBB14_1859
; %bb.1937:
	s_and_b32 s0, 0xffff, s13
	s_mov_b32 s6, -1
	s_cmp_lt_i32 s0, 5
	s_cbranch_scc1 .LBB14_1958
; %bb.1938:
	s_cmp_lt_i32 s0, 8
	s_cbranch_scc1 .LBB14_1948
; %bb.1939:
	;; [unrolled: 3-line block ×3, first 2 shown]
	s_cmp_gt_i32 s0, 9
	s_cbranch_scc0 .LBB14_1942
; %bb.1941:
	s_wait_xcnt 0x0
	v_cvt_f64_f32_e32 v[8:9], v4
	v_mov_b32_e32 v10, 0
	s_mov_b32 s6, 0
	s_delay_alu instid0(VALU_DEP_1)
	v_mov_b32_e32 v11, v10
	global_store_b128 v[2:3], v[8:11], off
.LBB14_1942:
	s_and_not1_b32 vcc_lo, exec_lo, s6
	s_cbranch_vccnz .LBB14_1944
; %bb.1943:
	s_wait_xcnt 0x0
	v_mov_b32_e32 v5, 0
	global_store_b64 v[2:3], v[4:5], off
.LBB14_1944:
	s_mov_b32 s6, 0
.LBB14_1945:
	s_delay_alu instid0(SALU_CYCLE_1)
	s_and_not1_b32 vcc_lo, exec_lo, s6
	s_cbranch_vccnz .LBB14_1947
; %bb.1946:
	s_wait_xcnt 0x0
	v_cvt_f16_f32_e32 v1, v4
	s_delay_alu instid0(VALU_DEP_1)
	v_and_b32_e32 v1, 0xffff, v1
	global_store_b32 v[2:3], v1, off
.LBB14_1947:
	s_mov_b32 s6, 0
.LBB14_1948:
	s_delay_alu instid0(SALU_CYCLE_1)
	s_and_not1_b32 vcc_lo, exec_lo, s6
	s_cbranch_vccnz .LBB14_1957
; %bb.1949:
	s_cmp_lt_i32 s0, 6
	s_mov_b32 s6, -1
	s_cbranch_scc1 .LBB14_1955
; %bb.1950:
	s_cmp_gt_i32 s0, 6
	s_cbranch_scc0 .LBB14_1952
; %bb.1951:
	s_wait_xcnt 0x0
	v_cvt_f64_f32_e32 v[8:9], v4
	s_mov_b32 s6, 0
	global_store_b64 v[2:3], v[8:9], off
.LBB14_1952:
	s_and_not1_b32 vcc_lo, exec_lo, s6
	s_cbranch_vccnz .LBB14_1954
; %bb.1953:
	global_store_b32 v[2:3], v4, off
.LBB14_1954:
	s_mov_b32 s6, 0
.LBB14_1955:
	s_delay_alu instid0(SALU_CYCLE_1)
	s_and_not1_b32 vcc_lo, exec_lo, s6
	s_cbranch_vccnz .LBB14_1957
; %bb.1956:
	s_wait_xcnt 0x0
	v_cvt_f16_f32_e32 v1, v4
	global_store_b16 v[2:3], v1, off
.LBB14_1957:
	s_mov_b32 s6, 0
.LBB14_1958:
	s_delay_alu instid0(SALU_CYCLE_1)
	s_and_not1_b32 vcc_lo, exec_lo, s6
	s_cbranch_vccnz .LBB14_1974
; %bb.1959:
	s_cmp_lt_i32 s0, 2
	s_mov_b32 s6, -1
	s_cbranch_scc1 .LBB14_1969
; %bb.1960:
	s_cmp_lt_i32 s0, 3
	s_cbranch_scc1 .LBB14_1966
; %bb.1961:
	s_cmp_gt_i32 s0, 3
	s_cbranch_scc0 .LBB14_1963
; %bb.1962:
	s_wait_xcnt 0x0
	v_trunc_f32_e32 v1, v4
	s_mov_b32 s6, 0
	s_delay_alu instid0(VALU_DEP_1) | instskip(SKIP_1) | instid1(VALU_DEP_2)
	v_mul_f32_e64 v5, 0x2f800000, |v1|
	v_ashrrev_i32_e32 v8, 31, v1
	v_floor_f32_e32 v5, v5
	s_delay_alu instid0(VALU_DEP_1) | instskip(SKIP_1) | instid1(VALU_DEP_4)
	v_fma_f32 v7, 0xcf800000, v5, |v1|
	v_cvt_u32_f32_e32 v1, v5
	v_mov_b32_e32 v9, v8
	s_delay_alu instid0(VALU_DEP_3) | instskip(NEXT) | instid1(VALU_DEP_3)
	v_cvt_u32_f32_e32 v5, v7
	v_xor_b32_e32 v11, v1, v8
	s_delay_alu instid0(VALU_DEP_2) | instskip(NEXT) | instid1(VALU_DEP_1)
	v_xor_b32_e32 v10, v5, v8
	v_sub_nc_u64_e32 v[8:9], v[10:11], v[8:9]
	global_store_b64 v[2:3], v[8:9], off
.LBB14_1963:
	s_and_not1_b32 vcc_lo, exec_lo, s6
	s_cbranch_vccnz .LBB14_1965
; %bb.1964:
	s_wait_xcnt 0x0
	v_cvt_i32_f32_e32 v1, v4
	global_store_b32 v[2:3], v1, off
.LBB14_1965:
	s_mov_b32 s6, 0
.LBB14_1966:
	s_delay_alu instid0(SALU_CYCLE_1)
	s_and_not1_b32 vcc_lo, exec_lo, s6
	s_cbranch_vccnz .LBB14_1968
; %bb.1967:
	s_wait_xcnt 0x0
	v_cvt_i32_f32_e32 v1, v4
	global_store_b16 v[2:3], v1, off
.LBB14_1968:
	s_mov_b32 s6, 0
.LBB14_1969:
	s_delay_alu instid0(SALU_CYCLE_1)
	s_and_not1_b32 vcc_lo, exec_lo, s6
	s_cbranch_vccnz .LBB14_1974
; %bb.1970:
	s_cmp_gt_i32 s0, 0
	s_mov_b32 s0, -1
	s_cbranch_scc0 .LBB14_1972
; %bb.1971:
	s_wait_xcnt 0x0
	v_cvt_i32_f32_e32 v1, v4
	s_mov_b32 s0, 0
	global_store_b8 v[2:3], v1, off
.LBB14_1972:
	s_and_not1_b32 vcc_lo, exec_lo, s0
	s_cbranch_vccnz .LBB14_1974
; %bb.1973:
	s_wait_xcnt 0x0
	v_trunc_f32_e32 v1, v4
	s_delay_alu instid0(VALU_DEP_1) | instskip(NEXT) | instid1(VALU_DEP_1)
	v_mul_f32_e64 v4, 0x2f800000, |v1|
	v_floor_f32_e32 v4, v4
	s_delay_alu instid0(VALU_DEP_1) | instskip(SKIP_1) | instid1(VALU_DEP_2)
	v_fma_f32 v4, 0xcf800000, v4, |v1|
	v_ashrrev_i32_e32 v1, 31, v1
	v_cvt_u32_f32_e32 v4, v4
	s_delay_alu instid0(VALU_DEP_1) | instskip(NEXT) | instid1(VALU_DEP_1)
	v_xor_b32_e32 v4, v4, v1
	v_sub_nc_u32_e32 v1, v4, v1
	global_store_b8 v[2:3], v1, off
.LBB14_1974:
	s_branch .LBB14_1860
.LBB14_1975:
	s_mov_b32 s0, 0
	s_mov_b32 s4, 0
                                        ; implicit-def: $sgpr13
                                        ; implicit-def: $vgpr0_vgpr1
                                        ; implicit-def: $vgpr2
.LBB14_1976:
	s_and_not1_b32 s2, s12, exec_lo
	s_and_b32 s5, s1, exec_lo
	s_and_b32 s0, s0, exec_lo
	;; [unrolled: 1-line block ×3, first 2 shown]
	s_or_b32 s12, s2, s5
.LBB14_1977:
	s_wait_xcnt 0x0
	s_or_b32 exec_lo, exec_lo, s3
	s_and_saveexec_b32 s2, s12
	s_cbranch_execz .LBB14_1980
; %bb.1978:
	; divergent unreachable
	s_or_b32 exec_lo, exec_lo, s2
	s_and_saveexec_b32 s2, s1
	s_delay_alu instid0(SALU_CYCLE_1)
	s_xor_b32 s1, exec_lo, s2
	s_cbranch_execnz .LBB14_1981
.LBB14_1979:
	s_or_b32 exec_lo, exec_lo, s1
	s_and_saveexec_b32 s1, s0
	s_cbranch_execnz .LBB14_1982
	s_branch .LBB14_2019
.LBB14_1980:
	s_or_b32 exec_lo, exec_lo, s2
	s_and_saveexec_b32 s2, s1
	s_delay_alu instid0(SALU_CYCLE_1)
	s_xor_b32 s1, exec_lo, s2
	s_cbranch_execz .LBB14_1979
.LBB14_1981:
	s_wait_loadcnt 0x0
	v_cmp_neq_f32_e32 vcc_lo, 0, v2
	v_cndmask_b32_e64 v3, 0, 1, vcc_lo
	global_store_b8 v[0:1], v3, off
	s_wait_xcnt 0x0
	s_or_b32 exec_lo, exec_lo, s1
	s_and_saveexec_b32 s1, s0
	s_cbranch_execz .LBB14_2019
.LBB14_1982:
	s_sext_i32_i16 s1, s13
	s_mov_b32 s0, -1
	s_cmp_lt_i32 s1, 5
	s_cbranch_scc1 .LBB14_2003
; %bb.1983:
	s_cmp_lt_i32 s1, 8
	s_cbranch_scc1 .LBB14_1993
; %bb.1984:
	;; [unrolled: 3-line block ×3, first 2 shown]
	s_cmp_gt_i32 s1, 9
	s_cbranch_scc0 .LBB14_1987
; %bb.1986:
	s_wait_loadcnt 0x0
	v_cvt_f64_f32_e32 v[4:5], v2
	v_mov_b32_e32 v6, 0
	s_mov_b32 s0, 0
	s_delay_alu instid0(VALU_DEP_1)
	v_mov_b32_e32 v7, v6
	global_store_b128 v[0:1], v[4:7], off
.LBB14_1987:
	s_and_not1_b32 vcc_lo, exec_lo, s0
	s_cbranch_vccnz .LBB14_1989
; %bb.1988:
	s_wait_loadcnt 0x0
	v_mov_b32_e32 v3, 0
	global_store_b64 v[0:1], v[2:3], off
.LBB14_1989:
	s_mov_b32 s0, 0
.LBB14_1990:
	s_delay_alu instid0(SALU_CYCLE_1)
	s_and_not1_b32 vcc_lo, exec_lo, s0
	s_cbranch_vccnz .LBB14_1992
; %bb.1991:
	s_wait_loadcnt 0x0
	v_cvt_f16_f32_e32 v3, v2
	s_delay_alu instid0(VALU_DEP_1)
	v_and_b32_e32 v3, 0xffff, v3
	global_store_b32 v[0:1], v3, off
.LBB14_1992:
	s_mov_b32 s0, 0
.LBB14_1993:
	s_delay_alu instid0(SALU_CYCLE_1)
	s_and_not1_b32 vcc_lo, exec_lo, s0
	s_cbranch_vccnz .LBB14_2002
; %bb.1994:
	s_sext_i32_i16 s1, s13
	s_mov_b32 s0, -1
	s_cmp_lt_i32 s1, 6
	s_cbranch_scc1 .LBB14_2000
; %bb.1995:
	s_cmp_gt_i32 s1, 6
	s_cbranch_scc0 .LBB14_1997
; %bb.1996:
	s_wait_loadcnt 0x0
	v_cvt_f64_f32_e32 v[4:5], v2
	s_mov_b32 s0, 0
	global_store_b64 v[0:1], v[4:5], off
.LBB14_1997:
	s_and_not1_b32 vcc_lo, exec_lo, s0
	s_cbranch_vccnz .LBB14_1999
; %bb.1998:
	s_wait_loadcnt 0x0
	global_store_b32 v[0:1], v2, off
.LBB14_1999:
	s_mov_b32 s0, 0
.LBB14_2000:
	s_delay_alu instid0(SALU_CYCLE_1)
	s_and_not1_b32 vcc_lo, exec_lo, s0
	s_cbranch_vccnz .LBB14_2002
; %bb.2001:
	s_wait_loadcnt 0x0
	v_cvt_f16_f32_e32 v3, v2
	global_store_b16 v[0:1], v3, off
.LBB14_2002:
	s_mov_b32 s0, 0
.LBB14_2003:
	s_delay_alu instid0(SALU_CYCLE_1)
	s_and_not1_b32 vcc_lo, exec_lo, s0
	s_cbranch_vccnz .LBB14_2019
; %bb.2004:
	s_sext_i32_i16 s1, s13
	s_mov_b32 s0, -1
	s_cmp_lt_i32 s1, 2
	s_cbranch_scc1 .LBB14_2014
; %bb.2005:
	s_cmp_lt_i32 s1, 3
	s_cbranch_scc1 .LBB14_2011
; %bb.2006:
	s_cmp_gt_i32 s1, 3
	s_cbranch_scc0 .LBB14_2008
; %bb.2007:
	s_wait_loadcnt 0x0
	v_trunc_f32_e32 v3, v2
	s_mov_b32 s0, 0
	s_delay_alu instid0(VALU_DEP_1) | instskip(NEXT) | instid1(VALU_DEP_1)
	v_mul_f32_e64 v4, 0x2f800000, |v3|
	v_floor_f32_e32 v5, v4
	v_ashrrev_i32_e32 v4, 31, v3
	s_delay_alu instid0(VALU_DEP_2) | instskip(SKIP_1) | instid1(VALU_DEP_3)
	v_fma_f32 v6, 0xcf800000, v5, |v3|
	v_cvt_u32_f32_e32 v3, v5
	v_mov_b32_e32 v5, v4
	s_delay_alu instid0(VALU_DEP_3) | instskip(NEXT) | instid1(VALU_DEP_3)
	v_cvt_u32_f32_e32 v6, v6
	v_xor_b32_e32 v7, v3, v4
	s_delay_alu instid0(VALU_DEP_2) | instskip(NEXT) | instid1(VALU_DEP_1)
	v_xor_b32_e32 v6, v6, v4
	v_sub_nc_u64_e32 v[4:5], v[6:7], v[4:5]
	global_store_b64 v[0:1], v[4:5], off
.LBB14_2008:
	s_and_not1_b32 vcc_lo, exec_lo, s0
	s_cbranch_vccnz .LBB14_2010
; %bb.2009:
	s_wait_loadcnt 0x0
	v_cvt_i32_f32_e32 v3, v2
	global_store_b32 v[0:1], v3, off
.LBB14_2010:
	s_mov_b32 s0, 0
.LBB14_2011:
	s_delay_alu instid0(SALU_CYCLE_1)
	s_and_not1_b32 vcc_lo, exec_lo, s0
	s_cbranch_vccnz .LBB14_2013
; %bb.2012:
	s_wait_loadcnt 0x0
	v_cvt_i32_f32_e32 v3, v2
	global_store_b16 v[0:1], v3, off
.LBB14_2013:
	s_mov_b32 s0, 0
.LBB14_2014:
	s_delay_alu instid0(SALU_CYCLE_1)
	s_and_not1_b32 vcc_lo, exec_lo, s0
	s_cbranch_vccnz .LBB14_2019
; %bb.2015:
	s_sext_i32_i16 s0, s13
	s_delay_alu instid0(SALU_CYCLE_1)
	s_cmp_gt_i32 s0, 0
	s_mov_b32 s0, -1
	s_cbranch_scc0 .LBB14_2017
; %bb.2016:
	s_wait_loadcnt 0x0
	v_cvt_i32_f32_e32 v3, v2
	s_mov_b32 s0, 0
	global_store_b8 v[0:1], v3, off
.LBB14_2017:
	s_and_not1_b32 vcc_lo, exec_lo, s0
	s_cbranch_vccnz .LBB14_2019
; %bb.2018:
	s_wait_loadcnt 0x0
	v_trunc_f32_e32 v2, v2
	s_delay_alu instid0(VALU_DEP_1) | instskip(NEXT) | instid1(VALU_DEP_1)
	v_mul_f32_e64 v3, 0x2f800000, |v2|
	v_floor_f32_e32 v3, v3
	s_delay_alu instid0(VALU_DEP_1) | instskip(SKIP_1) | instid1(VALU_DEP_2)
	v_fma_f32 v3, 0xcf800000, v3, |v2|
	v_ashrrev_i32_e32 v2, 31, v2
	v_cvt_u32_f32_e32 v3, v3
	s_delay_alu instid0(VALU_DEP_1) | instskip(NEXT) | instid1(VALU_DEP_1)
	v_xor_b32_e32 v3, v3, v2
	v_sub_nc_u32_e32 v2, v3, v2
	global_store_b8 v[0:1], v2, off
	s_endpgm
.LBB14_2019:
	s_endpgm
.LBB14_2020:
	s_or_b32 s1, s1, exec_lo
	s_trap 2
	s_cbranch_execz .LBB14_1493
	s_branch .LBB14_1494
.LBB14_2021:
	s_and_not1_saveexec_b32 s11, s11
	s_cbranch_execz .LBB14_1573
.LBB14_2022:
	v_add_f32_e64 v1, 0x46000000, |v4|
	s_and_not1_b32 s9, s9, exec_lo
	s_delay_alu instid0(VALU_DEP_1) | instskip(NEXT) | instid1(VALU_DEP_1)
	v_and_b32_e32 v1, 0xff, v1
	v_cmp_ne_u32_e32 vcc_lo, 0, v1
	s_and_b32 s14, vcc_lo, exec_lo
	s_delay_alu instid0(SALU_CYCLE_1)
	s_or_b32 s9, s9, s14
	s_or_b32 exec_lo, exec_lo, s11
	v_mov_b32_e32 v5, 0
	s_and_saveexec_b32 s11, s9
	s_cbranch_execnz .LBB14_1574
	s_branch .LBB14_1575
.LBB14_2023:
	s_or_b32 s1, s1, exec_lo
	s_trap 2
	s_cbranch_execz .LBB14_1621
	s_branch .LBB14_1622
.LBB14_2024:
	s_and_not1_saveexec_b32 s9, s9
	s_cbranch_execz .LBB14_1586
.LBB14_2025:
	v_add_f32_e64 v1, 0x42800000, |v4|
	s_and_not1_b32 s7, s7, exec_lo
	s_delay_alu instid0(VALU_DEP_1) | instskip(NEXT) | instid1(VALU_DEP_1)
	v_and_b32_e32 v1, 0xff, v1
	v_cmp_ne_u32_e32 vcc_lo, 0, v1
	s_and_b32 s11, vcc_lo, exec_lo
	s_delay_alu instid0(SALU_CYCLE_1)
	s_or_b32 s7, s7, s11
	s_or_b32 exec_lo, exec_lo, s9
	v_mov_b32_e32 v5, 0
	s_and_saveexec_b32 s9, s7
	s_cbranch_execnz .LBB14_1587
	s_branch .LBB14_1588
.LBB14_2026:
	s_and_not1_saveexec_b32 s11, s11
	s_cbranch_execz .LBB14_1691
.LBB14_2027:
	v_add_f32_e64 v1, 0x46000000, |v4|
	s_and_not1_b32 s9, s9, exec_lo
	s_delay_alu instid0(VALU_DEP_1) | instskip(NEXT) | instid1(VALU_DEP_1)
	v_and_b32_e32 v1, 0xff, v1
	v_cmp_ne_u32_e32 vcc_lo, 0, v1
	s_and_b32 s14, vcc_lo, exec_lo
	s_delay_alu instid0(SALU_CYCLE_1)
	s_or_b32 s9, s9, s14
	s_or_b32 exec_lo, exec_lo, s11
	v_mov_b32_e32 v5, 0
	s_and_saveexec_b32 s11, s9
	s_cbranch_execnz .LBB14_1692
	s_branch .LBB14_1693
.LBB14_2028:
	s_or_b32 s1, s1, exec_lo
	s_trap 2
	s_cbranch_execz .LBB14_1739
	s_branch .LBB14_1740
.LBB14_2029:
	s_and_not1_saveexec_b32 s9, s9
	s_cbranch_execz .LBB14_1704
.LBB14_2030:
	v_add_f32_e64 v1, 0x42800000, |v4|
	s_and_not1_b32 s8, s8, exec_lo
	s_delay_alu instid0(VALU_DEP_1) | instskip(NEXT) | instid1(VALU_DEP_1)
	v_and_b32_e32 v1, 0xff, v1
	v_cmp_ne_u32_e32 vcc_lo, 0, v1
	s_and_b32 s11, vcc_lo, exec_lo
	s_delay_alu instid0(SALU_CYCLE_1)
	s_or_b32 s8, s8, s11
	s_or_b32 exec_lo, exec_lo, s9
	v_mov_b32_e32 v5, 0
	s_and_saveexec_b32 s9, s8
	s_cbranch_execnz .LBB14_1705
	s_branch .LBB14_1706
.LBB14_2031:
	s_and_not1_saveexec_b32 s11, s11
	s_cbranch_execz .LBB14_1809
.LBB14_2032:
	v_add_f32_e64 v1, 0x46000000, |v4|
	s_and_not1_b32 s9, s9, exec_lo
	s_delay_alu instid0(VALU_DEP_1) | instskip(NEXT) | instid1(VALU_DEP_1)
	v_and_b32_e32 v1, 0xff, v1
	v_cmp_ne_u32_e32 vcc_lo, 0, v1
	s_and_b32 s14, vcc_lo, exec_lo
	s_delay_alu instid0(SALU_CYCLE_1)
	s_or_b32 s9, s9, s14
	s_or_b32 exec_lo, exec_lo, s11
	v_mov_b32_e32 v5, 0
	s_and_saveexec_b32 s11, s9
	s_cbranch_execnz .LBB14_1810
	s_branch .LBB14_1811
.LBB14_2033:
	s_or_b32 s1, s1, exec_lo
	s_trap 2
	s_cbranch_execz .LBB14_1857
	s_branch .LBB14_1858
.LBB14_2034:
	s_and_not1_saveexec_b32 s9, s9
	s_cbranch_execz .LBB14_1822
.LBB14_2035:
	v_add_f32_e64 v1, 0x42800000, |v4|
	s_and_not1_b32 s8, s8, exec_lo
	s_delay_alu instid0(VALU_DEP_1) | instskip(NEXT) | instid1(VALU_DEP_1)
	v_and_b32_e32 v1, 0xff, v1
	v_cmp_ne_u32_e32 vcc_lo, 0, v1
	s_and_b32 s11, vcc_lo, exec_lo
	s_delay_alu instid0(SALU_CYCLE_1)
	s_or_b32 s8, s8, s11
	s_or_b32 exec_lo, exec_lo, s9
	v_mov_b32_e32 v5, 0
	s_and_saveexec_b32 s9, s8
	s_cbranch_execnz .LBB14_1823
	s_branch .LBB14_1824
.LBB14_2036:
	s_and_not1_saveexec_b32 s7, s7
	s_cbranch_execz .LBB14_1889
.LBB14_2037:
	v_add_f32_e64 v3, 0x46000000, |v2|
	s_and_not1_b32 s6, s6, exec_lo
	s_delay_alu instid0(VALU_DEP_1) | instskip(NEXT) | instid1(VALU_DEP_1)
	v_and_b32_e32 v3, 0xff, v3
	v_cmp_ne_u32_e32 vcc_lo, 0, v3
	s_and_b32 s8, vcc_lo, exec_lo
	s_delay_alu instid0(SALU_CYCLE_1)
	s_or_b32 s6, s6, s8
	s_or_b32 exec_lo, exec_lo, s7
	v_mov_b32_e32 v4, 0
	s_and_saveexec_b32 s7, s6
	s_cbranch_execnz .LBB14_1890
	s_branch .LBB14_1891
.LBB14_2038:
	s_mov_b32 s4, 0
	s_or_b32 s1, s1, exec_lo
	s_trap 2
	s_branch .LBB14_1935
.LBB14_2039:
	s_and_not1_saveexec_b32 s6, s6
	s_cbranch_execz .LBB14_1901
.LBB14_2040:
	v_add_f32_e64 v3, 0x42800000, |v2|
	s_and_not1_b32 s5, s5, exec_lo
	s_delay_alu instid0(VALU_DEP_1) | instskip(NEXT) | instid1(VALU_DEP_1)
	v_and_b32_e32 v3, 0xff, v3
	v_cmp_ne_u32_e32 vcc_lo, 0, v3
	s_and_b32 s7, vcc_lo, exec_lo
	s_delay_alu instid0(SALU_CYCLE_1)
	s_or_b32 s5, s5, s7
	s_or_b32 exec_lo, exec_lo, s6
	v_mov_b32_e32 v4, 0
	s_and_saveexec_b32 s6, s5
	s_cbranch_execnz .LBB14_1902
	s_branch .LBB14_1903
	.section	.rodata,"a",@progbits
	.p2align	6, 0x0
	.amdhsa_kernel _ZN2at6native32elementwise_kernel_manual_unrollILi128ELi4EZNS0_15gpu_kernel_implIZZZNS0_12_GLOBAL__N_117hardshrink_kernelERNS_18TensorIteratorBaseERKN3c106ScalarEENKUlvE_clEvENKUlvE0_clEvEUlfE_EEvS5_RKT_EUlibE_EEviT1_
		.amdhsa_group_segment_fixed_size 0
		.amdhsa_private_segment_fixed_size 0
		.amdhsa_kernarg_size 40
		.amdhsa_user_sgpr_count 2
		.amdhsa_user_sgpr_dispatch_ptr 0
		.amdhsa_user_sgpr_queue_ptr 0
		.amdhsa_user_sgpr_kernarg_segment_ptr 1
		.amdhsa_user_sgpr_dispatch_id 0
		.amdhsa_user_sgpr_kernarg_preload_length 0
		.amdhsa_user_sgpr_kernarg_preload_offset 0
		.amdhsa_user_sgpr_private_segment_size 0
		.amdhsa_wavefront_size32 1
		.amdhsa_uses_dynamic_stack 0
		.amdhsa_enable_private_segment 0
		.amdhsa_system_sgpr_workgroup_id_x 1
		.amdhsa_system_sgpr_workgroup_id_y 0
		.amdhsa_system_sgpr_workgroup_id_z 0
		.amdhsa_system_sgpr_workgroup_info 0
		.amdhsa_system_vgpr_workitem_id 0
		.amdhsa_next_free_vgpr 14
		.amdhsa_next_free_sgpr 27
		.amdhsa_named_barrier_count 0
		.amdhsa_reserve_vcc 1
		.amdhsa_float_round_mode_32 0
		.amdhsa_float_round_mode_16_64 0
		.amdhsa_float_denorm_mode_32 3
		.amdhsa_float_denorm_mode_16_64 3
		.amdhsa_fp16_overflow 0
		.amdhsa_memory_ordered 1
		.amdhsa_forward_progress 1
		.amdhsa_inst_pref_size 255
		.amdhsa_round_robin_scheduling 0
		.amdhsa_exception_fp_ieee_invalid_op 0
		.amdhsa_exception_fp_denorm_src 0
		.amdhsa_exception_fp_ieee_div_zero 0
		.amdhsa_exception_fp_ieee_overflow 0
		.amdhsa_exception_fp_ieee_underflow 0
		.amdhsa_exception_fp_ieee_inexact 0
		.amdhsa_exception_int_div_zero 0
	.end_amdhsa_kernel
	.section	.text._ZN2at6native32elementwise_kernel_manual_unrollILi128ELi4EZNS0_15gpu_kernel_implIZZZNS0_12_GLOBAL__N_117hardshrink_kernelERNS_18TensorIteratorBaseERKN3c106ScalarEENKUlvE_clEvENKUlvE0_clEvEUlfE_EEvS5_RKT_EUlibE_EEviT1_,"axG",@progbits,_ZN2at6native32elementwise_kernel_manual_unrollILi128ELi4EZNS0_15gpu_kernel_implIZZZNS0_12_GLOBAL__N_117hardshrink_kernelERNS_18TensorIteratorBaseERKN3c106ScalarEENKUlvE_clEvENKUlvE0_clEvEUlfE_EEvS5_RKT_EUlibE_EEviT1_,comdat
.Lfunc_end14:
	.size	_ZN2at6native32elementwise_kernel_manual_unrollILi128ELi4EZNS0_15gpu_kernel_implIZZZNS0_12_GLOBAL__N_117hardshrink_kernelERNS_18TensorIteratorBaseERKN3c106ScalarEENKUlvE_clEvENKUlvE0_clEvEUlfE_EEvS5_RKT_EUlibE_EEviT1_, .Lfunc_end14-_ZN2at6native32elementwise_kernel_manual_unrollILi128ELi4EZNS0_15gpu_kernel_implIZZZNS0_12_GLOBAL__N_117hardshrink_kernelERNS_18TensorIteratorBaseERKN3c106ScalarEENKUlvE_clEvENKUlvE0_clEvEUlfE_EEvS5_RKT_EUlibE_EEviT1_
                                        ; -- End function
	.set _ZN2at6native32elementwise_kernel_manual_unrollILi128ELi4EZNS0_15gpu_kernel_implIZZZNS0_12_GLOBAL__N_117hardshrink_kernelERNS_18TensorIteratorBaseERKN3c106ScalarEENKUlvE_clEvENKUlvE0_clEvEUlfE_EEvS5_RKT_EUlibE_EEviT1_.num_vgpr, 14
	.set _ZN2at6native32elementwise_kernel_manual_unrollILi128ELi4EZNS0_15gpu_kernel_implIZZZNS0_12_GLOBAL__N_117hardshrink_kernelERNS_18TensorIteratorBaseERKN3c106ScalarEENKUlvE_clEvENKUlvE0_clEvEUlfE_EEvS5_RKT_EUlibE_EEviT1_.num_agpr, 0
	.set _ZN2at6native32elementwise_kernel_manual_unrollILi128ELi4EZNS0_15gpu_kernel_implIZZZNS0_12_GLOBAL__N_117hardshrink_kernelERNS_18TensorIteratorBaseERKN3c106ScalarEENKUlvE_clEvENKUlvE0_clEvEUlfE_EEvS5_RKT_EUlibE_EEviT1_.numbered_sgpr, 27
	.set _ZN2at6native32elementwise_kernel_manual_unrollILi128ELi4EZNS0_15gpu_kernel_implIZZZNS0_12_GLOBAL__N_117hardshrink_kernelERNS_18TensorIteratorBaseERKN3c106ScalarEENKUlvE_clEvENKUlvE0_clEvEUlfE_EEvS5_RKT_EUlibE_EEviT1_.num_named_barrier, 0
	.set _ZN2at6native32elementwise_kernel_manual_unrollILi128ELi4EZNS0_15gpu_kernel_implIZZZNS0_12_GLOBAL__N_117hardshrink_kernelERNS_18TensorIteratorBaseERKN3c106ScalarEENKUlvE_clEvENKUlvE0_clEvEUlfE_EEvS5_RKT_EUlibE_EEviT1_.private_seg_size, 0
	.set _ZN2at6native32elementwise_kernel_manual_unrollILi128ELi4EZNS0_15gpu_kernel_implIZZZNS0_12_GLOBAL__N_117hardshrink_kernelERNS_18TensorIteratorBaseERKN3c106ScalarEENKUlvE_clEvENKUlvE0_clEvEUlfE_EEvS5_RKT_EUlibE_EEviT1_.uses_vcc, 1
	.set _ZN2at6native32elementwise_kernel_manual_unrollILi128ELi4EZNS0_15gpu_kernel_implIZZZNS0_12_GLOBAL__N_117hardshrink_kernelERNS_18TensorIteratorBaseERKN3c106ScalarEENKUlvE_clEvENKUlvE0_clEvEUlfE_EEvS5_RKT_EUlibE_EEviT1_.uses_flat_scratch, 0
	.set _ZN2at6native32elementwise_kernel_manual_unrollILi128ELi4EZNS0_15gpu_kernel_implIZZZNS0_12_GLOBAL__N_117hardshrink_kernelERNS_18TensorIteratorBaseERKN3c106ScalarEENKUlvE_clEvENKUlvE0_clEvEUlfE_EEvS5_RKT_EUlibE_EEviT1_.has_dyn_sized_stack, 0
	.set _ZN2at6native32elementwise_kernel_manual_unrollILi128ELi4EZNS0_15gpu_kernel_implIZZZNS0_12_GLOBAL__N_117hardshrink_kernelERNS_18TensorIteratorBaseERKN3c106ScalarEENKUlvE_clEvENKUlvE0_clEvEUlfE_EEvS5_RKT_EUlibE_EEviT1_.has_recursion, 0
	.set _ZN2at6native32elementwise_kernel_manual_unrollILi128ELi4EZNS0_15gpu_kernel_implIZZZNS0_12_GLOBAL__N_117hardshrink_kernelERNS_18TensorIteratorBaseERKN3c106ScalarEENKUlvE_clEvENKUlvE0_clEvEUlfE_EEvS5_RKT_EUlibE_EEviT1_.has_indirect_call, 0
	.section	.AMDGPU.csdata,"",@progbits
; Kernel info:
; codeLenInByte = 37156
; TotalNumSgprs: 29
; NumVgprs: 14
; ScratchSize: 0
; MemoryBound: 1
; FloatMode: 240
; IeeeMode: 1
; LDSByteSize: 0 bytes/workgroup (compile time only)
; SGPRBlocks: 0
; VGPRBlocks: 0
; NumSGPRsForWavesPerEU: 29
; NumVGPRsForWavesPerEU: 14
; NamedBarCnt: 0
; Occupancy: 16
; WaveLimiterHint : 0
; COMPUTE_PGM_RSRC2:SCRATCH_EN: 0
; COMPUTE_PGM_RSRC2:USER_SGPR: 2
; COMPUTE_PGM_RSRC2:TRAP_HANDLER: 0
; COMPUTE_PGM_RSRC2:TGID_X_EN: 1
; COMPUTE_PGM_RSRC2:TGID_Y_EN: 0
; COMPUTE_PGM_RSRC2:TGID_Z_EN: 0
; COMPUTE_PGM_RSRC2:TIDIG_COMP_CNT: 0
	.section	.text._ZN2at6native32elementwise_kernel_manual_unrollILi128ELi4EZNS0_15gpu_kernel_implIZZZNS0_12_GLOBAL__N_117hardshrink_kernelERNS_18TensorIteratorBaseERKN3c106ScalarEENKUlvE_clEvENKUlvE0_clEvEUlfE_EEvS5_RKT_EUlibE0_EEviT1_,"axG",@progbits,_ZN2at6native32elementwise_kernel_manual_unrollILi128ELi4EZNS0_15gpu_kernel_implIZZZNS0_12_GLOBAL__N_117hardshrink_kernelERNS_18TensorIteratorBaseERKN3c106ScalarEENKUlvE_clEvENKUlvE0_clEvEUlfE_EEvS5_RKT_EUlibE0_EEviT1_,comdat
	.globl	_ZN2at6native32elementwise_kernel_manual_unrollILi128ELi4EZNS0_15gpu_kernel_implIZZZNS0_12_GLOBAL__N_117hardshrink_kernelERNS_18TensorIteratorBaseERKN3c106ScalarEENKUlvE_clEvENKUlvE0_clEvEUlfE_EEvS5_RKT_EUlibE0_EEviT1_ ; -- Begin function _ZN2at6native32elementwise_kernel_manual_unrollILi128ELi4EZNS0_15gpu_kernel_implIZZZNS0_12_GLOBAL__N_117hardshrink_kernelERNS_18TensorIteratorBaseERKN3c106ScalarEENKUlvE_clEvENKUlvE0_clEvEUlfE_EEvS5_RKT_EUlibE0_EEviT1_
	.p2align	8
	.type	_ZN2at6native32elementwise_kernel_manual_unrollILi128ELi4EZNS0_15gpu_kernel_implIZZZNS0_12_GLOBAL__N_117hardshrink_kernelERNS_18TensorIteratorBaseERKN3c106ScalarEENKUlvE_clEvENKUlvE0_clEvEUlfE_EEvS5_RKT_EUlibE0_EEviT1_,@function
_ZN2at6native32elementwise_kernel_manual_unrollILi128ELi4EZNS0_15gpu_kernel_implIZZZNS0_12_GLOBAL__N_117hardshrink_kernelERNS_18TensorIteratorBaseERKN3c106ScalarEENKUlvE_clEvENKUlvE0_clEvEUlfE_EEvS5_RKT_EUlibE0_EEviT1_: ; @_ZN2at6native32elementwise_kernel_manual_unrollILi128ELi4EZNS0_15gpu_kernel_implIZZZNS0_12_GLOBAL__N_117hardshrink_kernelERNS_18TensorIteratorBaseERKN3c106ScalarEENKUlvE_clEvENKUlvE0_clEvEUlfE_EEvS5_RKT_EUlibE0_EEviT1_
; %bb.0:
	s_clause 0x1
	s_load_b32 s30, s[0:1], 0x8
	s_load_b32 s37, s[0:1], 0x0
	s_bfe_u32 s2, ttmp6, 0x4000c
	s_and_b32 s3, ttmp6, 15
	s_add_co_i32 s2, s2, 1
	s_getreg_b32 s4, hwreg(HW_REG_IB_STS2, 6, 4)
	s_mul_i32 s2, ttmp9, s2
	s_mov_b32 s33, 0
	s_add_co_i32 s3, s3, s2
	s_cmp_eq_u32 s4, 0
	s_mov_b32 s25, -1
	s_cselect_b32 s2, ttmp9, s3
	s_mov_b32 s8, 0
	v_lshl_or_b32 v0, s2, 9, v0
	s_add_nc_u64 s[2:3], s[0:1], 8
	s_wait_xcnt 0x0
	s_mov_b32 s0, exec_lo
	s_delay_alu instid0(VALU_DEP_1) | instskip(SKIP_2) | instid1(SALU_CYCLE_1)
	v_or_b32_e32 v9, 0x180, v0
	s_wait_kmcnt 0x0
	s_add_co_i32 s31, s30, -1
	s_cmp_gt_u32 s31, 1
	s_cselect_b32 s34, -1, 0
	v_cmpx_le_i32_e64 s37, v9
	s_xor_b32 s35, exec_lo, s0
	s_cbranch_execz .LBB15_1093
; %bb.1:
	s_clause 0x4
	s_load_b128 s[8:11], s[2:3], 0x4
	s_load_b64 s[0:1], s[2:3], 0x14
	s_load_b64 s[16:17], s[2:3], 0x158
	s_load_b128 s[12:15], s[2:3], 0xc4
	s_load_b128 s[4:7], s[2:3], 0x148
	s_cmp_lg_u32 s30, 0
	s_mov_b32 s19, 0
	s_cselect_b32 s39, -1, 0
	s_min_u32 s38, s31, 15
	s_cmp_gt_u32 s30, 1
	s_add_nc_u64 s[22:23], s[2:3], 0xc4
	s_mov_b32 s21, s19
	s_mov_b32 s41, s19
	s_cselect_b32 s36, -1, 0
	s_mov_b32 s40, s19
	s_mov_b32 s42, exec_lo
	s_wait_kmcnt 0x0
	s_mov_b32 s18, s9
	s_mov_b32 s20, s0
	s_bfe_u32 s9, s17, 0x80008
	v_cmpx_gt_i32_e64 s37, v0
	s_cbranch_execz .LBB15_267
; %bb.2:
	s_and_not1_b32 vcc_lo, exec_lo, s34
	s_cbranch_vccnz .LBB15_8
; %bb.3:
	s_and_not1_b32 vcc_lo, exec_lo, s39
	s_cbranch_vccnz .LBB15_9
; %bb.4:
	s_add_co_i32 s0, s38, 1
	s_cmp_eq_u32 s31, 2
	s_cbranch_scc1 .LBB15_10
; %bb.5:
	v_dual_mov_b32 v2, 0 :: v_dual_mov_b32 v4, 0
	v_mov_b32_e32 v1, v0
	s_and_b32 s24, s0, 28
	s_mov_b32 s25, 0
	s_mov_b64 s[26:27], s[2:3]
	s_mov_b64 s[28:29], s[22:23]
.LBB15_6:                               ; =>This Inner Loop Header: Depth=1
	s_clause 0x1
	s_load_b256 s[44:51], s[26:27], 0x4
	s_load_b128 s[60:63], s[26:27], 0x24
	s_load_b256 s[52:59], s[28:29], 0x0
	s_add_co_i32 s25, s25, 4
	s_wait_xcnt 0x0
	s_add_nc_u64 s[26:27], s[26:27], 48
	s_cmp_lg_u32 s24, s25
	s_add_nc_u64 s[28:29], s[28:29], 32
	s_wait_kmcnt 0x0
	v_mul_hi_u32 v3, s45, v1
	s_delay_alu instid0(VALU_DEP_1) | instskip(NEXT) | instid1(VALU_DEP_1)
	v_add_nc_u32_e32 v3, v1, v3
	v_lshrrev_b32_e32 v3, s46, v3
	s_delay_alu instid0(VALU_DEP_1) | instskip(NEXT) | instid1(VALU_DEP_1)
	v_mul_hi_u32 v5, s48, v3
	v_add_nc_u32_e32 v5, v3, v5
	s_delay_alu instid0(VALU_DEP_1) | instskip(NEXT) | instid1(VALU_DEP_1)
	v_lshrrev_b32_e32 v5, s49, v5
	v_mul_hi_u32 v6, s51, v5
	s_delay_alu instid0(VALU_DEP_1) | instskip(SKIP_1) | instid1(VALU_DEP_1)
	v_add_nc_u32_e32 v6, v5, v6
	v_mul_lo_u32 v7, v3, s44
	v_sub_nc_u32_e32 v1, v1, v7
	v_mul_lo_u32 v7, v5, s47
	s_delay_alu instid0(VALU_DEP_4) | instskip(NEXT) | instid1(VALU_DEP_3)
	v_lshrrev_b32_e32 v6, s60, v6
	v_mad_u32 v4, v1, s53, v4
	v_mad_u32 v1, v1, s52, v2
	s_delay_alu instid0(VALU_DEP_4) | instskip(NEXT) | instid1(VALU_DEP_4)
	v_sub_nc_u32_e32 v2, v3, v7
	v_mul_hi_u32 v8, s62, v6
	v_mul_lo_u32 v3, v6, s50
	s_delay_alu instid0(VALU_DEP_3) | instskip(SKIP_1) | instid1(VALU_DEP_3)
	v_mad_u32 v4, v2, s55, v4
	v_mad_u32 v2, v2, s54, v1
	v_dual_add_nc_u32 v7, v6, v8 :: v_dual_sub_nc_u32 v3, v5, v3
	s_delay_alu instid0(VALU_DEP_1) | instskip(NEXT) | instid1(VALU_DEP_2)
	v_lshrrev_b32_e32 v1, s63, v7
	v_mad_u32 v4, v3, s57, v4
	s_delay_alu instid0(VALU_DEP_4) | instskip(NEXT) | instid1(VALU_DEP_3)
	v_mad_u32 v2, v3, s56, v2
	v_mul_lo_u32 v5, v1, s61
	s_delay_alu instid0(VALU_DEP_1) | instskip(NEXT) | instid1(VALU_DEP_1)
	v_sub_nc_u32_e32 v3, v6, v5
	v_mad_u32 v4, v3, s59, v4
	s_delay_alu instid0(VALU_DEP_4)
	v_mad_u32 v2, v3, s58, v2
	s_cbranch_scc1 .LBB15_6
; %bb.7:
	s_delay_alu instid0(VALU_DEP_2)
	v_mov_b32_e32 v3, v4
	s_and_b32 s0, s0, 3
	s_mov_b32 s25, 0
	s_cmp_eq_u32 s0, 0
	s_cbranch_scc0 .LBB15_11
	s_branch .LBB15_14
.LBB15_8:
                                        ; implicit-def: $vgpr4
                                        ; implicit-def: $vgpr2
	s_branch .LBB15_15
.LBB15_9:
	v_dual_mov_b32 v4, 0 :: v_dual_mov_b32 v2, 0
	s_branch .LBB15_14
.LBB15_10:
	v_mov_b64_e32 v[2:3], 0
	v_mov_b32_e32 v1, v0
	s_mov_b32 s24, 0
                                        ; implicit-def: $vgpr4
	s_and_b32 s0, s0, 3
	s_mov_b32 s25, 0
	s_cmp_eq_u32 s0, 0
	s_cbranch_scc1 .LBB15_14
.LBB15_11:
	s_lshl_b32 s26, s24, 3
	s_mov_b32 s27, s25
	s_mul_u64 s[28:29], s[24:25], 12
	s_add_nc_u64 s[26:27], s[2:3], s[26:27]
	s_delay_alu instid0(SALU_CYCLE_1)
	s_add_nc_u64 s[24:25], s[26:27], 0xc4
	s_add_nc_u64 s[26:27], s[2:3], s[28:29]
.LBB15_12:                              ; =>This Inner Loop Header: Depth=1
	s_load_b96 s[44:46], s[26:27], 0x4
	s_load_b64 s[28:29], s[24:25], 0x0
	s_add_co_i32 s0, s0, -1
	s_wait_xcnt 0x0
	s_add_nc_u64 s[26:27], s[26:27], 12
	s_cmp_lg_u32 s0, 0
	s_add_nc_u64 s[24:25], s[24:25], 8
	s_wait_kmcnt 0x0
	v_mul_hi_u32 v4, s45, v1
	s_delay_alu instid0(VALU_DEP_1) | instskip(NEXT) | instid1(VALU_DEP_1)
	v_add_nc_u32_e32 v4, v1, v4
	v_lshrrev_b32_e32 v4, s46, v4
	s_delay_alu instid0(VALU_DEP_1) | instskip(NEXT) | instid1(VALU_DEP_1)
	v_mul_lo_u32 v5, v4, s44
	v_sub_nc_u32_e32 v1, v1, v5
	s_delay_alu instid0(VALU_DEP_1)
	v_mad_u32 v3, v1, s29, v3
	v_mad_u32 v2, v1, s28, v2
	v_mov_b32_e32 v1, v4
	s_cbranch_scc1 .LBB15_12
; %bb.13:
	s_delay_alu instid0(VALU_DEP_3)
	v_mov_b32_e32 v4, v3
.LBB15_14:
	s_cbranch_execnz .LBB15_17
.LBB15_15:
	v_mov_b32_e32 v1, 0
	s_and_not1_b32 vcc_lo, exec_lo, s36
	s_delay_alu instid0(VALU_DEP_1) | instskip(NEXT) | instid1(VALU_DEP_1)
	v_mul_u64_e32 v[2:3], s[18:19], v[0:1]
	v_add_nc_u32_e32 v2, v0, v3
	s_delay_alu instid0(VALU_DEP_1) | instskip(NEXT) | instid1(VALU_DEP_1)
	v_lshrrev_b32_e32 v6, s10, v2
	v_mul_lo_u32 v2, v6, s8
	s_delay_alu instid0(VALU_DEP_1) | instskip(NEXT) | instid1(VALU_DEP_1)
	v_sub_nc_u32_e32 v2, v0, v2
	v_mul_lo_u32 v4, v2, s13
	v_mul_lo_u32 v2, v2, s12
	s_cbranch_vccnz .LBB15_17
; %bb.16:
	v_mov_b32_e32 v7, v1
	s_delay_alu instid0(VALU_DEP_1) | instskip(NEXT) | instid1(VALU_DEP_1)
	v_mul_u64_e32 v[8:9], s[20:21], v[6:7]
	v_add_nc_u32_e32 v1, v6, v9
	s_delay_alu instid0(VALU_DEP_1) | instskip(NEXT) | instid1(VALU_DEP_1)
	v_lshrrev_b32_e32 v1, s1, v1
	v_mul_lo_u32 v1, v1, s11
	s_delay_alu instid0(VALU_DEP_1) | instskip(NEXT) | instid1(VALU_DEP_1)
	v_sub_nc_u32_e32 v1, v6, v1
	v_mad_u32 v2, v1, s14, v2
	v_mad_u32 v4, v1, s15, v4
.LBB15_17:
	v_mov_b32_e32 v5, 0
	s_and_b32 s0, 0xffff, s9
	s_delay_alu instid0(SALU_CYCLE_1) | instskip(NEXT) | instid1(VALU_DEP_1)
	s_cmp_lt_i32 s0, 11
	v_add_nc_u64_e32 v[4:5], s[6:7], v[4:5]
	s_cbranch_scc1 .LBB15_24
; %bb.18:
	s_cmp_gt_i32 s0, 25
	s_cbranch_scc0 .LBB15_72
; %bb.19:
	s_cmp_gt_i32 s0, 28
	s_cbranch_scc0 .LBB15_73
	;; [unrolled: 3-line block ×4, first 2 shown]
; %bb.22:
	s_cmp_eq_u32 s0, 46
	s_mov_b32 s26, 0
	s_cbranch_scc0 .LBB15_79
; %bb.23:
	global_load_b32 v1, v[4:5], off
	s_mov_b32 s25, -1
	s_mov_b32 s24, 0
	s_wait_loadcnt 0x0
	v_lshlrev_b32_e32 v1, 16, v1
	s_branch .LBB15_81
.LBB15_24:
	s_mov_b32 s24, 0
	s_mov_b32 s25, 0
                                        ; implicit-def: $vgpr1
	s_cbranch_execnz .LBB15_217
.LBB15_25:
	s_and_not1_b32 vcc_lo, exec_lo, s25
	s_cbranch_vccnz .LBB15_264
.LBB15_26:
	s_wait_loadcnt 0x0
	s_delay_alu instid0(VALU_DEP_1)
	v_cmp_nge_f32_e64 s25, v1, -s16
	v_cmp_nge_f32_e32 vcc_lo, s16, v1
	s_mov_b32 s0, 0
	s_mov_b32 s26, -1
	s_mov_b32 s27, 0
	s_or_b32 vcc_lo, s25, vcc_lo
	v_dual_mov_b32 v3, 0 :: v_dual_cndmask_b32 v4, 0, v1
	s_and_b32 s25, s17, 0xff
	s_delay_alu instid0(SALU_CYCLE_1) | instskip(NEXT) | instid1(VALU_DEP_1)
	s_cmp_lt_i32 s25, 11
	v_add_nc_u64_e32 v[2:3], s[4:5], v[2:3]
	s_cbranch_scc1 .LBB15_33
; %bb.27:
	s_and_b32 s26, 0xffff, s25
	s_delay_alu instid0(SALU_CYCLE_1)
	s_cmp_gt_i32 s26, 25
	s_cbranch_scc0 .LBB15_74
; %bb.28:
	s_cmp_gt_i32 s26, 28
	s_cbranch_scc0 .LBB15_76
; %bb.29:
	;; [unrolled: 3-line block ×4, first 2 shown]
	s_mov_b32 s28, 0
	s_mov_b32 s0, -1
	s_cmp_eq_u32 s26, 46
	s_cbranch_scc0 .LBB15_85
; %bb.32:
	v_bfe_u32 v1, v4, 16, 1
	v_cmp_o_f32_e32 vcc_lo, v4, v4
	s_mov_b32 s27, -1
	s_mov_b32 s0, 0
	s_delay_alu instid0(VALU_DEP_2) | instskip(NEXT) | instid1(VALU_DEP_1)
	v_add3_u32 v1, v4, v1, 0x7fff
	v_lshrrev_b32_e32 v1, 16, v1
	s_delay_alu instid0(VALU_DEP_1)
	v_cndmask_b32_e32 v1, 0x7fc0, v1, vcc_lo
	global_store_b32 v[2:3], v1, off
	s_branch .LBB15_85
.LBB15_33:
	s_and_b32 vcc_lo, exec_lo, s26
	s_cbranch_vccz .LBB15_154
; %bb.34:
	s_and_b32 s25, 0xffff, s25
	s_mov_b32 s26, -1
	s_cmp_lt_i32 s25, 5
	s_cbranch_scc1 .LBB15_55
; %bb.35:
	s_cmp_lt_i32 s25, 8
	s_cbranch_scc1 .LBB15_45
; %bb.36:
	;; [unrolled: 3-line block ×3, first 2 shown]
	s_cmp_gt_i32 s25, 9
	s_cbranch_scc0 .LBB15_39
; %bb.38:
	s_wait_xcnt 0x0
	v_cvt_f64_f32_e32 v[6:7], v4
	v_mov_b32_e32 v8, 0
	s_mov_b32 s26, 0
	s_delay_alu instid0(VALU_DEP_1)
	v_mov_b32_e32 v9, v8
	global_store_b128 v[2:3], v[6:9], off
.LBB15_39:
	s_and_not1_b32 vcc_lo, exec_lo, s26
	s_cbranch_vccnz .LBB15_41
; %bb.40:
	s_wait_xcnt 0x0
	v_mov_b32_e32 v5, 0
	global_store_b64 v[2:3], v[4:5], off
.LBB15_41:
	s_mov_b32 s26, 0
.LBB15_42:
	s_delay_alu instid0(SALU_CYCLE_1)
	s_and_not1_b32 vcc_lo, exec_lo, s26
	s_cbranch_vccnz .LBB15_44
; %bb.43:
	s_wait_xcnt 0x0
	v_cvt_f16_f32_e32 v1, v4
	s_delay_alu instid0(VALU_DEP_1)
	v_and_b32_e32 v1, 0xffff, v1
	global_store_b32 v[2:3], v1, off
.LBB15_44:
	s_mov_b32 s26, 0
.LBB15_45:
	s_delay_alu instid0(SALU_CYCLE_1)
	s_and_not1_b32 vcc_lo, exec_lo, s26
	s_cbranch_vccnz .LBB15_54
; %bb.46:
	s_cmp_lt_i32 s25, 6
	s_mov_b32 s26, -1
	s_cbranch_scc1 .LBB15_52
; %bb.47:
	s_cmp_gt_i32 s25, 6
	s_cbranch_scc0 .LBB15_49
; %bb.48:
	s_wait_xcnt 0x0
	v_cvt_f64_f32_e32 v[6:7], v4
	s_mov_b32 s26, 0
	global_store_b64 v[2:3], v[6:7], off
.LBB15_49:
	s_and_not1_b32 vcc_lo, exec_lo, s26
	s_cbranch_vccnz .LBB15_51
; %bb.50:
	global_store_b32 v[2:3], v4, off
.LBB15_51:
	s_mov_b32 s26, 0
.LBB15_52:
	s_delay_alu instid0(SALU_CYCLE_1)
	s_and_not1_b32 vcc_lo, exec_lo, s26
	s_cbranch_vccnz .LBB15_54
; %bb.53:
	s_wait_xcnt 0x0
	v_cvt_f16_f32_e32 v1, v4
	global_store_b16 v[2:3], v1, off
.LBB15_54:
	s_mov_b32 s26, 0
.LBB15_55:
	s_delay_alu instid0(SALU_CYCLE_1)
	s_and_not1_b32 vcc_lo, exec_lo, s26
	s_cbranch_vccnz .LBB15_71
; %bb.56:
	s_cmp_lt_i32 s25, 2
	s_mov_b32 s26, -1
	s_cbranch_scc1 .LBB15_66
; %bb.57:
	s_cmp_lt_i32 s25, 3
	s_cbranch_scc1 .LBB15_63
; %bb.58:
	s_cmp_gt_i32 s25, 3
	s_cbranch_scc0 .LBB15_60
; %bb.59:
	s_wait_xcnt 0x0
	v_trunc_f32_e32 v1, v4
	s_mov_b32 s26, 0
	s_delay_alu instid0(VALU_DEP_1) | instskip(SKIP_1) | instid1(VALU_DEP_2)
	v_mul_f32_e64 v5, 0x2f800000, |v1|
	v_ashrrev_i32_e32 v6, 31, v1
	v_floor_f32_e32 v5, v5
	s_delay_alu instid0(VALU_DEP_1) | instskip(SKIP_1) | instid1(VALU_DEP_2)
	v_fma_f32 v7, 0xcf800000, v5, |v1|
	v_cvt_u32_f32_e32 v1, v5
	v_cvt_u32_f32_e32 v5, v7
	s_delay_alu instid0(VALU_DEP_2) | instskip(NEXT) | instid1(VALU_DEP_2)
	v_dual_mov_b32 v7, v6 :: v_dual_bitop2_b32 v9, v1, v6 bitop3:0x14
	v_xor_b32_e32 v8, v5, v6
	s_delay_alu instid0(VALU_DEP_1)
	v_sub_nc_u64_e32 v[6:7], v[8:9], v[6:7]
	global_store_b64 v[2:3], v[6:7], off
.LBB15_60:
	s_and_not1_b32 vcc_lo, exec_lo, s26
	s_cbranch_vccnz .LBB15_62
; %bb.61:
	s_wait_xcnt 0x0
	v_cvt_i32_f32_e32 v1, v4
	global_store_b32 v[2:3], v1, off
.LBB15_62:
	s_mov_b32 s26, 0
.LBB15_63:
	s_delay_alu instid0(SALU_CYCLE_1)
	s_and_not1_b32 vcc_lo, exec_lo, s26
	s_cbranch_vccnz .LBB15_65
; %bb.64:
	s_wait_xcnt 0x0
	v_cvt_i32_f32_e32 v1, v4
	global_store_b16 v[2:3], v1, off
.LBB15_65:
	s_mov_b32 s26, 0
.LBB15_66:
	s_delay_alu instid0(SALU_CYCLE_1)
	s_and_not1_b32 vcc_lo, exec_lo, s26
	s_cbranch_vccnz .LBB15_71
; %bb.67:
	s_cmp_gt_i32 s25, 0
	s_mov_b32 s25, -1
	s_cbranch_scc0 .LBB15_69
; %bb.68:
	s_wait_xcnt 0x0
	v_cvt_i32_f32_e32 v1, v4
	s_mov_b32 s25, 0
	global_store_b8 v[2:3], v1, off
.LBB15_69:
	s_and_not1_b32 vcc_lo, exec_lo, s25
	s_cbranch_vccnz .LBB15_71
; %bb.70:
	s_wait_xcnt 0x0
	v_trunc_f32_e32 v1, v4
	s_delay_alu instid0(VALU_DEP_1) | instskip(NEXT) | instid1(VALU_DEP_1)
	v_mul_f32_e64 v4, 0x2f800000, |v1|
	v_floor_f32_e32 v4, v4
	s_delay_alu instid0(VALU_DEP_1) | instskip(SKIP_1) | instid1(VALU_DEP_2)
	v_fma_f32 v4, 0xcf800000, v4, |v1|
	v_ashrrev_i32_e32 v1, 31, v1
	v_cvt_u32_f32_e32 v4, v4
	s_delay_alu instid0(VALU_DEP_1) | instskip(NEXT) | instid1(VALU_DEP_1)
	v_xor_b32_e32 v4, v4, v1
	v_sub_nc_u32_e32 v1, v4, v1
	global_store_b8 v[2:3], v1, off
.LBB15_71:
	s_branch .LBB15_155
.LBB15_72:
	s_mov_b32 s24, 0
	s_mov_b32 s25, 0
                                        ; implicit-def: $vgpr1
	s_cbranch_execnz .LBB15_182
	s_branch .LBB15_216
.LBB15_73:
	s_mov_b32 s26, -1
	s_mov_b32 s24, 0
	s_mov_b32 s25, 0
                                        ; implicit-def: $vgpr1
	s_branch .LBB15_163
.LBB15_74:
	s_mov_b32 s28, -1
	s_branch .LBB15_112
.LBB15_75:
	s_mov_b32 s26, -1
	s_mov_b32 s24, 0
	s_mov_b32 s25, 0
                                        ; implicit-def: $vgpr1
	s_branch .LBB15_158
.LBB15_76:
	s_mov_b32 s28, -1
	s_branch .LBB15_95
.LBB15_77:
	s_mov_b32 s26, -1
	s_mov_b32 s24, 0
	s_branch .LBB15_80
.LBB15_78:
	s_mov_b32 s28, -1
	s_branch .LBB15_91
.LBB15_79:
	s_mov_b32 s24, -1
.LBB15_80:
	s_mov_b32 s25, 0
                                        ; implicit-def: $vgpr1
.LBB15_81:
	s_and_b32 vcc_lo, exec_lo, s26
	s_cbranch_vccz .LBB15_157
; %bb.82:
	s_cmp_eq_u32 s0, 44
	s_cbranch_scc0 .LBB15_156
; %bb.83:
	global_load_u8 v1, v[4:5], off
	s_mov_b32 s24, 0
	s_mov_b32 s25, -1
	s_wait_loadcnt 0x0
	v_lshlrev_b32_e32 v3, 23, v1
	v_cmp_ne_u32_e32 vcc_lo, 0xff, v1
	s_delay_alu instid0(VALU_DEP_2) | instskip(SKIP_1) | instid1(VALU_DEP_2)
	v_cndmask_b32_e32 v3, 0x7f800001, v3, vcc_lo
	v_cmp_ne_u32_e32 vcc_lo, 0, v1
	v_cndmask_b32_e32 v1, 0x400000, v3, vcc_lo
	s_branch .LBB15_157
.LBB15_84:
	s_mov_b32 s28, -1
.LBB15_85:
	s_delay_alu instid0(SALU_CYCLE_1)
	s_and_b32 vcc_lo, exec_lo, s28
	s_cbranch_vccz .LBB15_90
; %bb.86:
	s_cmp_eq_u32 s26, 44
	s_mov_b32 s0, -1
	s_cbranch_scc0 .LBB15_90
; %bb.87:
	v_bfe_u32 v5, v4, 23, 8
	s_wait_xcnt 0x0
	v_mov_b32_e32 v1, 0xff
	s_mov_b32 s27, exec_lo
	s_delay_alu instid0(VALU_DEP_2)
	v_cmpx_ne_u32_e32 0xff, v5
	s_cbranch_execz .LBB15_89
; %bb.88:
	v_and_b32_e32 v1, 0x400000, v4
	v_and_or_b32 v5, 0x3fffff, v4, v5
	s_delay_alu instid0(VALU_DEP_2) | instskip(NEXT) | instid1(VALU_DEP_2)
	v_cmp_ne_u32_e32 vcc_lo, 0, v1
	v_cmp_ne_u32_e64 s0, 0, v5
	v_lshrrev_b32_e32 v1, 23, v4
	s_and_b32 s0, vcc_lo, s0
	s_delay_alu instid0(SALU_CYCLE_1) | instskip(NEXT) | instid1(VALU_DEP_1)
	v_cndmask_b32_e64 v5, 0, 1, s0
	v_add_nc_u32_e32 v1, v1, v5
.LBB15_89:
	s_or_b32 exec_lo, exec_lo, s27
	s_mov_b32 s27, -1
	s_mov_b32 s0, 0
	global_store_b8 v[2:3], v1, off
.LBB15_90:
	s_mov_b32 s28, 0
.LBB15_91:
	s_delay_alu instid0(SALU_CYCLE_1)
	s_and_b32 vcc_lo, exec_lo, s28
	s_cbranch_vccz .LBB15_94
; %bb.92:
	s_cmp_eq_u32 s26, 29
	s_mov_b32 s0, -1
	s_cbranch_scc0 .LBB15_94
; %bb.93:
	s_wait_xcnt 0x0
	v_trunc_f32_e32 v1, v4
	s_mov_b32 s27, -1
	s_mov_b32 s0, 0
	s_mov_b32 s28, 0
	s_delay_alu instid0(VALU_DEP_1) | instskip(NEXT) | instid1(VALU_DEP_1)
	v_mul_f32_e32 v5, 0x2f800000, v1
	v_floor_f32_e32 v5, v5
	s_delay_alu instid0(VALU_DEP_1) | instskip(SKIP_1) | instid1(VALU_DEP_2)
	v_fmamk_f32 v1, v5, 0xcf800000, v1
	v_cvt_u32_f32_e32 v7, v5
	v_cvt_u32_f32_e32 v6, v1
	global_store_b64 v[2:3], v[6:7], off
	s_branch .LBB15_95
.LBB15_94:
	s_mov_b32 s28, 0
.LBB15_95:
	s_delay_alu instid0(SALU_CYCLE_1)
	s_and_b32 vcc_lo, exec_lo, s28
	s_cbranch_vccz .LBB15_111
; %bb.96:
	s_cmp_lt_i32 s26, 27
	s_mov_b32 s27, -1
	s_cbranch_scc1 .LBB15_102
; %bb.97:
	s_wait_xcnt 0x0
	v_cvt_u32_f32_e32 v1, v4
	s_cmp_gt_i32 s26, 27
	s_cbranch_scc0 .LBB15_99
; %bb.98:
	s_mov_b32 s27, 0
	global_store_b32 v[2:3], v1, off
.LBB15_99:
	s_and_not1_b32 vcc_lo, exec_lo, s27
	s_cbranch_vccnz .LBB15_101
; %bb.100:
	global_store_b16 v[2:3], v1, off
.LBB15_101:
	s_mov_b32 s27, 0
.LBB15_102:
	s_delay_alu instid0(SALU_CYCLE_1)
	s_and_not1_b32 vcc_lo, exec_lo, s27
	s_cbranch_vccnz .LBB15_110
; %bb.103:
	s_wait_xcnt 0x0
	v_and_b32_e32 v1, 0x7fffffff, v4
	v_mov_b32_e32 v5, 0x80
	s_mov_b32 s27, exec_lo
	s_delay_alu instid0(VALU_DEP_2)
	v_cmpx_gt_u32_e32 0x43800000, v1
	s_cbranch_execz .LBB15_109
; %bb.104:
	v_cmp_lt_u32_e32 vcc_lo, 0x3bffffff, v1
	s_mov_b32 s28, 0
                                        ; implicit-def: $vgpr1
	s_and_saveexec_b32 s29, vcc_lo
	s_delay_alu instid0(SALU_CYCLE_1)
	s_xor_b32 s29, exec_lo, s29
	s_cbranch_execz .LBB15_349
; %bb.105:
	v_bfe_u32 v1, v4, 20, 1
	s_mov_b32 s28, exec_lo
	s_delay_alu instid0(VALU_DEP_1) | instskip(NEXT) | instid1(VALU_DEP_1)
	v_add3_u32 v1, v4, v1, 0x487ffff
	v_lshrrev_b32_e32 v1, 20, v1
	s_and_not1_saveexec_b32 s29, s29
	s_cbranch_execnz .LBB15_350
.LBB15_106:
	s_or_b32 exec_lo, exec_lo, s29
	v_mov_b32_e32 v5, 0
	s_and_saveexec_b32 s29, s28
.LBB15_107:
	v_lshrrev_b32_e32 v5, 24, v4
	s_delay_alu instid0(VALU_DEP_1)
	v_and_or_b32 v5, 0x80, v5, v1
.LBB15_108:
	s_or_b32 exec_lo, exec_lo, s29
.LBB15_109:
	s_delay_alu instid0(SALU_CYCLE_1)
	s_or_b32 exec_lo, exec_lo, s27
	global_store_b8 v[2:3], v5, off
.LBB15_110:
	s_mov_b32 s27, -1
.LBB15_111:
	s_mov_b32 s28, 0
.LBB15_112:
	s_delay_alu instid0(SALU_CYCLE_1)
	s_and_b32 vcc_lo, exec_lo, s28
	s_cbranch_vccz .LBB15_153
; %bb.113:
	s_cmp_gt_i32 s26, 22
	s_mov_b32 s28, -1
	s_cbranch_scc0 .LBB15_145
; %bb.114:
	s_cmp_lt_i32 s26, 24
	s_mov_b32 s27, -1
	s_cbranch_scc1 .LBB15_134
; %bb.115:
	s_cmp_gt_i32 s26, 24
	s_cbranch_scc0 .LBB15_123
; %bb.116:
	s_wait_xcnt 0x0
	v_and_b32_e32 v1, 0x7fffffff, v4
	v_mov_b32_e32 v5, 0x80
	s_mov_b32 s27, exec_lo
	s_delay_alu instid0(VALU_DEP_2)
	v_cmpx_gt_u32_e32 0x47800000, v1
	s_cbranch_execz .LBB15_122
; %bb.117:
	v_cmp_lt_u32_e32 vcc_lo, 0x37ffffff, v1
	s_mov_b32 s28, 0
                                        ; implicit-def: $vgpr1
	s_and_saveexec_b32 s29, vcc_lo
	s_delay_alu instid0(SALU_CYCLE_1)
	s_xor_b32 s29, exec_lo, s29
	s_cbranch_execz .LBB15_353
; %bb.118:
	v_bfe_u32 v1, v4, 21, 1
	s_mov_b32 s28, exec_lo
	s_delay_alu instid0(VALU_DEP_1) | instskip(NEXT) | instid1(VALU_DEP_1)
	v_add3_u32 v1, v4, v1, 0x88fffff
	v_lshrrev_b32_e32 v1, 21, v1
	s_and_not1_saveexec_b32 s29, s29
	s_cbranch_execnz .LBB15_354
.LBB15_119:
	s_or_b32 exec_lo, exec_lo, s29
	v_mov_b32_e32 v5, 0
	s_and_saveexec_b32 s29, s28
.LBB15_120:
	v_lshrrev_b32_e32 v5, 24, v4
	s_delay_alu instid0(VALU_DEP_1)
	v_and_or_b32 v5, 0x80, v5, v1
.LBB15_121:
	s_or_b32 exec_lo, exec_lo, s29
.LBB15_122:
	s_delay_alu instid0(SALU_CYCLE_1)
	s_or_b32 exec_lo, exec_lo, s27
	s_mov_b32 s27, 0
	global_store_b8 v[2:3], v5, off
.LBB15_123:
	s_and_b32 vcc_lo, exec_lo, s27
	s_cbranch_vccz .LBB15_133
; %bb.124:
	s_wait_xcnt 0x0
	v_and_b32_e32 v5, 0x7fffffff, v4
	s_mov_b32 s27, exec_lo
                                        ; implicit-def: $vgpr1
	s_delay_alu instid0(VALU_DEP_1)
	v_cmpx_gt_u32_e32 0x43f00000, v5
	s_xor_b32 s27, exec_lo, s27
	s_cbranch_execz .LBB15_130
; %bb.125:
	s_mov_b32 s28, exec_lo
                                        ; implicit-def: $vgpr1
	v_cmpx_lt_u32_e32 0x3c7fffff, v5
	s_xor_b32 s28, exec_lo, s28
; %bb.126:
	v_bfe_u32 v1, v4, 20, 1
	s_delay_alu instid0(VALU_DEP_1) | instskip(NEXT) | instid1(VALU_DEP_1)
	v_add3_u32 v1, v4, v1, 0x407ffff
	v_and_b32_e32 v5, 0xff00000, v1
	v_lshrrev_b32_e32 v1, 20, v1
	s_delay_alu instid0(VALU_DEP_2) | instskip(NEXT) | instid1(VALU_DEP_2)
	v_cmp_ne_u32_e32 vcc_lo, 0x7f00000, v5
	v_cndmask_b32_e32 v1, 0x7e, v1, vcc_lo
; %bb.127:
	s_and_not1_saveexec_b32 s28, s28
; %bb.128:
	v_add_f32_e64 v1, 0x46800000, |v4|
; %bb.129:
	s_or_b32 exec_lo, exec_lo, s28
                                        ; implicit-def: $vgpr5
.LBB15_130:
	s_and_not1_saveexec_b32 s27, s27
; %bb.131:
	v_mov_b32_e32 v1, 0x7f
	v_cmp_lt_u32_e32 vcc_lo, 0x7f800000, v5
	s_delay_alu instid0(VALU_DEP_2)
	v_cndmask_b32_e32 v1, 0x7e, v1, vcc_lo
; %bb.132:
	s_or_b32 exec_lo, exec_lo, s27
	v_lshrrev_b32_e32 v5, 24, v4
	s_delay_alu instid0(VALU_DEP_1)
	v_and_or_b32 v1, 0x80, v5, v1
	global_store_b8 v[2:3], v1, off
.LBB15_133:
	s_mov_b32 s27, 0
.LBB15_134:
	s_delay_alu instid0(SALU_CYCLE_1)
	s_and_not1_b32 vcc_lo, exec_lo, s27
	s_cbranch_vccnz .LBB15_144
; %bb.135:
	s_wait_xcnt 0x0
	v_and_b32_e32 v5, 0x7fffffff, v4
	s_mov_b32 s27, exec_lo
                                        ; implicit-def: $vgpr1
	s_delay_alu instid0(VALU_DEP_1)
	v_cmpx_gt_u32_e32 0x47800000, v5
	s_xor_b32 s27, exec_lo, s27
	s_cbranch_execz .LBB15_141
; %bb.136:
	s_mov_b32 s28, exec_lo
                                        ; implicit-def: $vgpr1
	v_cmpx_lt_u32_e32 0x387fffff, v5
	s_xor_b32 s28, exec_lo, s28
; %bb.137:
	v_bfe_u32 v1, v4, 21, 1
	s_delay_alu instid0(VALU_DEP_1) | instskip(NEXT) | instid1(VALU_DEP_1)
	v_add3_u32 v1, v4, v1, 0x80fffff
	v_lshrrev_b32_e32 v1, 21, v1
; %bb.138:
	s_and_not1_saveexec_b32 s28, s28
; %bb.139:
	v_add_f32_e64 v1, 0x43000000, |v4|
; %bb.140:
	s_or_b32 exec_lo, exec_lo, s28
                                        ; implicit-def: $vgpr5
.LBB15_141:
	s_and_not1_saveexec_b32 s27, s27
; %bb.142:
	v_mov_b32_e32 v1, 0x7f
	v_cmp_lt_u32_e32 vcc_lo, 0x7f800000, v5
	s_delay_alu instid0(VALU_DEP_2)
	v_cndmask_b32_e32 v1, 0x7c, v1, vcc_lo
; %bb.143:
	s_or_b32 exec_lo, exec_lo, s27
	v_lshrrev_b32_e32 v5, 24, v4
	s_delay_alu instid0(VALU_DEP_1)
	v_and_or_b32 v1, 0x80, v5, v1
	global_store_b8 v[2:3], v1, off
.LBB15_144:
	s_mov_b32 s28, 0
	s_mov_b32 s27, -1
.LBB15_145:
	s_and_not1_b32 vcc_lo, exec_lo, s28
	s_cbranch_vccnz .LBB15_153
; %bb.146:
	s_cmp_gt_i32 s26, 14
	s_mov_b32 s28, -1
	s_cbranch_scc0 .LBB15_150
; %bb.147:
	s_cmp_eq_u32 s26, 15
	s_mov_b32 s0, -1
	s_cbranch_scc0 .LBB15_149
; %bb.148:
	s_wait_xcnt 0x0
	v_bfe_u32 v1, v4, 16, 1
	v_cmp_o_f32_e32 vcc_lo, v4, v4
	s_mov_b32 s27, -1
	s_mov_b32 s0, 0
	s_delay_alu instid0(VALU_DEP_2) | instskip(NEXT) | instid1(VALU_DEP_1)
	v_add3_u32 v1, v4, v1, 0x7fff
	v_lshrrev_b32_e32 v1, 16, v1
	s_delay_alu instid0(VALU_DEP_1)
	v_cndmask_b32_e32 v1, 0x7fc0, v1, vcc_lo
	global_store_b16 v[2:3], v1, off
.LBB15_149:
	s_mov_b32 s28, 0
.LBB15_150:
	s_delay_alu instid0(SALU_CYCLE_1)
	s_and_b32 vcc_lo, exec_lo, s28
	s_cbranch_vccz .LBB15_153
; %bb.151:
	s_cmp_eq_u32 s26, 11
	s_mov_b32 s0, -1
	s_cbranch_scc0 .LBB15_153
; %bb.152:
	v_cmp_neq_f32_e32 vcc_lo, 0, v4
	s_mov_b32 s0, 0
	s_mov_b32 s27, -1
	s_wait_xcnt 0x0
	v_cndmask_b32_e64 v1, 0, 1, vcc_lo
	global_store_b8 v[2:3], v1, off
.LBB15_153:
.LBB15_154:
	s_and_not1_b32 vcc_lo, exec_lo, s27
	s_cbranch_vccnz .LBB15_265
.LBB15_155:
	v_add_nc_u32_e32 v0, 0x80, v0
	s_mov_b32 s25, -1
	s_branch .LBB15_266
.LBB15_156:
	s_mov_b32 s24, -1
                                        ; implicit-def: $vgpr1
.LBB15_157:
	s_mov_b32 s26, 0
.LBB15_158:
	s_delay_alu instid0(SALU_CYCLE_1)
	s_and_b32 vcc_lo, exec_lo, s26
	s_cbranch_vccz .LBB15_162
; %bb.159:
	s_cmp_eq_u32 s0, 29
	s_cbranch_scc0 .LBB15_161
; %bb.160:
	global_load_b64 v[6:7], v[4:5], off
	s_mov_b32 s25, -1
	s_mov_b32 s24, 0
	s_mov_b32 s26, 0
	s_wait_loadcnt 0x0
	v_clz_i32_u32_e32 v1, v7
	s_delay_alu instid0(VALU_DEP_1) | instskip(NEXT) | instid1(VALU_DEP_1)
	v_min_u32_e32 v1, 32, v1
	v_lshlrev_b64_e32 v[6:7], v1, v[6:7]
	v_sub_nc_u32_e32 v1, 32, v1
	s_delay_alu instid0(VALU_DEP_2) | instskip(NEXT) | instid1(VALU_DEP_1)
	v_min_u32_e32 v3, 1, v6
	v_or_b32_e32 v3, v7, v3
	s_delay_alu instid0(VALU_DEP_1) | instskip(NEXT) | instid1(VALU_DEP_1)
	v_cvt_f32_u32_e32 v3, v3
	v_ldexp_f32 v1, v3, v1
	s_branch .LBB15_163
.LBB15_161:
	s_mov_b32 s24, -1
                                        ; implicit-def: $vgpr1
.LBB15_162:
	s_mov_b32 s26, 0
.LBB15_163:
	s_delay_alu instid0(SALU_CYCLE_1)
	s_and_b32 vcc_lo, exec_lo, s26
	s_cbranch_vccz .LBB15_181
; %bb.164:
	s_cmp_lt_i32 s0, 27
	s_cbranch_scc1 .LBB15_167
; %bb.165:
	s_cmp_gt_i32 s0, 27
	s_cbranch_scc0 .LBB15_168
; %bb.166:
	global_load_b32 v1, v[4:5], off
	s_mov_b32 s25, 0
	s_wait_loadcnt 0x0
	v_cvt_f32_u32_e32 v1, v1
	s_branch .LBB15_169
.LBB15_167:
	s_mov_b32 s25, -1
                                        ; implicit-def: $vgpr1
	s_branch .LBB15_172
.LBB15_168:
	s_mov_b32 s25, -1
                                        ; implicit-def: $vgpr1
.LBB15_169:
	s_delay_alu instid0(SALU_CYCLE_1)
	s_and_not1_b32 vcc_lo, exec_lo, s25
	s_cbranch_vccnz .LBB15_171
; %bb.170:
	global_load_u16 v1, v[4:5], off
	s_wait_loadcnt 0x0
	v_cvt_f32_u32_e32 v1, v1
.LBB15_171:
	s_mov_b32 s25, 0
.LBB15_172:
	s_delay_alu instid0(SALU_CYCLE_1)
	s_and_not1_b32 vcc_lo, exec_lo, s25
	s_cbranch_vccnz .LBB15_180
; %bb.173:
	global_load_u8 v3, v[4:5], off
	s_mov_b32 s25, 0
	s_mov_b32 s26, exec_lo
	s_wait_loadcnt 0x0
	v_cmpx_lt_i16_e32 0x7f, v3
	s_xor_b32 s26, exec_lo, s26
	s_cbranch_execz .LBB15_193
; %bb.174:
	s_mov_b32 s25, -1
	s_mov_b32 s27, exec_lo
	v_cmpx_eq_u16_e32 0x80, v3
; %bb.175:
	s_xor_b32 s25, exec_lo, -1
; %bb.176:
	s_or_b32 exec_lo, exec_lo, s27
	s_delay_alu instid0(SALU_CYCLE_1)
	s_and_b32 s25, s25, exec_lo
	s_or_saveexec_b32 s26, s26
	v_mov_b32_e32 v1, 0x7f800001
	s_xor_b32 exec_lo, exec_lo, s26
	s_cbranch_execnz .LBB15_194
.LBB15_177:
	s_or_b32 exec_lo, exec_lo, s26
	s_and_saveexec_b32 s26, s25
	s_cbranch_execz .LBB15_179
.LBB15_178:
	v_and_b32_e32 v1, 0xffff, v3
	s_delay_alu instid0(VALU_DEP_1) | instskip(SKIP_1) | instid1(VALU_DEP_2)
	v_and_b32_e32 v6, 7, v1
	v_bfe_u32 v9, v1, 3, 4
	v_clz_i32_u32_e32 v7, v6
	s_delay_alu instid0(VALU_DEP_2) | instskip(NEXT) | instid1(VALU_DEP_2)
	v_cmp_eq_u32_e32 vcc_lo, 0, v9
	v_min_u32_e32 v7, 32, v7
	s_delay_alu instid0(VALU_DEP_1) | instskip(NEXT) | instid1(VALU_DEP_1)
	v_subrev_nc_u32_e32 v8, 28, v7
	v_dual_lshlrev_b32 v1, v8, v1 :: v_dual_sub_nc_u32 v7, 29, v7
	s_delay_alu instid0(VALU_DEP_1) | instskip(NEXT) | instid1(VALU_DEP_1)
	v_dual_lshlrev_b32 v3, 24, v3 :: v_dual_bitop2_b32 v1, 7, v1 bitop3:0x40
	v_dual_cndmask_b32 v1, v6, v1, vcc_lo :: v_dual_cndmask_b32 v7, v9, v7, vcc_lo
	s_delay_alu instid0(VALU_DEP_2) | instskip(NEXT) | instid1(VALU_DEP_2)
	v_and_b32_e32 v3, 0x80000000, v3
	v_lshlrev_b32_e32 v1, 20, v1
	s_delay_alu instid0(VALU_DEP_3) | instskip(NEXT) | instid1(VALU_DEP_1)
	v_lshl_add_u32 v6, v7, 23, 0x3b800000
	v_or3_b32 v1, v3, v6, v1
.LBB15_179:
	s_or_b32 exec_lo, exec_lo, s26
.LBB15_180:
	s_mov_b32 s25, -1
.LBB15_181:
	s_branch .LBB15_216
.LBB15_182:
	s_cmp_gt_i32 s0, 22
	s_cbranch_scc0 .LBB15_192
; %bb.183:
	s_cmp_lt_i32 s0, 24
	s_cbranch_scc1 .LBB15_195
; %bb.184:
	s_cmp_gt_i32 s0, 24
	s_cbranch_scc0 .LBB15_196
; %bb.185:
	global_load_u8 v3, v[4:5], off
	s_mov_b32 s25, 0
	s_mov_b32 s26, exec_lo
	s_wait_loadcnt 0x0
	v_cmpx_lt_i16_e32 0x7f, v3
	s_xor_b32 s26, exec_lo, s26
	s_cbranch_execz .LBB15_208
; %bb.186:
	s_mov_b32 s25, -1
	s_mov_b32 s27, exec_lo
	v_cmpx_eq_u16_e32 0x80, v3
; %bb.187:
	s_xor_b32 s25, exec_lo, -1
; %bb.188:
	s_or_b32 exec_lo, exec_lo, s27
	s_delay_alu instid0(SALU_CYCLE_1)
	s_and_b32 s25, s25, exec_lo
	s_or_saveexec_b32 s26, s26
	v_mov_b32_e32 v1, 0x7f800001
	s_xor_b32 exec_lo, exec_lo, s26
	s_cbranch_execnz .LBB15_209
.LBB15_189:
	s_or_b32 exec_lo, exec_lo, s26
	s_and_saveexec_b32 s26, s25
	s_cbranch_execz .LBB15_191
.LBB15_190:
	v_and_b32_e32 v1, 0xffff, v3
	s_delay_alu instid0(VALU_DEP_1) | instskip(SKIP_1) | instid1(VALU_DEP_2)
	v_and_b32_e32 v6, 3, v1
	v_bfe_u32 v9, v1, 2, 5
	v_clz_i32_u32_e32 v7, v6
	s_delay_alu instid0(VALU_DEP_2) | instskip(NEXT) | instid1(VALU_DEP_2)
	v_cmp_eq_u32_e32 vcc_lo, 0, v9
	v_min_u32_e32 v7, 32, v7
	s_delay_alu instid0(VALU_DEP_1) | instskip(NEXT) | instid1(VALU_DEP_1)
	v_subrev_nc_u32_e32 v8, 29, v7
	v_dual_lshlrev_b32 v1, v8, v1 :: v_dual_sub_nc_u32 v7, 30, v7
	s_delay_alu instid0(VALU_DEP_1) | instskip(NEXT) | instid1(VALU_DEP_1)
	v_dual_lshlrev_b32 v3, 24, v3 :: v_dual_bitop2_b32 v1, 3, v1 bitop3:0x40
	v_dual_cndmask_b32 v1, v6, v1, vcc_lo :: v_dual_cndmask_b32 v7, v9, v7, vcc_lo
	s_delay_alu instid0(VALU_DEP_2) | instskip(NEXT) | instid1(VALU_DEP_2)
	v_and_b32_e32 v3, 0x80000000, v3
	v_lshlrev_b32_e32 v1, 21, v1
	s_delay_alu instid0(VALU_DEP_3) | instskip(NEXT) | instid1(VALU_DEP_1)
	v_lshl_add_u32 v6, v7, 23, 0x37800000
	v_or3_b32 v1, v3, v6, v1
.LBB15_191:
	s_or_b32 exec_lo, exec_lo, s26
	s_mov_b32 s25, 0
	s_branch .LBB15_197
.LBB15_192:
	s_mov_b32 s26, -1
                                        ; implicit-def: $vgpr1
	s_branch .LBB15_203
.LBB15_193:
	s_or_saveexec_b32 s26, s26
	v_mov_b32_e32 v1, 0x7f800001
	s_xor_b32 exec_lo, exec_lo, s26
	s_cbranch_execz .LBB15_177
.LBB15_194:
	v_cmp_ne_u16_e32 vcc_lo, 0, v3
	v_mov_b32_e32 v1, 0
	s_and_not1_b32 s25, s25, exec_lo
	s_and_b32 s27, vcc_lo, exec_lo
	s_delay_alu instid0(SALU_CYCLE_1)
	s_or_b32 s25, s25, s27
	s_or_b32 exec_lo, exec_lo, s26
	s_and_saveexec_b32 s26, s25
	s_cbranch_execnz .LBB15_178
	s_branch .LBB15_179
.LBB15_195:
	s_mov_b32 s25, -1
                                        ; implicit-def: $vgpr1
	s_branch .LBB15_200
.LBB15_196:
	s_mov_b32 s25, -1
                                        ; implicit-def: $vgpr1
.LBB15_197:
	s_delay_alu instid0(SALU_CYCLE_1)
	s_and_b32 vcc_lo, exec_lo, s25
	s_cbranch_vccz .LBB15_199
; %bb.198:
	global_load_u8 v1, v[4:5], off
	s_wait_loadcnt 0x0
	v_lshlrev_b32_e32 v1, 24, v1
	s_delay_alu instid0(VALU_DEP_1) | instskip(NEXT) | instid1(VALU_DEP_1)
	v_and_b32_e32 v3, 0x7f000000, v1
	v_clz_i32_u32_e32 v6, v3
	v_cmp_ne_u32_e32 vcc_lo, 0, v3
	v_add_nc_u32_e32 v8, 0x1000000, v3
	s_delay_alu instid0(VALU_DEP_3) | instskip(NEXT) | instid1(VALU_DEP_1)
	v_min_u32_e32 v6, 32, v6
	v_sub_nc_u32_e64 v6, v6, 4 clamp
	s_delay_alu instid0(VALU_DEP_1) | instskip(NEXT) | instid1(VALU_DEP_1)
	v_dual_lshlrev_b32 v7, v6, v3 :: v_dual_lshlrev_b32 v6, 23, v6
	v_lshrrev_b32_e32 v7, 4, v7
	s_delay_alu instid0(VALU_DEP_1) | instskip(NEXT) | instid1(VALU_DEP_1)
	v_dual_sub_nc_u32 v6, v7, v6 :: v_dual_ashrrev_i32 v7, 8, v8
	v_add_nc_u32_e32 v6, 0x3c000000, v6
	s_delay_alu instid0(VALU_DEP_1) | instskip(NEXT) | instid1(VALU_DEP_1)
	v_and_or_b32 v6, 0x7f800000, v7, v6
	v_cndmask_b32_e32 v3, 0, v6, vcc_lo
	s_delay_alu instid0(VALU_DEP_1)
	v_and_or_b32 v1, 0x80000000, v1, v3
.LBB15_199:
	s_mov_b32 s25, 0
.LBB15_200:
	s_delay_alu instid0(SALU_CYCLE_1)
	s_and_not1_b32 vcc_lo, exec_lo, s25
	s_cbranch_vccnz .LBB15_202
; %bb.201:
	global_load_u8 v1, v[4:5], off
	s_wait_loadcnt 0x0
	v_lshlrev_b32_e32 v3, 25, v1
	v_lshlrev_b16 v1, 8, v1
	s_delay_alu instid0(VALU_DEP_1) | instskip(SKIP_1) | instid1(VALU_DEP_2)
	v_and_or_b32 v7, 0x7f00, v1, 0.5
	v_bfe_i32 v1, v1, 0, 16
	v_add_f32_e32 v7, -0.5, v7
	v_lshrrev_b32_e32 v6, 4, v3
	v_cmp_gt_u32_e32 vcc_lo, 0x8000000, v3
	s_delay_alu instid0(VALU_DEP_2) | instskip(NEXT) | instid1(VALU_DEP_1)
	v_or_b32_e32 v6, 0x70000000, v6
	v_mul_f32_e32 v6, 0x7800000, v6
	s_delay_alu instid0(VALU_DEP_1) | instskip(NEXT) | instid1(VALU_DEP_1)
	v_cndmask_b32_e32 v3, v6, v7, vcc_lo
	v_and_or_b32 v1, 0x80000000, v1, v3
.LBB15_202:
	s_mov_b32 s26, 0
	s_mov_b32 s25, -1
.LBB15_203:
	s_and_not1_b32 vcc_lo, exec_lo, s26
	s_cbranch_vccnz .LBB15_216
; %bb.204:
	s_cmp_gt_i32 s0, 14
	s_cbranch_scc0 .LBB15_207
; %bb.205:
	s_cmp_eq_u32 s0, 15
	s_cbranch_scc0 .LBB15_210
; %bb.206:
	global_load_u16 v1, v[4:5], off
	s_mov_b32 s25, -1
	s_mov_b32 s24, 0
	s_wait_loadcnt 0x0
	v_lshlrev_b32_e32 v1, 16, v1
	s_branch .LBB15_211
.LBB15_207:
	s_mov_b32 s26, -1
                                        ; implicit-def: $vgpr1
	s_branch .LBB15_212
.LBB15_208:
	s_or_saveexec_b32 s26, s26
	v_mov_b32_e32 v1, 0x7f800001
	s_xor_b32 exec_lo, exec_lo, s26
	s_cbranch_execz .LBB15_189
.LBB15_209:
	v_cmp_ne_u16_e32 vcc_lo, 0, v3
	v_mov_b32_e32 v1, 0
	s_and_not1_b32 s25, s25, exec_lo
	s_and_b32 s27, vcc_lo, exec_lo
	s_delay_alu instid0(SALU_CYCLE_1)
	s_or_b32 s25, s25, s27
	s_or_b32 exec_lo, exec_lo, s26
	s_and_saveexec_b32 s26, s25
	s_cbranch_execnz .LBB15_190
	s_branch .LBB15_191
.LBB15_210:
	s_mov_b32 s24, -1
                                        ; implicit-def: $vgpr1
.LBB15_211:
	s_mov_b32 s26, 0
.LBB15_212:
	s_delay_alu instid0(SALU_CYCLE_1)
	s_and_b32 vcc_lo, exec_lo, s26
	s_cbranch_vccz .LBB15_216
; %bb.213:
	s_cmp_eq_u32 s0, 11
	s_cbranch_scc0 .LBB15_215
; %bb.214:
	global_load_u8 v1, v[4:5], off
	s_mov_b32 s24, 0
	s_mov_b32 s25, -1
	s_wait_loadcnt 0x0
	v_cmp_ne_u16_e32 vcc_lo, 0, v1
	v_cndmask_b32_e64 v1, 0, 1.0, vcc_lo
	s_branch .LBB15_216
.LBB15_215:
	s_mov_b32 s24, -1
                                        ; implicit-def: $vgpr1
.LBB15_216:
	s_branch .LBB15_25
.LBB15_217:
	s_cmp_lt_i32 s0, 5
	s_cbranch_scc1 .LBB15_222
; %bb.218:
	s_cmp_lt_i32 s0, 8
	s_cbranch_scc1 .LBB15_223
; %bb.219:
	;; [unrolled: 3-line block ×3, first 2 shown]
	s_cmp_gt_i32 s0, 9
	s_cbranch_scc0 .LBB15_225
; %bb.221:
	global_load_b64 v[6:7], v[4:5], off
	s_mov_b32 s25, 0
	s_wait_loadcnt 0x0
	v_cvt_f32_f64_e32 v1, v[6:7]
	s_branch .LBB15_226
.LBB15_222:
                                        ; implicit-def: $vgpr1
	s_branch .LBB15_244
.LBB15_223:
	s_mov_b32 s25, -1
                                        ; implicit-def: $vgpr1
	s_branch .LBB15_232
.LBB15_224:
	s_mov_b32 s25, -1
                                        ; implicit-def: $vgpr1
	s_branch .LBB15_229
.LBB15_225:
	s_mov_b32 s25, -1
                                        ; implicit-def: $vgpr1
.LBB15_226:
	s_delay_alu instid0(SALU_CYCLE_1)
	s_and_not1_b32 vcc_lo, exec_lo, s25
	s_cbranch_vccnz .LBB15_228
; %bb.227:
	global_load_b32 v1, v[4:5], off
.LBB15_228:
	s_mov_b32 s25, 0
.LBB15_229:
	s_delay_alu instid0(SALU_CYCLE_1)
	s_and_not1_b32 vcc_lo, exec_lo, s25
	s_cbranch_vccnz .LBB15_231
; %bb.230:
	s_wait_loadcnt 0x0
	global_load_b32 v1, v[4:5], off
	s_wait_loadcnt 0x0
	v_cvt_f32_f16_e32 v1, v1
.LBB15_231:
	s_mov_b32 s25, 0
.LBB15_232:
	s_delay_alu instid0(SALU_CYCLE_1)
	s_and_not1_b32 vcc_lo, exec_lo, s25
	s_cbranch_vccnz .LBB15_243
; %bb.233:
	s_cmp_lt_i32 s0, 6
	s_cbranch_scc1 .LBB15_236
; %bb.234:
	s_cmp_gt_i32 s0, 6
	s_cbranch_scc0 .LBB15_237
; %bb.235:
	global_load_b64 v[6:7], v[4:5], off
	s_mov_b32 s25, 0
	s_wait_loadcnt 0x0
	v_cvt_f32_f64_e32 v1, v[6:7]
	s_branch .LBB15_238
.LBB15_236:
	s_mov_b32 s25, -1
                                        ; implicit-def: $vgpr1
	s_branch .LBB15_241
.LBB15_237:
	s_mov_b32 s25, -1
                                        ; implicit-def: $vgpr1
.LBB15_238:
	s_delay_alu instid0(SALU_CYCLE_1)
	s_and_not1_b32 vcc_lo, exec_lo, s25
	s_cbranch_vccnz .LBB15_240
; %bb.239:
	s_wait_loadcnt 0x0
	global_load_b32 v1, v[4:5], off
.LBB15_240:
	s_mov_b32 s25, 0
.LBB15_241:
	s_delay_alu instid0(SALU_CYCLE_1)
	s_and_not1_b32 vcc_lo, exec_lo, s25
	s_cbranch_vccnz .LBB15_243
; %bb.242:
	s_wait_loadcnt 0x0
	global_load_u16 v1, v[4:5], off
	s_wait_loadcnt 0x0
	v_cvt_f32_f16_e32 v1, v1
.LBB15_243:
	s_cbranch_execnz .LBB15_263
.LBB15_244:
	s_cmp_lt_i32 s0, 2
	s_cbranch_scc1 .LBB15_248
; %bb.245:
	s_cmp_lt_i32 s0, 3
	s_cbranch_scc1 .LBB15_249
; %bb.246:
	s_cmp_gt_i32 s0, 3
	s_cbranch_scc0 .LBB15_250
; %bb.247:
	global_load_b64 v[6:7], v[4:5], off
	s_mov_b32 s25, 0
	s_wait_loadcnt 0x0
	v_xor_b32_e32 v1, v6, v7
	v_cls_i32_e32 v3, v7
	s_delay_alu instid0(VALU_DEP_2) | instskip(NEXT) | instid1(VALU_DEP_1)
	v_ashrrev_i32_e32 v1, 31, v1
	v_add_nc_u32_e32 v1, 32, v1
	s_delay_alu instid0(VALU_DEP_1) | instskip(NEXT) | instid1(VALU_DEP_1)
	v_add_min_u32_e64 v1, v3, -1, v1
	v_lshlrev_b64_e32 v[6:7], v1, v[6:7]
	v_sub_nc_u32_e32 v1, 32, v1
	s_delay_alu instid0(VALU_DEP_2) | instskip(NEXT) | instid1(VALU_DEP_1)
	v_min_u32_e32 v3, 1, v6
	v_or_b32_e32 v3, v7, v3
	s_delay_alu instid0(VALU_DEP_1) | instskip(NEXT) | instid1(VALU_DEP_1)
	v_cvt_f32_i32_e32 v3, v3
	v_ldexp_f32 v1, v3, v1
	s_branch .LBB15_251
.LBB15_248:
	s_mov_b32 s25, -1
                                        ; implicit-def: $vgpr1
	s_branch .LBB15_257
.LBB15_249:
	s_mov_b32 s25, -1
                                        ; implicit-def: $vgpr1
	s_branch .LBB15_254
.LBB15_250:
	s_mov_b32 s25, -1
                                        ; implicit-def: $vgpr1
.LBB15_251:
	s_delay_alu instid0(SALU_CYCLE_1)
	s_and_not1_b32 vcc_lo, exec_lo, s25
	s_cbranch_vccnz .LBB15_253
; %bb.252:
	s_wait_loadcnt 0x0
	global_load_b32 v1, v[4:5], off
	s_wait_loadcnt 0x0
	v_cvt_f32_i32_e32 v1, v1
.LBB15_253:
	s_mov_b32 s25, 0
.LBB15_254:
	s_delay_alu instid0(SALU_CYCLE_1)
	s_and_not1_b32 vcc_lo, exec_lo, s25
	s_cbranch_vccnz .LBB15_256
; %bb.255:
	s_wait_loadcnt 0x0
	global_load_i16 v1, v[4:5], off
	s_wait_loadcnt 0x0
	v_cvt_f32_i32_e32 v1, v1
.LBB15_256:
	s_mov_b32 s25, 0
.LBB15_257:
	s_delay_alu instid0(SALU_CYCLE_1)
	s_and_not1_b32 vcc_lo, exec_lo, s25
	s_cbranch_vccnz .LBB15_263
; %bb.258:
	s_cmp_gt_i32 s0, 0
	s_mov_b32 s0, 0
	s_cbranch_scc0 .LBB15_260
; %bb.259:
	s_wait_loadcnt 0x0
	global_load_i8 v1, v[4:5], off
	s_wait_loadcnt 0x0
	v_cvt_f32_i32_e32 v1, v1
	s_branch .LBB15_261
.LBB15_260:
	s_mov_b32 s0, -1
                                        ; implicit-def: $vgpr1
.LBB15_261:
	s_delay_alu instid0(SALU_CYCLE_1)
	s_and_not1_b32 vcc_lo, exec_lo, s0
	s_cbranch_vccnz .LBB15_263
; %bb.262:
	s_wait_loadcnt 0x0
	global_load_u8 v1, v[4:5], off
	s_wait_loadcnt 0x0
	v_cvt_f32_ubyte0_e32 v1, v1
.LBB15_263:
	s_branch .LBB15_26
.LBB15_264:
	s_mov_b32 s0, 0
.LBB15_265:
	s_mov_b32 s25, 0
                                        ; implicit-def: $vgpr0
.LBB15_266:
	s_and_b32 s40, s0, exec_lo
	s_and_b32 s41, s24, exec_lo
	s_or_not1_b32 s25, s25, exec_lo
.LBB15_267:
	s_wait_xcnt 0x0
	s_or_b32 exec_lo, exec_lo, s42
	s_mov_b32 s24, 0
	s_mov_b32 s0, 0
                                        ; implicit-def: $vgpr4_vgpr5
                                        ; implicit-def: $vgpr2
                                        ; implicit-def: $vgpr6
	s_and_saveexec_b32 s42, s25
	s_cbranch_execz .LBB15_275
; %bb.268:
	s_mov_b32 s0, -1
	s_mov_b32 s43, s41
	s_mov_b32 s44, s40
	s_mov_b32 s45, exec_lo
	v_cmpx_gt_i32_e64 s37, v0
	s_cbranch_execz .LBB15_545
; %bb.269:
	s_and_not1_b32 vcc_lo, exec_lo, s34
	s_cbranch_vccnz .LBB15_278
; %bb.270:
	s_and_not1_b32 vcc_lo, exec_lo, s39
	s_cbranch_vccnz .LBB15_279
; %bb.271:
	s_add_co_i32 s0, s38, 1
	s_cmp_eq_u32 s31, 2
	s_cbranch_scc1 .LBB15_280
; %bb.272:
	v_dual_mov_b32 v2, 0 :: v_dual_mov_b32 v4, 0
	s_wait_loadcnt 0x0
	v_mov_b32_e32 v1, v0
	s_and_b32 s24, s0, 28
	s_mov_b32 s25, 0
	s_mov_b64 s[26:27], s[2:3]
	s_mov_b64 s[28:29], s[22:23]
.LBB15_273:                             ; =>This Inner Loop Header: Depth=1
	s_clause 0x1
	s_load_b256 s[48:55], s[26:27], 0x4
	s_load_b128 s[64:67], s[26:27], 0x24
	s_load_b256 s[56:63], s[28:29], 0x0
	s_add_co_i32 s25, s25, 4
	s_wait_xcnt 0x0
	s_add_nc_u64 s[26:27], s[26:27], 48
	s_cmp_eq_u32 s24, s25
	s_add_nc_u64 s[28:29], s[28:29], 32
	s_wait_kmcnt 0x0
	v_mul_hi_u32 v3, s49, v1
	s_delay_alu instid0(VALU_DEP_1) | instskip(NEXT) | instid1(VALU_DEP_1)
	v_add_nc_u32_e32 v3, v1, v3
	v_lshrrev_b32_e32 v3, s50, v3
	s_delay_alu instid0(VALU_DEP_1) | instskip(NEXT) | instid1(VALU_DEP_1)
	v_mul_hi_u32 v5, s52, v3
	v_add_nc_u32_e32 v5, v3, v5
	s_delay_alu instid0(VALU_DEP_1) | instskip(NEXT) | instid1(VALU_DEP_1)
	v_lshrrev_b32_e32 v5, s53, v5
	v_mul_hi_u32 v6, s55, v5
	s_delay_alu instid0(VALU_DEP_1) | instskip(SKIP_1) | instid1(VALU_DEP_1)
	v_add_nc_u32_e32 v6, v5, v6
	v_mul_lo_u32 v7, v3, s48
	v_sub_nc_u32_e32 v1, v1, v7
	v_mul_lo_u32 v7, v5, s51
	s_delay_alu instid0(VALU_DEP_4) | instskip(NEXT) | instid1(VALU_DEP_3)
	v_lshrrev_b32_e32 v6, s64, v6
	v_mad_u32 v4, v1, s57, v4
	v_mad_u32 v1, v1, s56, v2
	s_delay_alu instid0(VALU_DEP_4) | instskip(NEXT) | instid1(VALU_DEP_4)
	v_sub_nc_u32_e32 v2, v3, v7
	v_mul_hi_u32 v8, s66, v6
	v_mul_lo_u32 v3, v6, s54
	s_delay_alu instid0(VALU_DEP_3) | instskip(SKIP_1) | instid1(VALU_DEP_3)
	v_mad_u32 v4, v2, s59, v4
	v_mad_u32 v2, v2, s58, v1
	v_dual_add_nc_u32 v7, v6, v8 :: v_dual_sub_nc_u32 v3, v5, v3
	s_delay_alu instid0(VALU_DEP_1) | instskip(NEXT) | instid1(VALU_DEP_2)
	v_lshrrev_b32_e32 v1, s67, v7
	v_mad_u32 v4, v3, s61, v4
	s_delay_alu instid0(VALU_DEP_4) | instskip(NEXT) | instid1(VALU_DEP_3)
	v_mad_u32 v2, v3, s60, v2
	v_mul_lo_u32 v5, v1, s65
	s_delay_alu instid0(VALU_DEP_1) | instskip(NEXT) | instid1(VALU_DEP_1)
	v_sub_nc_u32_e32 v3, v6, v5
	v_mad_u32 v4, v3, s63, v4
	s_delay_alu instid0(VALU_DEP_4)
	v_mad_u32 v2, v3, s62, v2
	s_cbranch_scc0 .LBB15_273
; %bb.274:
	s_delay_alu instid0(VALU_DEP_2)
	v_mov_b32_e32 v3, v4
	s_branch .LBB15_281
.LBB15_275:
	s_or_b32 exec_lo, exec_lo, s42
	s_mov_b32 s1, 0
	s_and_saveexec_b32 s6, s41
	s_cbranch_execnz .LBB15_926
.LBB15_276:
	s_or_b32 exec_lo, exec_lo, s6
	s_and_saveexec_b32 s6, s19
	s_delay_alu instid0(SALU_CYCLE_1)
	s_xor_b32 s6, exec_lo, s6
	s_cbranch_execz .LBB15_927
.LBB15_277:
	global_load_u8 v0, v[4:5], off
	s_or_b32 s0, s0, exec_lo
	s_wait_loadcnt 0x0
	v_cmp_ne_u16_e32 vcc_lo, 0, v0
	v_cndmask_b32_e64 v6, 0, 1.0, vcc_lo
	s_wait_xcnt 0x0
	s_or_b32 exec_lo, exec_lo, s6
	s_and_saveexec_b32 s6, s24
	s_cbranch_execz .LBB15_973
	s_branch .LBB15_928
.LBB15_278:
                                        ; implicit-def: $vgpr4
                                        ; implicit-def: $vgpr2
	s_and_not1_b32 vcc_lo, exec_lo, s0
	s_cbranch_vccnz .LBB15_288
	s_branch .LBB15_286
.LBB15_279:
	v_dual_mov_b32 v4, 0 :: v_dual_mov_b32 v2, 0
	s_branch .LBB15_285
.LBB15_280:
	v_mov_b64_e32 v[2:3], 0
	s_wait_loadcnt 0x0
	v_mov_b32_e32 v1, v0
                                        ; implicit-def: $vgpr4
.LBB15_281:
	s_and_b32 s0, s0, 3
	s_mov_b32 s25, 0
	s_cmp_eq_u32 s0, 0
	s_cbranch_scc1 .LBB15_285
; %bb.282:
	s_lshl_b32 s26, s24, 3
	s_mov_b32 s27, s25
	s_mul_u64 s[28:29], s[24:25], 12
	s_add_nc_u64 s[26:27], s[2:3], s[26:27]
	s_delay_alu instid0(SALU_CYCLE_1)
	s_add_nc_u64 s[24:25], s[26:27], 0xc4
	s_add_nc_u64 s[26:27], s[2:3], s[28:29]
.LBB15_283:                             ; =>This Inner Loop Header: Depth=1
	s_load_b96 s[48:50], s[26:27], 0x4
	s_load_b64 s[28:29], s[24:25], 0x0
	s_add_co_i32 s0, s0, -1
	s_wait_xcnt 0x0
	s_add_nc_u64 s[26:27], s[26:27], 12
	s_cmp_lg_u32 s0, 0
	s_add_nc_u64 s[24:25], s[24:25], 8
	s_wait_kmcnt 0x0
	v_mul_hi_u32 v4, s49, v1
	s_delay_alu instid0(VALU_DEP_1) | instskip(NEXT) | instid1(VALU_DEP_1)
	v_add_nc_u32_e32 v4, v1, v4
	v_lshrrev_b32_e32 v4, s50, v4
	s_delay_alu instid0(VALU_DEP_1) | instskip(NEXT) | instid1(VALU_DEP_1)
	v_mul_lo_u32 v5, v4, s48
	v_sub_nc_u32_e32 v1, v1, v5
	s_delay_alu instid0(VALU_DEP_1)
	v_mad_u32 v3, v1, s29, v3
	v_mad_u32 v2, v1, s28, v2
	v_mov_b32_e32 v1, v4
	s_cbranch_scc1 .LBB15_283
; %bb.284:
	s_delay_alu instid0(VALU_DEP_3)
	v_mov_b32_e32 v4, v3
.LBB15_285:
	s_cbranch_execnz .LBB15_288
.LBB15_286:
	s_wait_loadcnt 0x0
	v_mov_b32_e32 v1, 0
	s_and_not1_b32 vcc_lo, exec_lo, s36
	s_delay_alu instid0(VALU_DEP_1) | instskip(NEXT) | instid1(VALU_DEP_1)
	v_mul_u64_e32 v[2:3], s[18:19], v[0:1]
	v_add_nc_u32_e32 v2, v0, v3
	s_delay_alu instid0(VALU_DEP_1) | instskip(NEXT) | instid1(VALU_DEP_1)
	v_lshrrev_b32_e32 v6, s10, v2
	v_mul_lo_u32 v2, v6, s8
	s_delay_alu instid0(VALU_DEP_1) | instskip(NEXT) | instid1(VALU_DEP_1)
	v_sub_nc_u32_e32 v2, v0, v2
	v_mul_lo_u32 v4, v2, s13
	v_mul_lo_u32 v2, v2, s12
	s_cbranch_vccnz .LBB15_288
; %bb.287:
	v_mov_b32_e32 v7, v1
	s_delay_alu instid0(VALU_DEP_1) | instskip(NEXT) | instid1(VALU_DEP_1)
	v_mul_u64_e32 v[8:9], s[20:21], v[6:7]
	v_add_nc_u32_e32 v1, v6, v9
	s_delay_alu instid0(VALU_DEP_1) | instskip(NEXT) | instid1(VALU_DEP_1)
	v_lshrrev_b32_e32 v1, s1, v1
	v_mul_lo_u32 v1, v1, s11
	s_delay_alu instid0(VALU_DEP_1) | instskip(NEXT) | instid1(VALU_DEP_1)
	v_sub_nc_u32_e32 v1, v6, v1
	v_mad_u32 v2, v1, s14, v2
	v_mad_u32 v4, v1, s15, v4
.LBB15_288:
	v_mov_b32_e32 v5, 0
	s_and_b32 s0, 0xffff, s9
	s_delay_alu instid0(SALU_CYCLE_1) | instskip(NEXT) | instid1(VALU_DEP_1)
	s_cmp_lt_i32 s0, 11
	v_add_nc_u64_e32 v[4:5], s[6:7], v[4:5]
	s_cbranch_scc1 .LBB15_295
; %bb.289:
	s_cmp_gt_i32 s0, 25
	s_cbranch_scc0 .LBB15_344
; %bb.290:
	s_cmp_gt_i32 s0, 28
	s_cbranch_scc0 .LBB15_345
	;; [unrolled: 3-line block ×4, first 2 shown]
; %bb.293:
	s_cmp_eq_u32 s0, 46
	s_mov_b32 s26, 0
	s_cbranch_scc0 .LBB15_355
; %bb.294:
	s_wait_loadcnt 0x0
	global_load_b32 v1, v[4:5], off
	s_mov_b32 s25, -1
	s_mov_b32 s24, 0
	s_wait_loadcnt 0x0
	v_lshlrev_b32_e32 v1, 16, v1
	s_branch .LBB15_357
.LBB15_295:
	s_mov_b32 s25, 0
	s_mov_b32 s24, s41
                                        ; implicit-def: $vgpr1
	s_cbranch_execnz .LBB15_494
.LBB15_296:
	s_and_not1_b32 vcc_lo, exec_lo, s25
	s_cbranch_vccnz .LBB15_542
.LBB15_297:
	s_wait_loadcnt 0x0
	s_delay_alu instid0(VALU_DEP_1)
	v_cmp_nge_f32_e64 s0, v1, -s16
	v_cmp_nge_f32_e32 vcc_lo, s16, v1
	s_and_b32 s25, s17, 0xff
	s_mov_b32 s27, 0
	s_mov_b32 s26, -1
	s_or_b32 vcc_lo, s0, vcc_lo
	s_wait_xcnt 0x0
	v_dual_mov_b32 v3, 0 :: v_dual_cndmask_b32 v4, 0, v1
	s_cmp_lt_i32 s25, 11
	s_mov_b32 s0, s40
	s_delay_alu instid0(VALU_DEP_1)
	v_add_nc_u64_e32 v[2:3], s[4:5], v[2:3]
	s_cbranch_scc1 .LBB15_304
; %bb.298:
	s_and_b32 s26, 0xffff, s25
	s_delay_alu instid0(SALU_CYCLE_1)
	s_cmp_gt_i32 s26, 25
	s_cbranch_scc0 .LBB15_346
; %bb.299:
	s_cmp_gt_i32 s26, 28
	s_cbranch_scc0 .LBB15_348
; %bb.300:
	;; [unrolled: 3-line block ×4, first 2 shown]
	s_mov_b32 s28, 0
	s_mov_b32 s0, -1
	s_cmp_eq_u32 s26, 46
	s_cbranch_scc0 .LBB15_361
; %bb.303:
	v_bfe_u32 v1, v4, 16, 1
	v_cmp_o_f32_e32 vcc_lo, v4, v4
	s_mov_b32 s27, -1
	s_mov_b32 s0, 0
	s_delay_alu instid0(VALU_DEP_2) | instskip(NEXT) | instid1(VALU_DEP_1)
	v_add3_u32 v1, v4, v1, 0x7fff
	v_lshrrev_b32_e32 v1, 16, v1
	s_delay_alu instid0(VALU_DEP_1)
	v_cndmask_b32_e32 v1, 0x7fc0, v1, vcc_lo
	global_store_b32 v[2:3], v1, off
	s_branch .LBB15_361
.LBB15_304:
	s_and_b32 vcc_lo, exec_lo, s26
	s_cbranch_vccz .LBB15_430
; %bb.305:
	s_and_b32 s25, 0xffff, s25
	s_mov_b32 s26, -1
	s_cmp_lt_i32 s25, 5
	s_cbranch_scc1 .LBB15_326
; %bb.306:
	s_cmp_lt_i32 s25, 8
	s_cbranch_scc1 .LBB15_316
; %bb.307:
	;; [unrolled: 3-line block ×3, first 2 shown]
	s_cmp_gt_i32 s25, 9
	s_cbranch_scc0 .LBB15_310
; %bb.309:
	s_wait_xcnt 0x0
	v_cvt_f64_f32_e32 v[6:7], v4
	v_mov_b32_e32 v8, 0
	s_mov_b32 s26, 0
	s_delay_alu instid0(VALU_DEP_1)
	v_mov_b32_e32 v9, v8
	global_store_b128 v[2:3], v[6:9], off
.LBB15_310:
	s_and_not1_b32 vcc_lo, exec_lo, s26
	s_cbranch_vccnz .LBB15_312
; %bb.311:
	s_wait_xcnt 0x0
	v_mov_b32_e32 v5, 0
	global_store_b64 v[2:3], v[4:5], off
.LBB15_312:
	s_mov_b32 s26, 0
.LBB15_313:
	s_delay_alu instid0(SALU_CYCLE_1)
	s_and_not1_b32 vcc_lo, exec_lo, s26
	s_cbranch_vccnz .LBB15_315
; %bb.314:
	s_wait_xcnt 0x0
	v_cvt_f16_f32_e32 v1, v4
	s_delay_alu instid0(VALU_DEP_1)
	v_and_b32_e32 v1, 0xffff, v1
	global_store_b32 v[2:3], v1, off
.LBB15_315:
	s_mov_b32 s26, 0
.LBB15_316:
	s_delay_alu instid0(SALU_CYCLE_1)
	s_and_not1_b32 vcc_lo, exec_lo, s26
	s_cbranch_vccnz .LBB15_325
; %bb.317:
	s_cmp_lt_i32 s25, 6
	s_mov_b32 s26, -1
	s_cbranch_scc1 .LBB15_323
; %bb.318:
	s_cmp_gt_i32 s25, 6
	s_cbranch_scc0 .LBB15_320
; %bb.319:
	s_wait_xcnt 0x0
	v_cvt_f64_f32_e32 v[6:7], v4
	s_mov_b32 s26, 0
	global_store_b64 v[2:3], v[6:7], off
.LBB15_320:
	s_and_not1_b32 vcc_lo, exec_lo, s26
	s_cbranch_vccnz .LBB15_322
; %bb.321:
	global_store_b32 v[2:3], v4, off
.LBB15_322:
	s_mov_b32 s26, 0
.LBB15_323:
	s_delay_alu instid0(SALU_CYCLE_1)
	s_and_not1_b32 vcc_lo, exec_lo, s26
	s_cbranch_vccnz .LBB15_325
; %bb.324:
	s_wait_xcnt 0x0
	v_cvt_f16_f32_e32 v1, v4
	global_store_b16 v[2:3], v1, off
.LBB15_325:
	s_mov_b32 s26, 0
.LBB15_326:
	s_delay_alu instid0(SALU_CYCLE_1)
	s_and_not1_b32 vcc_lo, exec_lo, s26
	s_cbranch_vccnz .LBB15_342
; %bb.327:
	s_cmp_lt_i32 s25, 2
	s_mov_b32 s26, -1
	s_cbranch_scc1 .LBB15_337
; %bb.328:
	s_cmp_lt_i32 s25, 3
	s_cbranch_scc1 .LBB15_334
; %bb.329:
	s_cmp_gt_i32 s25, 3
	s_cbranch_scc0 .LBB15_331
; %bb.330:
	s_wait_xcnt 0x0
	v_trunc_f32_e32 v1, v4
	s_mov_b32 s26, 0
	s_delay_alu instid0(VALU_DEP_1) | instskip(SKIP_1) | instid1(VALU_DEP_2)
	v_mul_f32_e64 v5, 0x2f800000, |v1|
	v_ashrrev_i32_e32 v6, 31, v1
	v_floor_f32_e32 v5, v5
	s_delay_alu instid0(VALU_DEP_1) | instskip(SKIP_1) | instid1(VALU_DEP_2)
	v_fma_f32 v7, 0xcf800000, v5, |v1|
	v_cvt_u32_f32_e32 v1, v5
	v_cvt_u32_f32_e32 v5, v7
	s_delay_alu instid0(VALU_DEP_2) | instskip(NEXT) | instid1(VALU_DEP_2)
	v_dual_mov_b32 v7, v6 :: v_dual_bitop2_b32 v9, v1, v6 bitop3:0x14
	v_xor_b32_e32 v8, v5, v6
	s_delay_alu instid0(VALU_DEP_1)
	v_sub_nc_u64_e32 v[6:7], v[8:9], v[6:7]
	global_store_b64 v[2:3], v[6:7], off
.LBB15_331:
	s_and_not1_b32 vcc_lo, exec_lo, s26
	s_cbranch_vccnz .LBB15_333
; %bb.332:
	s_wait_xcnt 0x0
	v_cvt_i32_f32_e32 v1, v4
	global_store_b32 v[2:3], v1, off
.LBB15_333:
	s_mov_b32 s26, 0
.LBB15_334:
	s_delay_alu instid0(SALU_CYCLE_1)
	s_and_not1_b32 vcc_lo, exec_lo, s26
	s_cbranch_vccnz .LBB15_336
; %bb.335:
	s_wait_xcnt 0x0
	v_cvt_i32_f32_e32 v1, v4
	global_store_b16 v[2:3], v1, off
.LBB15_336:
	s_mov_b32 s26, 0
.LBB15_337:
	s_delay_alu instid0(SALU_CYCLE_1)
	s_and_not1_b32 vcc_lo, exec_lo, s26
	s_cbranch_vccnz .LBB15_342
; %bb.338:
	s_cmp_gt_i32 s25, 0
	s_mov_b32 s25, -1
	s_cbranch_scc0 .LBB15_340
; %bb.339:
	s_wait_xcnt 0x0
	v_cvt_i32_f32_e32 v1, v4
	s_mov_b32 s25, 0
	global_store_b8 v[2:3], v1, off
.LBB15_340:
	s_and_not1_b32 vcc_lo, exec_lo, s25
	s_cbranch_vccnz .LBB15_342
; %bb.341:
	s_wait_xcnt 0x0
	v_trunc_f32_e32 v1, v4
	s_delay_alu instid0(VALU_DEP_1) | instskip(NEXT) | instid1(VALU_DEP_1)
	v_mul_f32_e64 v4, 0x2f800000, |v1|
	v_floor_f32_e32 v4, v4
	s_delay_alu instid0(VALU_DEP_1) | instskip(SKIP_1) | instid1(VALU_DEP_2)
	v_fma_f32 v4, 0xcf800000, v4, |v1|
	v_ashrrev_i32_e32 v1, 31, v1
	v_cvt_u32_f32_e32 v4, v4
	s_delay_alu instid0(VALU_DEP_1) | instskip(NEXT) | instid1(VALU_DEP_1)
	v_xor_b32_e32 v4, v4, v1
	v_sub_nc_u32_e32 v1, v4, v1
	global_store_b8 v[2:3], v1, off
.LBB15_342:
	s_branch .LBB15_431
.LBB15_343:
	s_mov_b32 s25, 0
	s_branch .LBB15_543
.LBB15_344:
	s_mov_b32 s26, -1
	s_mov_b32 s25, 0
	s_mov_b32 s24, s41
                                        ; implicit-def: $vgpr1
	s_branch .LBB15_458
.LBB15_345:
	s_mov_b32 s26, -1
	s_mov_b32 s25, 0
	s_mov_b32 s24, s41
                                        ; implicit-def: $vgpr1
	s_branch .LBB15_439
.LBB15_346:
	s_mov_b32 s28, -1
	s_mov_b32 s0, s40
	s_branch .LBB15_388
.LBB15_347:
	s_mov_b32 s26, -1
	s_mov_b32 s25, 0
	s_mov_b32 s24, s41
                                        ; implicit-def: $vgpr1
	s_branch .LBB15_434
.LBB15_348:
	s_mov_b32 s28, -1
	s_mov_b32 s0, s40
	s_branch .LBB15_371
.LBB15_349:
	s_and_not1_saveexec_b32 s29, s29
	s_cbranch_execz .LBB15_106
.LBB15_350:
	v_add_f32_e64 v1, 0x46000000, |v4|
	s_and_not1_b32 s28, s28, exec_lo
	s_delay_alu instid0(VALU_DEP_1) | instskip(NEXT) | instid1(VALU_DEP_1)
	v_and_b32_e32 v1, 0xff, v1
	v_cmp_ne_u32_e32 vcc_lo, 0, v1
	s_and_b32 s40, vcc_lo, exec_lo
	s_delay_alu instid0(SALU_CYCLE_1)
	s_or_b32 s28, s28, s40
	s_or_b32 exec_lo, exec_lo, s29
	v_mov_b32_e32 v5, 0
	s_and_saveexec_b32 s29, s28
	s_cbranch_execnz .LBB15_107
	s_branch .LBB15_108
.LBB15_351:
	s_mov_b32 s26, -1
	s_mov_b32 s25, 0
	s_mov_b32 s24, s41
	s_branch .LBB15_356
.LBB15_352:
	s_mov_b32 s28, -1
	s_mov_b32 s0, s40
	s_branch .LBB15_367
.LBB15_353:
	s_and_not1_saveexec_b32 s29, s29
	s_cbranch_execz .LBB15_119
.LBB15_354:
	v_add_f32_e64 v1, 0x42800000, |v4|
	s_and_not1_b32 s28, s28, exec_lo
	s_delay_alu instid0(VALU_DEP_1) | instskip(NEXT) | instid1(VALU_DEP_1)
	v_and_b32_e32 v1, 0xff, v1
	v_cmp_ne_u32_e32 vcc_lo, 0, v1
	s_and_b32 s40, vcc_lo, exec_lo
	s_delay_alu instid0(SALU_CYCLE_1)
	s_or_b32 s28, s28, s40
	s_or_b32 exec_lo, exec_lo, s29
	v_mov_b32_e32 v5, 0
	s_and_saveexec_b32 s29, s28
	s_cbranch_execnz .LBB15_120
	s_branch .LBB15_121
.LBB15_355:
	s_mov_b32 s24, -1
	s_mov_b32 s25, 0
.LBB15_356:
                                        ; implicit-def: $vgpr1
.LBB15_357:
	s_and_b32 vcc_lo, exec_lo, s26
	s_cbranch_vccz .LBB15_433
; %bb.358:
	s_cmp_eq_u32 s0, 44
	s_cbranch_scc0 .LBB15_432
; %bb.359:
	s_wait_loadcnt 0x0
	global_load_u8 v1, v[4:5], off
	s_mov_b32 s24, 0
	s_mov_b32 s25, -1
	s_wait_loadcnt 0x0
	v_lshlrev_b32_e32 v3, 23, v1
	v_cmp_ne_u32_e32 vcc_lo, 0xff, v1
	s_delay_alu instid0(VALU_DEP_2) | instskip(SKIP_1) | instid1(VALU_DEP_2)
	v_cndmask_b32_e32 v3, 0x7f800001, v3, vcc_lo
	v_cmp_ne_u32_e32 vcc_lo, 0, v1
	v_cndmask_b32_e32 v1, 0x400000, v3, vcc_lo
	s_branch .LBB15_433
.LBB15_360:
	s_mov_b32 s28, -1
	s_mov_b32 s0, s40
.LBB15_361:
	s_and_b32 vcc_lo, exec_lo, s28
	s_cbranch_vccz .LBB15_366
; %bb.362:
	s_cmp_eq_u32 s26, 44
	s_mov_b32 s0, -1
	s_cbranch_scc0 .LBB15_366
; %bb.363:
	v_bfe_u32 v5, v4, 23, 8
	s_wait_xcnt 0x0
	v_mov_b32_e32 v1, 0xff
	s_mov_b32 s27, exec_lo
	s_delay_alu instid0(VALU_DEP_2)
	v_cmpx_ne_u32_e32 0xff, v5
	s_cbranch_execz .LBB15_365
; %bb.364:
	v_and_b32_e32 v1, 0x400000, v4
	v_and_or_b32 v5, 0x3fffff, v4, v5
	s_delay_alu instid0(VALU_DEP_2) | instskip(NEXT) | instid1(VALU_DEP_2)
	v_cmp_ne_u32_e32 vcc_lo, 0, v1
	v_cmp_ne_u32_e64 s0, 0, v5
	v_lshrrev_b32_e32 v1, 23, v4
	s_and_b32 s0, vcc_lo, s0
	s_delay_alu instid0(SALU_CYCLE_1) | instskip(NEXT) | instid1(VALU_DEP_1)
	v_cndmask_b32_e64 v5, 0, 1, s0
	v_add_nc_u32_e32 v1, v1, v5
.LBB15_365:
	s_or_b32 exec_lo, exec_lo, s27
	s_mov_b32 s27, -1
	s_mov_b32 s0, 0
	global_store_b8 v[2:3], v1, off
.LBB15_366:
	s_mov_b32 s28, 0
.LBB15_367:
	s_delay_alu instid0(SALU_CYCLE_1)
	s_and_b32 vcc_lo, exec_lo, s28
	s_cbranch_vccz .LBB15_370
; %bb.368:
	s_cmp_eq_u32 s26, 29
	s_mov_b32 s0, -1
	s_cbranch_scc0 .LBB15_370
; %bb.369:
	s_wait_xcnt 0x0
	v_trunc_f32_e32 v1, v4
	s_mov_b32 s27, -1
	s_mov_b32 s0, 0
	s_mov_b32 s28, 0
	s_delay_alu instid0(VALU_DEP_1) | instskip(NEXT) | instid1(VALU_DEP_1)
	v_mul_f32_e32 v5, 0x2f800000, v1
	v_floor_f32_e32 v5, v5
	s_delay_alu instid0(VALU_DEP_1) | instskip(SKIP_1) | instid1(VALU_DEP_2)
	v_fmamk_f32 v1, v5, 0xcf800000, v1
	v_cvt_u32_f32_e32 v7, v5
	v_cvt_u32_f32_e32 v6, v1
	global_store_b64 v[2:3], v[6:7], off
	s_branch .LBB15_371
.LBB15_370:
	s_mov_b32 s28, 0
.LBB15_371:
	s_delay_alu instid0(SALU_CYCLE_1)
	s_and_b32 vcc_lo, exec_lo, s28
	s_cbranch_vccz .LBB15_387
; %bb.372:
	s_cmp_lt_i32 s26, 27
	s_mov_b32 s27, -1
	s_cbranch_scc1 .LBB15_378
; %bb.373:
	s_wait_xcnt 0x0
	v_cvt_u32_f32_e32 v1, v4
	s_cmp_gt_i32 s26, 27
	s_cbranch_scc0 .LBB15_375
; %bb.374:
	s_mov_b32 s27, 0
	global_store_b32 v[2:3], v1, off
.LBB15_375:
	s_and_not1_b32 vcc_lo, exec_lo, s27
	s_cbranch_vccnz .LBB15_377
; %bb.376:
	global_store_b16 v[2:3], v1, off
.LBB15_377:
	s_mov_b32 s27, 0
.LBB15_378:
	s_delay_alu instid0(SALU_CYCLE_1)
	s_and_not1_b32 vcc_lo, exec_lo, s27
	s_cbranch_vccnz .LBB15_386
; %bb.379:
	s_wait_xcnt 0x0
	v_and_b32_e32 v1, 0x7fffffff, v4
	v_mov_b32_e32 v5, 0x80
	s_mov_b32 s27, exec_lo
	s_delay_alu instid0(VALU_DEP_2)
	v_cmpx_gt_u32_e32 0x43800000, v1
	s_cbranch_execz .LBB15_385
; %bb.380:
	v_cmp_lt_u32_e32 vcc_lo, 0x3bffffff, v1
	s_mov_b32 s28, 0
                                        ; implicit-def: $vgpr1
	s_and_saveexec_b32 s29, vcc_lo
	s_delay_alu instid0(SALU_CYCLE_1)
	s_xor_b32 s29, exec_lo, s29
	s_cbranch_execz .LBB15_575
; %bb.381:
	v_bfe_u32 v1, v4, 20, 1
	s_mov_b32 s28, exec_lo
	s_delay_alu instid0(VALU_DEP_1) | instskip(NEXT) | instid1(VALU_DEP_1)
	v_add3_u32 v1, v4, v1, 0x487ffff
	v_lshrrev_b32_e32 v1, 20, v1
	s_and_not1_saveexec_b32 s29, s29
	s_cbranch_execnz .LBB15_576
.LBB15_382:
	s_or_b32 exec_lo, exec_lo, s29
	v_mov_b32_e32 v5, 0
	s_and_saveexec_b32 s29, s28
.LBB15_383:
	v_lshrrev_b32_e32 v5, 24, v4
	s_delay_alu instid0(VALU_DEP_1)
	v_and_or_b32 v5, 0x80, v5, v1
.LBB15_384:
	s_or_b32 exec_lo, exec_lo, s29
.LBB15_385:
	s_delay_alu instid0(SALU_CYCLE_1)
	s_or_b32 exec_lo, exec_lo, s27
	global_store_b8 v[2:3], v5, off
.LBB15_386:
	s_mov_b32 s27, -1
.LBB15_387:
	s_mov_b32 s28, 0
.LBB15_388:
	s_delay_alu instid0(SALU_CYCLE_1)
	s_and_b32 vcc_lo, exec_lo, s28
	s_cbranch_vccz .LBB15_429
; %bb.389:
	s_cmp_gt_i32 s26, 22
	s_mov_b32 s28, -1
	s_cbranch_scc0 .LBB15_421
; %bb.390:
	s_cmp_lt_i32 s26, 24
	s_mov_b32 s27, -1
	s_cbranch_scc1 .LBB15_410
; %bb.391:
	s_cmp_gt_i32 s26, 24
	s_cbranch_scc0 .LBB15_399
; %bb.392:
	s_wait_xcnt 0x0
	v_and_b32_e32 v1, 0x7fffffff, v4
	v_mov_b32_e32 v5, 0x80
	s_mov_b32 s27, exec_lo
	s_delay_alu instid0(VALU_DEP_2)
	v_cmpx_gt_u32_e32 0x47800000, v1
	s_cbranch_execz .LBB15_398
; %bb.393:
	v_cmp_lt_u32_e32 vcc_lo, 0x37ffffff, v1
	s_mov_b32 s28, 0
                                        ; implicit-def: $vgpr1
	s_and_saveexec_b32 s29, vcc_lo
	s_delay_alu instid0(SALU_CYCLE_1)
	s_xor_b32 s29, exec_lo, s29
	s_cbranch_execz .LBB15_578
; %bb.394:
	v_bfe_u32 v1, v4, 21, 1
	s_mov_b32 s28, exec_lo
	s_delay_alu instid0(VALU_DEP_1) | instskip(NEXT) | instid1(VALU_DEP_1)
	v_add3_u32 v1, v4, v1, 0x88fffff
	v_lshrrev_b32_e32 v1, 21, v1
	s_and_not1_saveexec_b32 s29, s29
	s_cbranch_execnz .LBB15_579
.LBB15_395:
	s_or_b32 exec_lo, exec_lo, s29
	v_mov_b32_e32 v5, 0
	s_and_saveexec_b32 s29, s28
.LBB15_396:
	v_lshrrev_b32_e32 v5, 24, v4
	s_delay_alu instid0(VALU_DEP_1)
	v_and_or_b32 v5, 0x80, v5, v1
.LBB15_397:
	s_or_b32 exec_lo, exec_lo, s29
.LBB15_398:
	s_delay_alu instid0(SALU_CYCLE_1)
	s_or_b32 exec_lo, exec_lo, s27
	s_mov_b32 s27, 0
	global_store_b8 v[2:3], v5, off
.LBB15_399:
	s_and_b32 vcc_lo, exec_lo, s27
	s_cbranch_vccz .LBB15_409
; %bb.400:
	s_wait_xcnt 0x0
	v_and_b32_e32 v5, 0x7fffffff, v4
	s_mov_b32 s27, exec_lo
                                        ; implicit-def: $vgpr1
	s_delay_alu instid0(VALU_DEP_1)
	v_cmpx_gt_u32_e32 0x43f00000, v5
	s_xor_b32 s27, exec_lo, s27
	s_cbranch_execz .LBB15_406
; %bb.401:
	s_mov_b32 s28, exec_lo
                                        ; implicit-def: $vgpr1
	v_cmpx_lt_u32_e32 0x3c7fffff, v5
	s_xor_b32 s28, exec_lo, s28
; %bb.402:
	v_bfe_u32 v1, v4, 20, 1
	s_delay_alu instid0(VALU_DEP_1) | instskip(NEXT) | instid1(VALU_DEP_1)
	v_add3_u32 v1, v4, v1, 0x407ffff
	v_and_b32_e32 v5, 0xff00000, v1
	v_lshrrev_b32_e32 v1, 20, v1
	s_delay_alu instid0(VALU_DEP_2) | instskip(NEXT) | instid1(VALU_DEP_2)
	v_cmp_ne_u32_e32 vcc_lo, 0x7f00000, v5
	v_cndmask_b32_e32 v1, 0x7e, v1, vcc_lo
; %bb.403:
	s_and_not1_saveexec_b32 s28, s28
; %bb.404:
	v_add_f32_e64 v1, 0x46800000, |v4|
; %bb.405:
	s_or_b32 exec_lo, exec_lo, s28
                                        ; implicit-def: $vgpr5
.LBB15_406:
	s_and_not1_saveexec_b32 s27, s27
; %bb.407:
	v_mov_b32_e32 v1, 0x7f
	v_cmp_lt_u32_e32 vcc_lo, 0x7f800000, v5
	s_delay_alu instid0(VALU_DEP_2)
	v_cndmask_b32_e32 v1, 0x7e, v1, vcc_lo
; %bb.408:
	s_or_b32 exec_lo, exec_lo, s27
	v_lshrrev_b32_e32 v5, 24, v4
	s_delay_alu instid0(VALU_DEP_1)
	v_and_or_b32 v1, 0x80, v5, v1
	global_store_b8 v[2:3], v1, off
.LBB15_409:
	s_mov_b32 s27, 0
.LBB15_410:
	s_delay_alu instid0(SALU_CYCLE_1)
	s_and_not1_b32 vcc_lo, exec_lo, s27
	s_cbranch_vccnz .LBB15_420
; %bb.411:
	s_wait_xcnt 0x0
	v_and_b32_e32 v5, 0x7fffffff, v4
	s_mov_b32 s27, exec_lo
                                        ; implicit-def: $vgpr1
	s_delay_alu instid0(VALU_DEP_1)
	v_cmpx_gt_u32_e32 0x47800000, v5
	s_xor_b32 s27, exec_lo, s27
	s_cbranch_execz .LBB15_417
; %bb.412:
	s_mov_b32 s28, exec_lo
                                        ; implicit-def: $vgpr1
	v_cmpx_lt_u32_e32 0x387fffff, v5
	s_xor_b32 s28, exec_lo, s28
; %bb.413:
	v_bfe_u32 v1, v4, 21, 1
	s_delay_alu instid0(VALU_DEP_1) | instskip(NEXT) | instid1(VALU_DEP_1)
	v_add3_u32 v1, v4, v1, 0x80fffff
	v_lshrrev_b32_e32 v1, 21, v1
; %bb.414:
	s_and_not1_saveexec_b32 s28, s28
; %bb.415:
	v_add_f32_e64 v1, 0x43000000, |v4|
; %bb.416:
	s_or_b32 exec_lo, exec_lo, s28
                                        ; implicit-def: $vgpr5
.LBB15_417:
	s_and_not1_saveexec_b32 s27, s27
; %bb.418:
	v_mov_b32_e32 v1, 0x7f
	v_cmp_lt_u32_e32 vcc_lo, 0x7f800000, v5
	s_delay_alu instid0(VALU_DEP_2)
	v_cndmask_b32_e32 v1, 0x7c, v1, vcc_lo
; %bb.419:
	s_or_b32 exec_lo, exec_lo, s27
	v_lshrrev_b32_e32 v5, 24, v4
	s_delay_alu instid0(VALU_DEP_1)
	v_and_or_b32 v1, 0x80, v5, v1
	global_store_b8 v[2:3], v1, off
.LBB15_420:
	s_mov_b32 s28, 0
	s_mov_b32 s27, -1
.LBB15_421:
	s_and_not1_b32 vcc_lo, exec_lo, s28
	s_cbranch_vccnz .LBB15_429
; %bb.422:
	s_cmp_gt_i32 s26, 14
	s_mov_b32 s28, -1
	s_cbranch_scc0 .LBB15_426
; %bb.423:
	s_cmp_eq_u32 s26, 15
	s_mov_b32 s0, -1
	s_cbranch_scc0 .LBB15_425
; %bb.424:
	s_wait_xcnt 0x0
	v_bfe_u32 v1, v4, 16, 1
	v_cmp_o_f32_e32 vcc_lo, v4, v4
	s_mov_b32 s27, -1
	s_mov_b32 s0, 0
	s_delay_alu instid0(VALU_DEP_2) | instskip(NEXT) | instid1(VALU_DEP_1)
	v_add3_u32 v1, v4, v1, 0x7fff
	v_lshrrev_b32_e32 v1, 16, v1
	s_delay_alu instid0(VALU_DEP_1)
	v_cndmask_b32_e32 v1, 0x7fc0, v1, vcc_lo
	global_store_b16 v[2:3], v1, off
.LBB15_425:
	s_mov_b32 s28, 0
.LBB15_426:
	s_delay_alu instid0(SALU_CYCLE_1)
	s_and_b32 vcc_lo, exec_lo, s28
	s_cbranch_vccz .LBB15_429
; %bb.427:
	s_cmp_eq_u32 s26, 11
	s_mov_b32 s0, -1
	s_cbranch_scc0 .LBB15_429
; %bb.428:
	v_cmp_neq_f32_e32 vcc_lo, 0, v4
	s_mov_b32 s0, 0
	s_mov_b32 s27, -1
	s_wait_xcnt 0x0
	v_cndmask_b32_e64 v1, 0, 1, vcc_lo
	global_store_b8 v[2:3], v1, off
.LBB15_429:
.LBB15_430:
	s_and_not1_b32 vcc_lo, exec_lo, s27
	s_cbranch_vccnz .LBB15_343
.LBB15_431:
	v_add_nc_u32_e32 v0, 0x80, v0
	s_mov_b32 s25, -1
	s_branch .LBB15_544
.LBB15_432:
	s_mov_b32 s24, -1
                                        ; implicit-def: $vgpr1
.LBB15_433:
	s_mov_b32 s26, 0
.LBB15_434:
	s_delay_alu instid0(SALU_CYCLE_1)
	s_and_b32 vcc_lo, exec_lo, s26
	s_cbranch_vccz .LBB15_438
; %bb.435:
	s_cmp_eq_u32 s0, 29
	s_cbranch_scc0 .LBB15_437
; %bb.436:
	global_load_b64 v[6:7], v[4:5], off
	s_mov_b32 s25, -1
	s_mov_b32 s24, 0
	s_mov_b32 s26, 0
	s_wait_loadcnt 0x0
	v_clz_i32_u32_e32 v1, v7
	s_delay_alu instid0(VALU_DEP_1) | instskip(NEXT) | instid1(VALU_DEP_1)
	v_min_u32_e32 v1, 32, v1
	v_lshlrev_b64_e32 v[6:7], v1, v[6:7]
	v_sub_nc_u32_e32 v1, 32, v1
	s_delay_alu instid0(VALU_DEP_2) | instskip(NEXT) | instid1(VALU_DEP_1)
	v_min_u32_e32 v3, 1, v6
	v_or_b32_e32 v3, v7, v3
	s_delay_alu instid0(VALU_DEP_1) | instskip(NEXT) | instid1(VALU_DEP_1)
	v_cvt_f32_u32_e32 v3, v3
	v_ldexp_f32 v1, v3, v1
	s_branch .LBB15_439
.LBB15_437:
	s_mov_b32 s24, -1
                                        ; implicit-def: $vgpr1
.LBB15_438:
	s_mov_b32 s26, 0
.LBB15_439:
	s_delay_alu instid0(SALU_CYCLE_1)
	s_and_b32 vcc_lo, exec_lo, s26
	s_cbranch_vccz .LBB15_457
; %bb.440:
	s_cmp_lt_i32 s0, 27
	s_cbranch_scc1 .LBB15_443
; %bb.441:
	s_cmp_gt_i32 s0, 27
	s_cbranch_scc0 .LBB15_444
; %bb.442:
	s_wait_loadcnt 0x0
	global_load_b32 v1, v[4:5], off
	s_mov_b32 s25, 0
	s_wait_loadcnt 0x0
	v_cvt_f32_u32_e32 v1, v1
	s_branch .LBB15_445
.LBB15_443:
	s_mov_b32 s25, -1
                                        ; implicit-def: $vgpr1
	s_branch .LBB15_448
.LBB15_444:
	s_mov_b32 s25, -1
                                        ; implicit-def: $vgpr1
.LBB15_445:
	s_delay_alu instid0(SALU_CYCLE_1)
	s_and_not1_b32 vcc_lo, exec_lo, s25
	s_cbranch_vccnz .LBB15_447
; %bb.446:
	s_wait_loadcnt 0x0
	global_load_u16 v1, v[4:5], off
	s_wait_loadcnt 0x0
	v_cvt_f32_u32_e32 v1, v1
.LBB15_447:
	s_mov_b32 s25, 0
.LBB15_448:
	s_delay_alu instid0(SALU_CYCLE_1)
	s_and_not1_b32 vcc_lo, exec_lo, s25
	s_cbranch_vccnz .LBB15_456
; %bb.449:
	global_load_u8 v3, v[4:5], off
	s_mov_b32 s25, 0
	s_mov_b32 s26, exec_lo
	s_wait_loadcnt 0x0
	v_cmpx_lt_i16_e32 0x7f, v3
	s_xor_b32 s26, exec_lo, s26
	s_cbranch_execz .LBB15_470
; %bb.450:
	s_mov_b32 s25, -1
	s_mov_b32 s27, exec_lo
	v_cmpx_eq_u16_e32 0x80, v3
; %bb.451:
	s_xor_b32 s25, exec_lo, -1
; %bb.452:
	s_or_b32 exec_lo, exec_lo, s27
	s_delay_alu instid0(SALU_CYCLE_1)
	s_and_b32 s25, s25, exec_lo
	s_or_saveexec_b32 s26, s26
	v_mov_b32_e32 v1, 0x7f800001
	s_xor_b32 exec_lo, exec_lo, s26
	s_cbranch_execnz .LBB15_471
.LBB15_453:
	s_or_b32 exec_lo, exec_lo, s26
	s_and_saveexec_b32 s26, s25
	s_cbranch_execz .LBB15_455
.LBB15_454:
	v_and_b32_e32 v1, 0xffff, v3
	s_delay_alu instid0(VALU_DEP_1) | instskip(SKIP_1) | instid1(VALU_DEP_2)
	v_and_b32_e32 v6, 7, v1
	v_bfe_u32 v9, v1, 3, 4
	v_clz_i32_u32_e32 v7, v6
	s_delay_alu instid0(VALU_DEP_2) | instskip(NEXT) | instid1(VALU_DEP_2)
	v_cmp_eq_u32_e32 vcc_lo, 0, v9
	v_min_u32_e32 v7, 32, v7
	s_delay_alu instid0(VALU_DEP_1) | instskip(NEXT) | instid1(VALU_DEP_1)
	v_subrev_nc_u32_e32 v8, 28, v7
	v_dual_lshlrev_b32 v1, v8, v1 :: v_dual_sub_nc_u32 v7, 29, v7
	s_delay_alu instid0(VALU_DEP_1) | instskip(NEXT) | instid1(VALU_DEP_1)
	v_dual_lshlrev_b32 v3, 24, v3 :: v_dual_bitop2_b32 v1, 7, v1 bitop3:0x40
	v_dual_cndmask_b32 v1, v6, v1, vcc_lo :: v_dual_cndmask_b32 v7, v9, v7, vcc_lo
	s_delay_alu instid0(VALU_DEP_2) | instskip(NEXT) | instid1(VALU_DEP_2)
	v_and_b32_e32 v3, 0x80000000, v3
	v_lshlrev_b32_e32 v1, 20, v1
	s_delay_alu instid0(VALU_DEP_3) | instskip(NEXT) | instid1(VALU_DEP_1)
	v_lshl_add_u32 v6, v7, 23, 0x3b800000
	v_or3_b32 v1, v3, v6, v1
.LBB15_455:
	s_or_b32 exec_lo, exec_lo, s26
.LBB15_456:
	s_mov_b32 s25, -1
.LBB15_457:
	s_mov_b32 s26, 0
.LBB15_458:
	s_delay_alu instid0(SALU_CYCLE_1)
	s_and_b32 vcc_lo, exec_lo, s26
	s_cbranch_vccz .LBB15_493
; %bb.459:
	s_cmp_gt_i32 s0, 22
	s_cbranch_scc0 .LBB15_469
; %bb.460:
	s_cmp_lt_i32 s0, 24
	s_cbranch_scc1 .LBB15_472
; %bb.461:
	s_cmp_gt_i32 s0, 24
	s_cbranch_scc0 .LBB15_473
; %bb.462:
	global_load_u8 v3, v[4:5], off
	s_mov_b32 s25, 0
	s_mov_b32 s26, exec_lo
	s_wait_loadcnt 0x0
	v_cmpx_lt_i16_e32 0x7f, v3
	s_xor_b32 s26, exec_lo, s26
	s_cbranch_execz .LBB15_485
; %bb.463:
	s_mov_b32 s25, -1
	s_mov_b32 s27, exec_lo
	v_cmpx_eq_u16_e32 0x80, v3
; %bb.464:
	s_xor_b32 s25, exec_lo, -1
; %bb.465:
	s_or_b32 exec_lo, exec_lo, s27
	s_delay_alu instid0(SALU_CYCLE_1)
	s_and_b32 s25, s25, exec_lo
	s_or_saveexec_b32 s26, s26
	v_mov_b32_e32 v1, 0x7f800001
	s_xor_b32 exec_lo, exec_lo, s26
	s_cbranch_execnz .LBB15_486
.LBB15_466:
	s_or_b32 exec_lo, exec_lo, s26
	s_and_saveexec_b32 s26, s25
	s_cbranch_execz .LBB15_468
.LBB15_467:
	v_and_b32_e32 v1, 0xffff, v3
	s_delay_alu instid0(VALU_DEP_1) | instskip(SKIP_1) | instid1(VALU_DEP_2)
	v_and_b32_e32 v6, 3, v1
	v_bfe_u32 v9, v1, 2, 5
	v_clz_i32_u32_e32 v7, v6
	s_delay_alu instid0(VALU_DEP_2) | instskip(NEXT) | instid1(VALU_DEP_2)
	v_cmp_eq_u32_e32 vcc_lo, 0, v9
	v_min_u32_e32 v7, 32, v7
	s_delay_alu instid0(VALU_DEP_1) | instskip(NEXT) | instid1(VALU_DEP_1)
	v_subrev_nc_u32_e32 v8, 29, v7
	v_dual_lshlrev_b32 v1, v8, v1 :: v_dual_sub_nc_u32 v7, 30, v7
	s_delay_alu instid0(VALU_DEP_1) | instskip(NEXT) | instid1(VALU_DEP_1)
	v_dual_lshlrev_b32 v3, 24, v3 :: v_dual_bitop2_b32 v1, 3, v1 bitop3:0x40
	v_dual_cndmask_b32 v1, v6, v1, vcc_lo :: v_dual_cndmask_b32 v7, v9, v7, vcc_lo
	s_delay_alu instid0(VALU_DEP_2) | instskip(NEXT) | instid1(VALU_DEP_2)
	v_and_b32_e32 v3, 0x80000000, v3
	v_lshlrev_b32_e32 v1, 21, v1
	s_delay_alu instid0(VALU_DEP_3) | instskip(NEXT) | instid1(VALU_DEP_1)
	v_lshl_add_u32 v6, v7, 23, 0x37800000
	v_or3_b32 v1, v3, v6, v1
.LBB15_468:
	s_or_b32 exec_lo, exec_lo, s26
	s_mov_b32 s25, 0
	s_branch .LBB15_474
.LBB15_469:
	s_mov_b32 s26, -1
                                        ; implicit-def: $vgpr1
	s_branch .LBB15_480
.LBB15_470:
	s_or_saveexec_b32 s26, s26
	v_mov_b32_e32 v1, 0x7f800001
	s_xor_b32 exec_lo, exec_lo, s26
	s_cbranch_execz .LBB15_453
.LBB15_471:
	v_cmp_ne_u16_e32 vcc_lo, 0, v3
	v_mov_b32_e32 v1, 0
	s_and_not1_b32 s25, s25, exec_lo
	s_and_b32 s27, vcc_lo, exec_lo
	s_delay_alu instid0(SALU_CYCLE_1)
	s_or_b32 s25, s25, s27
	s_or_b32 exec_lo, exec_lo, s26
	s_and_saveexec_b32 s26, s25
	s_cbranch_execnz .LBB15_454
	s_branch .LBB15_455
.LBB15_472:
	s_mov_b32 s25, -1
                                        ; implicit-def: $vgpr1
	s_branch .LBB15_477
.LBB15_473:
	s_mov_b32 s25, -1
                                        ; implicit-def: $vgpr1
.LBB15_474:
	s_delay_alu instid0(SALU_CYCLE_1)
	s_and_b32 vcc_lo, exec_lo, s25
	s_cbranch_vccz .LBB15_476
; %bb.475:
	s_wait_loadcnt 0x0
	global_load_u8 v1, v[4:5], off
	s_wait_loadcnt 0x0
	v_lshlrev_b32_e32 v1, 24, v1
	s_delay_alu instid0(VALU_DEP_1) | instskip(NEXT) | instid1(VALU_DEP_1)
	v_and_b32_e32 v3, 0x7f000000, v1
	v_clz_i32_u32_e32 v6, v3
	v_cmp_ne_u32_e32 vcc_lo, 0, v3
	v_add_nc_u32_e32 v8, 0x1000000, v3
	s_delay_alu instid0(VALU_DEP_3) | instskip(NEXT) | instid1(VALU_DEP_1)
	v_min_u32_e32 v6, 32, v6
	v_sub_nc_u32_e64 v6, v6, 4 clamp
	s_delay_alu instid0(VALU_DEP_1) | instskip(NEXT) | instid1(VALU_DEP_1)
	v_dual_lshlrev_b32 v7, v6, v3 :: v_dual_lshlrev_b32 v6, 23, v6
	v_lshrrev_b32_e32 v7, 4, v7
	s_delay_alu instid0(VALU_DEP_1) | instskip(NEXT) | instid1(VALU_DEP_1)
	v_dual_sub_nc_u32 v6, v7, v6 :: v_dual_ashrrev_i32 v7, 8, v8
	v_add_nc_u32_e32 v6, 0x3c000000, v6
	s_delay_alu instid0(VALU_DEP_1) | instskip(NEXT) | instid1(VALU_DEP_1)
	v_and_or_b32 v6, 0x7f800000, v7, v6
	v_cndmask_b32_e32 v3, 0, v6, vcc_lo
	s_delay_alu instid0(VALU_DEP_1)
	v_and_or_b32 v1, 0x80000000, v1, v3
.LBB15_476:
	s_mov_b32 s25, 0
.LBB15_477:
	s_delay_alu instid0(SALU_CYCLE_1)
	s_and_not1_b32 vcc_lo, exec_lo, s25
	s_cbranch_vccnz .LBB15_479
; %bb.478:
	s_wait_loadcnt 0x0
	global_load_u8 v1, v[4:5], off
	s_wait_loadcnt 0x0
	v_lshlrev_b32_e32 v3, 25, v1
	v_lshlrev_b16 v1, 8, v1
	s_delay_alu instid0(VALU_DEP_1) | instskip(SKIP_1) | instid1(VALU_DEP_2)
	v_and_or_b32 v7, 0x7f00, v1, 0.5
	v_bfe_i32 v1, v1, 0, 16
	v_add_f32_e32 v7, -0.5, v7
	v_lshrrev_b32_e32 v6, 4, v3
	v_cmp_gt_u32_e32 vcc_lo, 0x8000000, v3
	s_delay_alu instid0(VALU_DEP_2) | instskip(NEXT) | instid1(VALU_DEP_1)
	v_or_b32_e32 v6, 0x70000000, v6
	v_mul_f32_e32 v6, 0x7800000, v6
	s_delay_alu instid0(VALU_DEP_1) | instskip(NEXT) | instid1(VALU_DEP_1)
	v_cndmask_b32_e32 v3, v6, v7, vcc_lo
	v_and_or_b32 v1, 0x80000000, v1, v3
.LBB15_479:
	s_mov_b32 s26, 0
	s_mov_b32 s25, -1
.LBB15_480:
	s_and_not1_b32 vcc_lo, exec_lo, s26
	s_cbranch_vccnz .LBB15_493
; %bb.481:
	s_cmp_gt_i32 s0, 14
	s_cbranch_scc0 .LBB15_484
; %bb.482:
	s_cmp_eq_u32 s0, 15
	s_cbranch_scc0 .LBB15_487
; %bb.483:
	s_wait_loadcnt 0x0
	global_load_u16 v1, v[4:5], off
	s_mov_b32 s25, -1
	s_mov_b32 s24, 0
	s_wait_loadcnt 0x0
	v_lshlrev_b32_e32 v1, 16, v1
	s_branch .LBB15_488
.LBB15_484:
	s_mov_b32 s26, -1
                                        ; implicit-def: $vgpr1
	s_branch .LBB15_489
.LBB15_485:
	s_or_saveexec_b32 s26, s26
	v_mov_b32_e32 v1, 0x7f800001
	s_xor_b32 exec_lo, exec_lo, s26
	s_cbranch_execz .LBB15_466
.LBB15_486:
	v_cmp_ne_u16_e32 vcc_lo, 0, v3
	v_mov_b32_e32 v1, 0
	s_and_not1_b32 s25, s25, exec_lo
	s_and_b32 s27, vcc_lo, exec_lo
	s_delay_alu instid0(SALU_CYCLE_1)
	s_or_b32 s25, s25, s27
	s_or_b32 exec_lo, exec_lo, s26
	s_and_saveexec_b32 s26, s25
	s_cbranch_execnz .LBB15_467
	s_branch .LBB15_468
.LBB15_487:
	s_mov_b32 s24, -1
                                        ; implicit-def: $vgpr1
.LBB15_488:
	s_mov_b32 s26, 0
.LBB15_489:
	s_delay_alu instid0(SALU_CYCLE_1)
	s_and_b32 vcc_lo, exec_lo, s26
	s_cbranch_vccz .LBB15_493
; %bb.490:
	s_cmp_eq_u32 s0, 11
	s_cbranch_scc0 .LBB15_492
; %bb.491:
	s_wait_loadcnt 0x0
	global_load_u8 v1, v[4:5], off
	s_mov_b32 s24, 0
	s_mov_b32 s25, -1
	s_wait_loadcnt 0x0
	v_cmp_ne_u16_e32 vcc_lo, 0, v1
	v_cndmask_b32_e64 v1, 0, 1.0, vcc_lo
	s_branch .LBB15_493
.LBB15_492:
	s_mov_b32 s24, -1
                                        ; implicit-def: $vgpr1
.LBB15_493:
	s_branch .LBB15_296
.LBB15_494:
	s_cmp_lt_i32 s0, 5
	s_cbranch_scc1 .LBB15_499
; %bb.495:
	s_cmp_lt_i32 s0, 8
	s_cbranch_scc1 .LBB15_500
; %bb.496:
	;; [unrolled: 3-line block ×3, first 2 shown]
	s_cmp_gt_i32 s0, 9
	s_cbranch_scc0 .LBB15_502
; %bb.498:
	global_load_b64 v[6:7], v[4:5], off
	s_mov_b32 s25, 0
	s_wait_loadcnt 0x0
	v_cvt_f32_f64_e32 v1, v[6:7]
	s_branch .LBB15_503
.LBB15_499:
	s_mov_b32 s25, -1
                                        ; implicit-def: $vgpr1
	s_branch .LBB15_521
.LBB15_500:
	s_mov_b32 s25, -1
                                        ; implicit-def: $vgpr1
	s_branch .LBB15_509
.LBB15_501:
	s_mov_b32 s25, -1
                                        ; implicit-def: $vgpr1
	s_branch .LBB15_506
.LBB15_502:
	s_mov_b32 s25, -1
                                        ; implicit-def: $vgpr1
.LBB15_503:
	s_delay_alu instid0(SALU_CYCLE_1)
	s_and_not1_b32 vcc_lo, exec_lo, s25
	s_cbranch_vccnz .LBB15_505
; %bb.504:
	s_wait_loadcnt 0x0
	global_load_b32 v1, v[4:5], off
.LBB15_505:
	s_mov_b32 s25, 0
.LBB15_506:
	s_delay_alu instid0(SALU_CYCLE_1)
	s_and_not1_b32 vcc_lo, exec_lo, s25
	s_cbranch_vccnz .LBB15_508
; %bb.507:
	s_wait_loadcnt 0x0
	global_load_b32 v1, v[4:5], off
	s_wait_loadcnt 0x0
	v_cvt_f32_f16_e32 v1, v1
.LBB15_508:
	s_mov_b32 s25, 0
.LBB15_509:
	s_delay_alu instid0(SALU_CYCLE_1)
	s_and_not1_b32 vcc_lo, exec_lo, s25
	s_cbranch_vccnz .LBB15_520
; %bb.510:
	s_cmp_lt_i32 s0, 6
	s_cbranch_scc1 .LBB15_513
; %bb.511:
	s_cmp_gt_i32 s0, 6
	s_cbranch_scc0 .LBB15_514
; %bb.512:
	global_load_b64 v[6:7], v[4:5], off
	s_mov_b32 s25, 0
	s_wait_loadcnt 0x0
	v_cvt_f32_f64_e32 v1, v[6:7]
	s_branch .LBB15_515
.LBB15_513:
	s_mov_b32 s25, -1
                                        ; implicit-def: $vgpr1
	s_branch .LBB15_518
.LBB15_514:
	s_mov_b32 s25, -1
                                        ; implicit-def: $vgpr1
.LBB15_515:
	s_delay_alu instid0(SALU_CYCLE_1)
	s_and_not1_b32 vcc_lo, exec_lo, s25
	s_cbranch_vccnz .LBB15_517
; %bb.516:
	s_wait_loadcnt 0x0
	global_load_b32 v1, v[4:5], off
.LBB15_517:
	s_mov_b32 s25, 0
.LBB15_518:
	s_delay_alu instid0(SALU_CYCLE_1)
	s_and_not1_b32 vcc_lo, exec_lo, s25
	s_cbranch_vccnz .LBB15_520
; %bb.519:
	s_wait_loadcnt 0x0
	global_load_u16 v1, v[4:5], off
	s_wait_loadcnt 0x0
	v_cvt_f32_f16_e32 v1, v1
.LBB15_520:
	s_mov_b32 s25, 0
.LBB15_521:
	s_delay_alu instid0(SALU_CYCLE_1)
	s_and_not1_b32 vcc_lo, exec_lo, s25
	s_cbranch_vccnz .LBB15_541
; %bb.522:
	s_cmp_lt_i32 s0, 2
	s_cbranch_scc1 .LBB15_526
; %bb.523:
	s_cmp_lt_i32 s0, 3
	s_cbranch_scc1 .LBB15_527
; %bb.524:
	s_cmp_gt_i32 s0, 3
	s_cbranch_scc0 .LBB15_528
; %bb.525:
	global_load_b64 v[6:7], v[4:5], off
	s_mov_b32 s25, 0
	s_wait_loadcnt 0x0
	v_xor_b32_e32 v1, v6, v7
	v_cls_i32_e32 v3, v7
	s_delay_alu instid0(VALU_DEP_2) | instskip(NEXT) | instid1(VALU_DEP_1)
	v_ashrrev_i32_e32 v1, 31, v1
	v_add_nc_u32_e32 v1, 32, v1
	s_delay_alu instid0(VALU_DEP_1) | instskip(NEXT) | instid1(VALU_DEP_1)
	v_add_min_u32_e64 v1, v3, -1, v1
	v_lshlrev_b64_e32 v[6:7], v1, v[6:7]
	v_sub_nc_u32_e32 v1, 32, v1
	s_delay_alu instid0(VALU_DEP_2) | instskip(NEXT) | instid1(VALU_DEP_1)
	v_min_u32_e32 v3, 1, v6
	v_or_b32_e32 v3, v7, v3
	s_delay_alu instid0(VALU_DEP_1) | instskip(NEXT) | instid1(VALU_DEP_1)
	v_cvt_f32_i32_e32 v3, v3
	v_ldexp_f32 v1, v3, v1
	s_branch .LBB15_529
.LBB15_526:
	s_mov_b32 s25, -1
                                        ; implicit-def: $vgpr1
	s_branch .LBB15_535
.LBB15_527:
	s_mov_b32 s25, -1
                                        ; implicit-def: $vgpr1
	s_branch .LBB15_532
.LBB15_528:
	s_mov_b32 s25, -1
                                        ; implicit-def: $vgpr1
.LBB15_529:
	s_delay_alu instid0(SALU_CYCLE_1)
	s_and_not1_b32 vcc_lo, exec_lo, s25
	s_cbranch_vccnz .LBB15_531
; %bb.530:
	s_wait_loadcnt 0x0
	global_load_b32 v1, v[4:5], off
	s_wait_loadcnt 0x0
	v_cvt_f32_i32_e32 v1, v1
.LBB15_531:
	s_mov_b32 s25, 0
.LBB15_532:
	s_delay_alu instid0(SALU_CYCLE_1)
	s_and_not1_b32 vcc_lo, exec_lo, s25
	s_cbranch_vccnz .LBB15_534
; %bb.533:
	s_wait_loadcnt 0x0
	global_load_i16 v1, v[4:5], off
	s_wait_loadcnt 0x0
	v_cvt_f32_i32_e32 v1, v1
.LBB15_534:
	s_mov_b32 s25, 0
.LBB15_535:
	s_delay_alu instid0(SALU_CYCLE_1)
	s_and_not1_b32 vcc_lo, exec_lo, s25
	s_cbranch_vccnz .LBB15_541
; %bb.536:
	s_cmp_gt_i32 s0, 0
	s_mov_b32 s0, 0
	s_cbranch_scc0 .LBB15_538
; %bb.537:
	s_wait_loadcnt 0x0
	global_load_i8 v1, v[4:5], off
	s_wait_loadcnt 0x0
	v_cvt_f32_i32_e32 v1, v1
	s_branch .LBB15_539
.LBB15_538:
	s_mov_b32 s0, -1
                                        ; implicit-def: $vgpr1
.LBB15_539:
	s_delay_alu instid0(SALU_CYCLE_1)
	s_and_not1_b32 vcc_lo, exec_lo, s0
	s_cbranch_vccnz .LBB15_541
; %bb.540:
	s_wait_loadcnt 0x0
	global_load_u8 v1, v[4:5], off
	s_wait_loadcnt 0x0
	v_cvt_f32_ubyte0_e32 v1, v1
.LBB15_541:
	s_branch .LBB15_297
.LBB15_542:
	s_mov_b32 s25, 0
	s_mov_b32 s0, s40
.LBB15_543:
                                        ; implicit-def: $vgpr0
.LBB15_544:
	s_and_not1_b32 s26, s40, exec_lo
	s_and_b32 s0, s0, exec_lo
	s_and_not1_b32 s27, s41, exec_lo
	s_and_b32 s24, s24, exec_lo
	s_or_b32 s44, s26, s0
	s_or_b32 s43, s27, s24
	s_or_not1_b32 s0, s25, exec_lo
.LBB15_545:
	s_wait_xcnt 0x0
	s_or_b32 exec_lo, exec_lo, s45
	s_mov_b32 s25, 0
	s_mov_b32 s24, 0
	;; [unrolled: 1-line block ×3, first 2 shown]
                                        ; implicit-def: $vgpr4_vgpr5
                                        ; implicit-def: $vgpr2
                                        ; implicit-def: $vgpr6
	s_and_saveexec_b32 s45, s0
	s_cbranch_execz .LBB15_925
; %bb.546:
	s_mov_b32 s27, -1
	s_mov_b32 s0, s43
	s_mov_b32 s28, s44
	s_mov_b32 s46, exec_lo
	v_cmpx_gt_i32_e64 s37, v0
	s_cbranch_execz .LBB15_822
; %bb.547:
	s_and_not1_b32 vcc_lo, exec_lo, s34
	s_cbranch_vccnz .LBB15_553
; %bb.548:
	s_and_not1_b32 vcc_lo, exec_lo, s39
	s_cbranch_vccnz .LBB15_554
; %bb.549:
	s_add_co_i32 s0, s38, 1
	s_cmp_eq_u32 s31, 2
	s_cbranch_scc1 .LBB15_555
; %bb.550:
	v_dual_mov_b32 v2, 0 :: v_dual_mov_b32 v4, 0
	s_wait_loadcnt 0x0
	v_mov_b32_e32 v1, v0
	s_and_b32 s24, s0, 28
	s_mov_b64 s[26:27], s[2:3]
	s_mov_b64 s[28:29], s[22:23]
.LBB15_551:                             ; =>This Inner Loop Header: Depth=1
	s_clause 0x1
	s_load_b256 s[48:55], s[26:27], 0x4
	s_load_b128 s[64:67], s[26:27], 0x24
	s_load_b256 s[56:63], s[28:29], 0x0
	s_add_co_i32 s25, s25, 4
	s_wait_xcnt 0x0
	s_add_nc_u64 s[26:27], s[26:27], 48
	s_cmp_eq_u32 s24, s25
	s_add_nc_u64 s[28:29], s[28:29], 32
	s_wait_kmcnt 0x0
	v_mul_hi_u32 v3, s49, v1
	s_delay_alu instid0(VALU_DEP_1) | instskip(NEXT) | instid1(VALU_DEP_1)
	v_add_nc_u32_e32 v3, v1, v3
	v_lshrrev_b32_e32 v3, s50, v3
	s_delay_alu instid0(VALU_DEP_1) | instskip(NEXT) | instid1(VALU_DEP_1)
	v_mul_hi_u32 v5, s52, v3
	v_add_nc_u32_e32 v5, v3, v5
	s_delay_alu instid0(VALU_DEP_1) | instskip(NEXT) | instid1(VALU_DEP_1)
	v_lshrrev_b32_e32 v5, s53, v5
	v_mul_hi_u32 v6, s55, v5
	s_delay_alu instid0(VALU_DEP_1) | instskip(SKIP_1) | instid1(VALU_DEP_1)
	v_add_nc_u32_e32 v6, v5, v6
	v_mul_lo_u32 v7, v3, s48
	v_sub_nc_u32_e32 v1, v1, v7
	v_mul_lo_u32 v7, v5, s51
	s_delay_alu instid0(VALU_DEP_4) | instskip(NEXT) | instid1(VALU_DEP_3)
	v_lshrrev_b32_e32 v6, s64, v6
	v_mad_u32 v4, v1, s57, v4
	v_mad_u32 v1, v1, s56, v2
	s_delay_alu instid0(VALU_DEP_4) | instskip(NEXT) | instid1(VALU_DEP_4)
	v_sub_nc_u32_e32 v2, v3, v7
	v_mul_hi_u32 v8, s66, v6
	v_mul_lo_u32 v3, v6, s54
	s_delay_alu instid0(VALU_DEP_3) | instskip(SKIP_1) | instid1(VALU_DEP_3)
	v_mad_u32 v4, v2, s59, v4
	v_mad_u32 v2, v2, s58, v1
	v_dual_add_nc_u32 v7, v6, v8 :: v_dual_sub_nc_u32 v3, v5, v3
	s_delay_alu instid0(VALU_DEP_1) | instskip(NEXT) | instid1(VALU_DEP_2)
	v_lshrrev_b32_e32 v1, s67, v7
	v_mad_u32 v4, v3, s61, v4
	s_delay_alu instid0(VALU_DEP_4) | instskip(NEXT) | instid1(VALU_DEP_3)
	v_mad_u32 v2, v3, s60, v2
	v_mul_lo_u32 v5, v1, s65
	s_delay_alu instid0(VALU_DEP_1) | instskip(NEXT) | instid1(VALU_DEP_1)
	v_sub_nc_u32_e32 v3, v6, v5
	v_mad_u32 v4, v3, s63, v4
	s_delay_alu instid0(VALU_DEP_4)
	v_mad_u32 v2, v3, s62, v2
	s_cbranch_scc0 .LBB15_551
; %bb.552:
	s_delay_alu instid0(VALU_DEP_2)
	v_mov_b32_e32 v3, v4
	s_branch .LBB15_556
.LBB15_553:
	s_mov_b32 s0, -1
                                        ; implicit-def: $vgpr4
                                        ; implicit-def: $vgpr2
	s_branch .LBB15_561
.LBB15_554:
	v_dual_mov_b32 v4, 0 :: v_dual_mov_b32 v2, 0
	s_branch .LBB15_560
.LBB15_555:
	v_mov_b64_e32 v[2:3], 0
	s_wait_loadcnt 0x0
	v_mov_b32_e32 v1, v0
                                        ; implicit-def: $vgpr4
.LBB15_556:
	s_and_b32 s0, s0, 3
	s_mov_b32 s25, 0
	s_cmp_eq_u32 s0, 0
	s_cbranch_scc1 .LBB15_560
; %bb.557:
	s_lshl_b32 s26, s24, 3
	s_mov_b32 s27, s25
	s_mul_u64 s[28:29], s[24:25], 12
	s_add_nc_u64 s[26:27], s[2:3], s[26:27]
	s_delay_alu instid0(SALU_CYCLE_1)
	s_add_nc_u64 s[24:25], s[26:27], 0xc4
	s_add_nc_u64 s[26:27], s[2:3], s[28:29]
.LBB15_558:                             ; =>This Inner Loop Header: Depth=1
	s_load_b96 s[48:50], s[26:27], 0x4
	s_load_b64 s[28:29], s[24:25], 0x0
	s_add_co_i32 s0, s0, -1
	s_wait_xcnt 0x0
	s_add_nc_u64 s[26:27], s[26:27], 12
	s_cmp_lg_u32 s0, 0
	s_add_nc_u64 s[24:25], s[24:25], 8
	s_wait_kmcnt 0x0
	v_mul_hi_u32 v4, s49, v1
	s_delay_alu instid0(VALU_DEP_1) | instskip(NEXT) | instid1(VALU_DEP_1)
	v_add_nc_u32_e32 v4, v1, v4
	v_lshrrev_b32_e32 v4, s50, v4
	s_delay_alu instid0(VALU_DEP_1) | instskip(NEXT) | instid1(VALU_DEP_1)
	v_mul_lo_u32 v5, v4, s48
	v_sub_nc_u32_e32 v1, v1, v5
	s_delay_alu instid0(VALU_DEP_1)
	v_mad_u32 v3, v1, s29, v3
	v_mad_u32 v2, v1, s28, v2
	v_mov_b32_e32 v1, v4
	s_cbranch_scc1 .LBB15_558
; %bb.559:
	s_delay_alu instid0(VALU_DEP_3)
	v_mov_b32_e32 v4, v3
.LBB15_560:
	s_mov_b32 s0, 0
.LBB15_561:
	s_delay_alu instid0(SALU_CYCLE_1)
	s_and_not1_b32 vcc_lo, exec_lo, s0
	s_cbranch_vccnz .LBB15_564
; %bb.562:
	s_wait_loadcnt 0x0
	v_mov_b32_e32 v1, 0
	s_and_not1_b32 vcc_lo, exec_lo, s36
	s_delay_alu instid0(VALU_DEP_1) | instskip(NEXT) | instid1(VALU_DEP_1)
	v_mul_u64_e32 v[2:3], s[18:19], v[0:1]
	v_add_nc_u32_e32 v2, v0, v3
	s_delay_alu instid0(VALU_DEP_1) | instskip(NEXT) | instid1(VALU_DEP_1)
	v_lshrrev_b32_e32 v6, s10, v2
	v_mul_lo_u32 v2, v6, s8
	s_delay_alu instid0(VALU_DEP_1) | instskip(NEXT) | instid1(VALU_DEP_1)
	v_sub_nc_u32_e32 v2, v0, v2
	v_mul_lo_u32 v4, v2, s13
	v_mul_lo_u32 v2, v2, s12
	s_cbranch_vccnz .LBB15_564
; %bb.563:
	v_mov_b32_e32 v7, v1
	s_delay_alu instid0(VALU_DEP_1) | instskip(NEXT) | instid1(VALU_DEP_1)
	v_mul_u64_e32 v[8:9], s[20:21], v[6:7]
	v_add_nc_u32_e32 v1, v6, v9
	s_delay_alu instid0(VALU_DEP_1) | instskip(NEXT) | instid1(VALU_DEP_1)
	v_lshrrev_b32_e32 v1, s1, v1
	v_mul_lo_u32 v1, v1, s11
	s_delay_alu instid0(VALU_DEP_1) | instskip(NEXT) | instid1(VALU_DEP_1)
	v_sub_nc_u32_e32 v1, v6, v1
	v_mad_u32 v2, v1, s14, v2
	v_mad_u32 v4, v1, s15, v4
.LBB15_564:
	v_mov_b32_e32 v5, 0
	s_and_b32 s0, 0xffff, s9
	s_delay_alu instid0(SALU_CYCLE_1) | instskip(NEXT) | instid1(VALU_DEP_1)
	s_cmp_lt_i32 s0, 11
	v_add_nc_u64_e32 v[4:5], s[6:7], v[4:5]
	s_cbranch_scc1 .LBB15_571
; %bb.565:
	s_cmp_gt_i32 s0, 25
	s_cbranch_scc0 .LBB15_572
; %bb.566:
	s_cmp_gt_i32 s0, 28
	s_cbranch_scc0 .LBB15_573
	;; [unrolled: 3-line block ×4, first 2 shown]
; %bb.569:
	s_cmp_eq_u32 s0, 46
	s_mov_b32 s26, 0
	s_cbranch_scc0 .LBB15_580
; %bb.570:
	s_wait_loadcnt 0x0
	global_load_b32 v1, v[4:5], off
	s_mov_b32 s25, -1
	s_mov_b32 s24, 0
	s_wait_loadcnt 0x0
	v_lshlrev_b32_e32 v1, 16, v1
	s_branch .LBB15_582
.LBB15_571:
	s_mov_b32 s26, -1
	s_mov_b32 s25, 0
	s_mov_b32 s24, s43
                                        ; implicit-def: $vgpr1
	s_branch .LBB15_647
.LBB15_572:
	s_mov_b32 s26, -1
	s_mov_b32 s25, 0
	s_mov_b32 s24, s43
                                        ; implicit-def: $vgpr1
	s_branch .LBB15_611
.LBB15_573:
	s_mov_b32 s26, -1
	s_mov_b32 s25, 0
	s_mov_b32 s24, s43
                                        ; implicit-def: $vgpr1
	s_branch .LBB15_592
.LBB15_574:
	s_mov_b32 s26, -1
	s_mov_b32 s25, 0
	s_mov_b32 s24, s43
                                        ; implicit-def: $vgpr1
	s_branch .LBB15_587
.LBB15_575:
	s_and_not1_saveexec_b32 s29, s29
	s_cbranch_execz .LBB15_382
.LBB15_576:
	v_add_f32_e64 v1, 0x46000000, |v4|
	s_and_not1_b32 s28, s28, exec_lo
	s_delay_alu instid0(VALU_DEP_1) | instskip(NEXT) | instid1(VALU_DEP_1)
	v_and_b32_e32 v1, 0xff, v1
	v_cmp_ne_u32_e32 vcc_lo, 0, v1
	s_and_b32 s43, vcc_lo, exec_lo
	s_delay_alu instid0(SALU_CYCLE_1)
	s_or_b32 s28, s28, s43
	s_or_b32 exec_lo, exec_lo, s29
	v_mov_b32_e32 v5, 0
	s_and_saveexec_b32 s29, s28
	s_cbranch_execnz .LBB15_383
	s_branch .LBB15_384
.LBB15_577:
	s_mov_b32 s26, -1
	s_mov_b32 s25, 0
	s_mov_b32 s24, s43
	s_branch .LBB15_581
.LBB15_578:
	s_and_not1_saveexec_b32 s29, s29
	s_cbranch_execz .LBB15_395
.LBB15_579:
	v_add_f32_e64 v1, 0x42800000, |v4|
	s_and_not1_b32 s28, s28, exec_lo
	s_delay_alu instid0(VALU_DEP_1) | instskip(NEXT) | instid1(VALU_DEP_1)
	v_and_b32_e32 v1, 0xff, v1
	v_cmp_ne_u32_e32 vcc_lo, 0, v1
	s_and_b32 s43, vcc_lo, exec_lo
	s_delay_alu instid0(SALU_CYCLE_1)
	s_or_b32 s28, s28, s43
	s_or_b32 exec_lo, exec_lo, s29
	v_mov_b32_e32 v5, 0
	s_and_saveexec_b32 s29, s28
	s_cbranch_execnz .LBB15_396
	s_branch .LBB15_397
.LBB15_580:
	s_mov_b32 s24, -1
	s_mov_b32 s25, 0
.LBB15_581:
                                        ; implicit-def: $vgpr1
.LBB15_582:
	s_and_b32 vcc_lo, exec_lo, s26
	s_cbranch_vccz .LBB15_586
; %bb.583:
	s_cmp_eq_u32 s0, 44
	s_cbranch_scc0 .LBB15_585
; %bb.584:
	s_wait_loadcnt 0x0
	global_load_u8 v1, v[4:5], off
	s_mov_b32 s24, 0
	s_mov_b32 s25, -1
	s_wait_loadcnt 0x0
	v_lshlrev_b32_e32 v3, 23, v1
	v_cmp_ne_u32_e32 vcc_lo, 0xff, v1
	s_delay_alu instid0(VALU_DEP_2) | instskip(SKIP_1) | instid1(VALU_DEP_2)
	v_cndmask_b32_e32 v3, 0x7f800001, v3, vcc_lo
	v_cmp_ne_u32_e32 vcc_lo, 0, v1
	v_cndmask_b32_e32 v1, 0x400000, v3, vcc_lo
	s_branch .LBB15_586
.LBB15_585:
	s_mov_b32 s24, -1
                                        ; implicit-def: $vgpr1
.LBB15_586:
	s_mov_b32 s26, 0
.LBB15_587:
	s_delay_alu instid0(SALU_CYCLE_1)
	s_and_b32 vcc_lo, exec_lo, s26
	s_cbranch_vccz .LBB15_591
; %bb.588:
	s_cmp_eq_u32 s0, 29
	s_cbranch_scc0 .LBB15_590
; %bb.589:
	global_load_b64 v[6:7], v[4:5], off
	s_mov_b32 s25, -1
	s_mov_b32 s24, 0
	s_mov_b32 s26, 0
	s_wait_loadcnt 0x0
	v_clz_i32_u32_e32 v1, v7
	s_delay_alu instid0(VALU_DEP_1) | instskip(NEXT) | instid1(VALU_DEP_1)
	v_min_u32_e32 v1, 32, v1
	v_lshlrev_b64_e32 v[6:7], v1, v[6:7]
	v_sub_nc_u32_e32 v1, 32, v1
	s_delay_alu instid0(VALU_DEP_2) | instskip(NEXT) | instid1(VALU_DEP_1)
	v_min_u32_e32 v3, 1, v6
	v_or_b32_e32 v3, v7, v3
	s_delay_alu instid0(VALU_DEP_1) | instskip(NEXT) | instid1(VALU_DEP_1)
	v_cvt_f32_u32_e32 v3, v3
	v_ldexp_f32 v1, v3, v1
	s_branch .LBB15_592
.LBB15_590:
	s_mov_b32 s24, -1
                                        ; implicit-def: $vgpr1
.LBB15_591:
	s_mov_b32 s26, 0
.LBB15_592:
	s_delay_alu instid0(SALU_CYCLE_1)
	s_and_b32 vcc_lo, exec_lo, s26
	s_cbranch_vccz .LBB15_610
; %bb.593:
	s_cmp_lt_i32 s0, 27
	s_cbranch_scc1 .LBB15_596
; %bb.594:
	s_cmp_gt_i32 s0, 27
	s_cbranch_scc0 .LBB15_597
; %bb.595:
	s_wait_loadcnt 0x0
	global_load_b32 v1, v[4:5], off
	s_mov_b32 s25, 0
	s_wait_loadcnt 0x0
	v_cvt_f32_u32_e32 v1, v1
	s_branch .LBB15_598
.LBB15_596:
	s_mov_b32 s25, -1
                                        ; implicit-def: $vgpr1
	s_branch .LBB15_601
.LBB15_597:
	s_mov_b32 s25, -1
                                        ; implicit-def: $vgpr1
.LBB15_598:
	s_delay_alu instid0(SALU_CYCLE_1)
	s_and_not1_b32 vcc_lo, exec_lo, s25
	s_cbranch_vccnz .LBB15_600
; %bb.599:
	s_wait_loadcnt 0x0
	global_load_u16 v1, v[4:5], off
	s_wait_loadcnt 0x0
	v_cvt_f32_u32_e32 v1, v1
.LBB15_600:
	s_mov_b32 s25, 0
.LBB15_601:
	s_delay_alu instid0(SALU_CYCLE_1)
	s_and_not1_b32 vcc_lo, exec_lo, s25
	s_cbranch_vccnz .LBB15_609
; %bb.602:
	global_load_u8 v3, v[4:5], off
	s_mov_b32 s25, 0
	s_mov_b32 s26, exec_lo
	s_wait_loadcnt 0x0
	v_cmpx_lt_i16_e32 0x7f, v3
	s_xor_b32 s26, exec_lo, s26
	s_cbranch_execz .LBB15_623
; %bb.603:
	s_mov_b32 s25, -1
	s_mov_b32 s27, exec_lo
	v_cmpx_eq_u16_e32 0x80, v3
; %bb.604:
	s_xor_b32 s25, exec_lo, -1
; %bb.605:
	s_or_b32 exec_lo, exec_lo, s27
	s_delay_alu instid0(SALU_CYCLE_1)
	s_and_b32 s25, s25, exec_lo
	s_or_saveexec_b32 s26, s26
	v_mov_b32_e32 v1, 0x7f800001
	s_xor_b32 exec_lo, exec_lo, s26
	s_cbranch_execnz .LBB15_624
.LBB15_606:
	s_or_b32 exec_lo, exec_lo, s26
	s_and_saveexec_b32 s26, s25
	s_cbranch_execz .LBB15_608
.LBB15_607:
	v_and_b32_e32 v1, 0xffff, v3
	s_delay_alu instid0(VALU_DEP_1) | instskip(SKIP_1) | instid1(VALU_DEP_2)
	v_and_b32_e32 v6, 7, v1
	v_bfe_u32 v9, v1, 3, 4
	v_clz_i32_u32_e32 v7, v6
	s_delay_alu instid0(VALU_DEP_2) | instskip(NEXT) | instid1(VALU_DEP_2)
	v_cmp_eq_u32_e32 vcc_lo, 0, v9
	v_min_u32_e32 v7, 32, v7
	s_delay_alu instid0(VALU_DEP_1) | instskip(NEXT) | instid1(VALU_DEP_1)
	v_subrev_nc_u32_e32 v8, 28, v7
	v_dual_lshlrev_b32 v1, v8, v1 :: v_dual_sub_nc_u32 v7, 29, v7
	s_delay_alu instid0(VALU_DEP_1) | instskip(NEXT) | instid1(VALU_DEP_1)
	v_dual_lshlrev_b32 v3, 24, v3 :: v_dual_bitop2_b32 v1, 7, v1 bitop3:0x40
	v_dual_cndmask_b32 v1, v6, v1, vcc_lo :: v_dual_cndmask_b32 v7, v9, v7, vcc_lo
	s_delay_alu instid0(VALU_DEP_2) | instskip(NEXT) | instid1(VALU_DEP_2)
	v_and_b32_e32 v3, 0x80000000, v3
	v_lshlrev_b32_e32 v1, 20, v1
	s_delay_alu instid0(VALU_DEP_3) | instskip(NEXT) | instid1(VALU_DEP_1)
	v_lshl_add_u32 v6, v7, 23, 0x3b800000
	v_or3_b32 v1, v3, v6, v1
.LBB15_608:
	s_or_b32 exec_lo, exec_lo, s26
.LBB15_609:
	s_mov_b32 s25, -1
.LBB15_610:
	s_mov_b32 s26, 0
.LBB15_611:
	s_delay_alu instid0(SALU_CYCLE_1)
	s_and_b32 vcc_lo, exec_lo, s26
	s_cbranch_vccz .LBB15_646
; %bb.612:
	s_cmp_gt_i32 s0, 22
	s_cbranch_scc0 .LBB15_622
; %bb.613:
	s_cmp_lt_i32 s0, 24
	s_cbranch_scc1 .LBB15_625
; %bb.614:
	s_cmp_gt_i32 s0, 24
	s_cbranch_scc0 .LBB15_626
; %bb.615:
	global_load_u8 v3, v[4:5], off
	s_mov_b32 s25, 0
	s_mov_b32 s26, exec_lo
	s_wait_loadcnt 0x0
	v_cmpx_lt_i16_e32 0x7f, v3
	s_xor_b32 s26, exec_lo, s26
	s_cbranch_execz .LBB15_638
; %bb.616:
	s_mov_b32 s25, -1
	s_mov_b32 s27, exec_lo
	v_cmpx_eq_u16_e32 0x80, v3
; %bb.617:
	s_xor_b32 s25, exec_lo, -1
; %bb.618:
	s_or_b32 exec_lo, exec_lo, s27
	s_delay_alu instid0(SALU_CYCLE_1)
	s_and_b32 s25, s25, exec_lo
	s_or_saveexec_b32 s26, s26
	v_mov_b32_e32 v1, 0x7f800001
	s_xor_b32 exec_lo, exec_lo, s26
	s_cbranch_execnz .LBB15_639
.LBB15_619:
	s_or_b32 exec_lo, exec_lo, s26
	s_and_saveexec_b32 s26, s25
	s_cbranch_execz .LBB15_621
.LBB15_620:
	v_and_b32_e32 v1, 0xffff, v3
	s_delay_alu instid0(VALU_DEP_1) | instskip(SKIP_1) | instid1(VALU_DEP_2)
	v_and_b32_e32 v6, 3, v1
	v_bfe_u32 v9, v1, 2, 5
	v_clz_i32_u32_e32 v7, v6
	s_delay_alu instid0(VALU_DEP_2) | instskip(NEXT) | instid1(VALU_DEP_2)
	v_cmp_eq_u32_e32 vcc_lo, 0, v9
	v_min_u32_e32 v7, 32, v7
	s_delay_alu instid0(VALU_DEP_1) | instskip(NEXT) | instid1(VALU_DEP_1)
	v_subrev_nc_u32_e32 v8, 29, v7
	v_dual_lshlrev_b32 v1, v8, v1 :: v_dual_sub_nc_u32 v7, 30, v7
	s_delay_alu instid0(VALU_DEP_1) | instskip(NEXT) | instid1(VALU_DEP_1)
	v_dual_lshlrev_b32 v3, 24, v3 :: v_dual_bitop2_b32 v1, 3, v1 bitop3:0x40
	v_dual_cndmask_b32 v1, v6, v1, vcc_lo :: v_dual_cndmask_b32 v7, v9, v7, vcc_lo
	s_delay_alu instid0(VALU_DEP_2) | instskip(NEXT) | instid1(VALU_DEP_2)
	v_and_b32_e32 v3, 0x80000000, v3
	v_lshlrev_b32_e32 v1, 21, v1
	s_delay_alu instid0(VALU_DEP_3) | instskip(NEXT) | instid1(VALU_DEP_1)
	v_lshl_add_u32 v6, v7, 23, 0x37800000
	v_or3_b32 v1, v3, v6, v1
.LBB15_621:
	s_or_b32 exec_lo, exec_lo, s26
	s_mov_b32 s25, 0
	s_branch .LBB15_627
.LBB15_622:
	s_mov_b32 s26, -1
                                        ; implicit-def: $vgpr1
	s_branch .LBB15_633
.LBB15_623:
	s_or_saveexec_b32 s26, s26
	v_mov_b32_e32 v1, 0x7f800001
	s_xor_b32 exec_lo, exec_lo, s26
	s_cbranch_execz .LBB15_606
.LBB15_624:
	v_cmp_ne_u16_e32 vcc_lo, 0, v3
	v_mov_b32_e32 v1, 0
	s_and_not1_b32 s25, s25, exec_lo
	s_and_b32 s27, vcc_lo, exec_lo
	s_delay_alu instid0(SALU_CYCLE_1)
	s_or_b32 s25, s25, s27
	s_or_b32 exec_lo, exec_lo, s26
	s_and_saveexec_b32 s26, s25
	s_cbranch_execnz .LBB15_607
	s_branch .LBB15_608
.LBB15_625:
	s_mov_b32 s25, -1
                                        ; implicit-def: $vgpr1
	s_branch .LBB15_630
.LBB15_626:
	s_mov_b32 s25, -1
                                        ; implicit-def: $vgpr1
.LBB15_627:
	s_delay_alu instid0(SALU_CYCLE_1)
	s_and_b32 vcc_lo, exec_lo, s25
	s_cbranch_vccz .LBB15_629
; %bb.628:
	s_wait_loadcnt 0x0
	global_load_u8 v1, v[4:5], off
	s_wait_loadcnt 0x0
	v_lshlrev_b32_e32 v1, 24, v1
	s_delay_alu instid0(VALU_DEP_1) | instskip(NEXT) | instid1(VALU_DEP_1)
	v_and_b32_e32 v3, 0x7f000000, v1
	v_clz_i32_u32_e32 v6, v3
	v_cmp_ne_u32_e32 vcc_lo, 0, v3
	v_add_nc_u32_e32 v8, 0x1000000, v3
	s_delay_alu instid0(VALU_DEP_3) | instskip(NEXT) | instid1(VALU_DEP_1)
	v_min_u32_e32 v6, 32, v6
	v_sub_nc_u32_e64 v6, v6, 4 clamp
	s_delay_alu instid0(VALU_DEP_1) | instskip(NEXT) | instid1(VALU_DEP_1)
	v_dual_lshlrev_b32 v7, v6, v3 :: v_dual_lshlrev_b32 v6, 23, v6
	v_lshrrev_b32_e32 v7, 4, v7
	s_delay_alu instid0(VALU_DEP_1) | instskip(NEXT) | instid1(VALU_DEP_1)
	v_dual_sub_nc_u32 v6, v7, v6 :: v_dual_ashrrev_i32 v7, 8, v8
	v_add_nc_u32_e32 v6, 0x3c000000, v6
	s_delay_alu instid0(VALU_DEP_1) | instskip(NEXT) | instid1(VALU_DEP_1)
	v_and_or_b32 v6, 0x7f800000, v7, v6
	v_cndmask_b32_e32 v3, 0, v6, vcc_lo
	s_delay_alu instid0(VALU_DEP_1)
	v_and_or_b32 v1, 0x80000000, v1, v3
.LBB15_629:
	s_mov_b32 s25, 0
.LBB15_630:
	s_delay_alu instid0(SALU_CYCLE_1)
	s_and_not1_b32 vcc_lo, exec_lo, s25
	s_cbranch_vccnz .LBB15_632
; %bb.631:
	s_wait_loadcnt 0x0
	global_load_u8 v1, v[4:5], off
	s_wait_loadcnt 0x0
	v_lshlrev_b32_e32 v3, 25, v1
	v_lshlrev_b16 v1, 8, v1
	s_delay_alu instid0(VALU_DEP_1) | instskip(SKIP_1) | instid1(VALU_DEP_2)
	v_and_or_b32 v7, 0x7f00, v1, 0.5
	v_bfe_i32 v1, v1, 0, 16
	v_add_f32_e32 v7, -0.5, v7
	v_lshrrev_b32_e32 v6, 4, v3
	v_cmp_gt_u32_e32 vcc_lo, 0x8000000, v3
	s_delay_alu instid0(VALU_DEP_2) | instskip(NEXT) | instid1(VALU_DEP_1)
	v_or_b32_e32 v6, 0x70000000, v6
	v_mul_f32_e32 v6, 0x7800000, v6
	s_delay_alu instid0(VALU_DEP_1) | instskip(NEXT) | instid1(VALU_DEP_1)
	v_cndmask_b32_e32 v3, v6, v7, vcc_lo
	v_and_or_b32 v1, 0x80000000, v1, v3
.LBB15_632:
	s_mov_b32 s26, 0
	s_mov_b32 s25, -1
.LBB15_633:
	s_and_not1_b32 vcc_lo, exec_lo, s26
	s_cbranch_vccnz .LBB15_646
; %bb.634:
	s_cmp_gt_i32 s0, 14
	s_cbranch_scc0 .LBB15_637
; %bb.635:
	s_cmp_eq_u32 s0, 15
	s_cbranch_scc0 .LBB15_640
; %bb.636:
	s_wait_loadcnt 0x0
	global_load_u16 v1, v[4:5], off
	s_mov_b32 s25, -1
	s_mov_b32 s24, 0
	s_wait_loadcnt 0x0
	v_lshlrev_b32_e32 v1, 16, v1
	s_branch .LBB15_641
.LBB15_637:
	s_mov_b32 s26, -1
                                        ; implicit-def: $vgpr1
	s_branch .LBB15_642
.LBB15_638:
	s_or_saveexec_b32 s26, s26
	v_mov_b32_e32 v1, 0x7f800001
	s_xor_b32 exec_lo, exec_lo, s26
	s_cbranch_execz .LBB15_619
.LBB15_639:
	v_cmp_ne_u16_e32 vcc_lo, 0, v3
	v_mov_b32_e32 v1, 0
	s_and_not1_b32 s25, s25, exec_lo
	s_and_b32 s27, vcc_lo, exec_lo
	s_delay_alu instid0(SALU_CYCLE_1)
	s_or_b32 s25, s25, s27
	s_or_b32 exec_lo, exec_lo, s26
	s_and_saveexec_b32 s26, s25
	s_cbranch_execnz .LBB15_620
	s_branch .LBB15_621
.LBB15_640:
	s_mov_b32 s24, -1
                                        ; implicit-def: $vgpr1
.LBB15_641:
	s_mov_b32 s26, 0
.LBB15_642:
	s_delay_alu instid0(SALU_CYCLE_1)
	s_and_b32 vcc_lo, exec_lo, s26
	s_cbranch_vccz .LBB15_646
; %bb.643:
	s_cmp_eq_u32 s0, 11
	s_cbranch_scc0 .LBB15_645
; %bb.644:
	s_wait_loadcnt 0x0
	global_load_u8 v1, v[4:5], off
	s_mov_b32 s24, 0
	s_mov_b32 s25, -1
	s_wait_loadcnt 0x0
	v_cmp_ne_u16_e32 vcc_lo, 0, v1
	v_cndmask_b32_e64 v1, 0, 1.0, vcc_lo
	s_branch .LBB15_646
.LBB15_645:
	s_mov_b32 s24, -1
                                        ; implicit-def: $vgpr1
.LBB15_646:
	s_mov_b32 s26, 0
.LBB15_647:
	s_delay_alu instid0(SALU_CYCLE_1)
	s_and_b32 vcc_lo, exec_lo, s26
	s_cbranch_vccz .LBB15_696
; %bb.648:
	s_cmp_lt_i32 s0, 5
	s_cbranch_scc1 .LBB15_653
; %bb.649:
	s_cmp_lt_i32 s0, 8
	s_cbranch_scc1 .LBB15_654
	;; [unrolled: 3-line block ×3, first 2 shown]
; %bb.651:
	s_cmp_gt_i32 s0, 9
	s_cbranch_scc0 .LBB15_656
; %bb.652:
	global_load_b64 v[6:7], v[4:5], off
	s_mov_b32 s25, 0
	s_wait_loadcnt 0x0
	v_cvt_f32_f64_e32 v1, v[6:7]
	s_branch .LBB15_657
.LBB15_653:
	s_mov_b32 s25, -1
                                        ; implicit-def: $vgpr1
	s_branch .LBB15_675
.LBB15_654:
	s_mov_b32 s25, -1
                                        ; implicit-def: $vgpr1
	s_branch .LBB15_663
.LBB15_655:
	s_mov_b32 s25, -1
                                        ; implicit-def: $vgpr1
	s_branch .LBB15_660
.LBB15_656:
	s_mov_b32 s25, -1
                                        ; implicit-def: $vgpr1
.LBB15_657:
	s_delay_alu instid0(SALU_CYCLE_1)
	s_and_not1_b32 vcc_lo, exec_lo, s25
	s_cbranch_vccnz .LBB15_659
; %bb.658:
	s_wait_loadcnt 0x0
	global_load_b32 v1, v[4:5], off
.LBB15_659:
	s_mov_b32 s25, 0
.LBB15_660:
	s_delay_alu instid0(SALU_CYCLE_1)
	s_and_not1_b32 vcc_lo, exec_lo, s25
	s_cbranch_vccnz .LBB15_662
; %bb.661:
	s_wait_loadcnt 0x0
	global_load_b32 v1, v[4:5], off
	s_wait_loadcnt 0x0
	v_cvt_f32_f16_e32 v1, v1
.LBB15_662:
	s_mov_b32 s25, 0
.LBB15_663:
	s_delay_alu instid0(SALU_CYCLE_1)
	s_and_not1_b32 vcc_lo, exec_lo, s25
	s_cbranch_vccnz .LBB15_674
; %bb.664:
	s_cmp_lt_i32 s0, 6
	s_cbranch_scc1 .LBB15_667
; %bb.665:
	s_cmp_gt_i32 s0, 6
	s_cbranch_scc0 .LBB15_668
; %bb.666:
	global_load_b64 v[6:7], v[4:5], off
	s_mov_b32 s25, 0
	s_wait_loadcnt 0x0
	v_cvt_f32_f64_e32 v1, v[6:7]
	s_branch .LBB15_669
.LBB15_667:
	s_mov_b32 s25, -1
                                        ; implicit-def: $vgpr1
	s_branch .LBB15_672
.LBB15_668:
	s_mov_b32 s25, -1
                                        ; implicit-def: $vgpr1
.LBB15_669:
	s_delay_alu instid0(SALU_CYCLE_1)
	s_and_not1_b32 vcc_lo, exec_lo, s25
	s_cbranch_vccnz .LBB15_671
; %bb.670:
	s_wait_loadcnt 0x0
	global_load_b32 v1, v[4:5], off
.LBB15_671:
	s_mov_b32 s25, 0
.LBB15_672:
	s_delay_alu instid0(SALU_CYCLE_1)
	s_and_not1_b32 vcc_lo, exec_lo, s25
	s_cbranch_vccnz .LBB15_674
; %bb.673:
	s_wait_loadcnt 0x0
	global_load_u16 v1, v[4:5], off
	s_wait_loadcnt 0x0
	v_cvt_f32_f16_e32 v1, v1
.LBB15_674:
	s_mov_b32 s25, 0
.LBB15_675:
	s_delay_alu instid0(SALU_CYCLE_1)
	s_and_not1_b32 vcc_lo, exec_lo, s25
	s_cbranch_vccnz .LBB15_695
; %bb.676:
	s_cmp_lt_i32 s0, 2
	s_cbranch_scc1 .LBB15_680
; %bb.677:
	s_cmp_lt_i32 s0, 3
	s_cbranch_scc1 .LBB15_681
; %bb.678:
	s_cmp_gt_i32 s0, 3
	s_cbranch_scc0 .LBB15_682
; %bb.679:
	global_load_b64 v[6:7], v[4:5], off
	s_mov_b32 s25, 0
	s_wait_loadcnt 0x0
	v_xor_b32_e32 v1, v6, v7
	v_cls_i32_e32 v3, v7
	s_delay_alu instid0(VALU_DEP_2) | instskip(NEXT) | instid1(VALU_DEP_1)
	v_ashrrev_i32_e32 v1, 31, v1
	v_add_nc_u32_e32 v1, 32, v1
	s_delay_alu instid0(VALU_DEP_1) | instskip(NEXT) | instid1(VALU_DEP_1)
	v_add_min_u32_e64 v1, v3, -1, v1
	v_lshlrev_b64_e32 v[6:7], v1, v[6:7]
	v_sub_nc_u32_e32 v1, 32, v1
	s_delay_alu instid0(VALU_DEP_2) | instskip(NEXT) | instid1(VALU_DEP_1)
	v_min_u32_e32 v3, 1, v6
	v_or_b32_e32 v3, v7, v3
	s_delay_alu instid0(VALU_DEP_1) | instskip(NEXT) | instid1(VALU_DEP_1)
	v_cvt_f32_i32_e32 v3, v3
	v_ldexp_f32 v1, v3, v1
	s_branch .LBB15_683
.LBB15_680:
	s_mov_b32 s25, -1
                                        ; implicit-def: $vgpr1
	s_branch .LBB15_689
.LBB15_681:
	s_mov_b32 s25, -1
                                        ; implicit-def: $vgpr1
	s_branch .LBB15_686
.LBB15_682:
	s_mov_b32 s25, -1
                                        ; implicit-def: $vgpr1
.LBB15_683:
	s_delay_alu instid0(SALU_CYCLE_1)
	s_and_not1_b32 vcc_lo, exec_lo, s25
	s_cbranch_vccnz .LBB15_685
; %bb.684:
	s_wait_loadcnt 0x0
	global_load_b32 v1, v[4:5], off
	s_wait_loadcnt 0x0
	v_cvt_f32_i32_e32 v1, v1
.LBB15_685:
	s_mov_b32 s25, 0
.LBB15_686:
	s_delay_alu instid0(SALU_CYCLE_1)
	s_and_not1_b32 vcc_lo, exec_lo, s25
	s_cbranch_vccnz .LBB15_688
; %bb.687:
	s_wait_loadcnt 0x0
	global_load_i16 v1, v[4:5], off
	s_wait_loadcnt 0x0
	v_cvt_f32_i32_e32 v1, v1
.LBB15_688:
	s_mov_b32 s25, 0
.LBB15_689:
	s_delay_alu instid0(SALU_CYCLE_1)
	s_and_not1_b32 vcc_lo, exec_lo, s25
	s_cbranch_vccnz .LBB15_695
; %bb.690:
	s_cmp_gt_i32 s0, 0
	s_mov_b32 s0, 0
	s_cbranch_scc0 .LBB15_692
; %bb.691:
	s_wait_loadcnt 0x0
	global_load_i8 v1, v[4:5], off
	s_wait_loadcnt 0x0
	v_cvt_f32_i32_e32 v1, v1
	s_branch .LBB15_693
.LBB15_692:
	s_mov_b32 s0, -1
                                        ; implicit-def: $vgpr1
.LBB15_693:
	s_delay_alu instid0(SALU_CYCLE_1)
	s_and_not1_b32 vcc_lo, exec_lo, s0
	s_cbranch_vccnz .LBB15_695
; %bb.694:
	s_wait_loadcnt 0x0
	global_load_u8 v1, v[4:5], off
	s_wait_loadcnt 0x0
	v_cvt_f32_ubyte0_e32 v1, v1
.LBB15_695:
	s_mov_b32 s25, -1
.LBB15_696:
	s_delay_alu instid0(SALU_CYCLE_1)
	s_and_not1_b32 vcc_lo, exec_lo, s25
	s_cbranch_vccnz .LBB15_704
; %bb.697:
	s_wait_loadcnt 0x0
	s_delay_alu instid0(VALU_DEP_1)
	v_cmp_nge_f32_e64 s0, v1, -s16
	v_cmp_nge_f32_e32 vcc_lo, s16, v1
	s_and_b32 s25, s17, 0xff
	s_mov_b32 s27, 0
	s_mov_b32 s26, -1
	s_or_b32 vcc_lo, s0, vcc_lo
	s_wait_xcnt 0x0
	v_dual_mov_b32 v3, 0 :: v_dual_cndmask_b32 v4, 0, v1
	s_cmp_lt_i32 s25, 11
	s_mov_b32 s0, s44
	s_delay_alu instid0(VALU_DEP_1)
	v_add_nc_u64_e32 v[2:3], s[4:5], v[2:3]
	s_cbranch_scc1 .LBB15_705
; %bb.698:
	s_and_b32 s26, 0xffff, s25
	s_delay_alu instid0(SALU_CYCLE_1)
	s_cmp_gt_i32 s26, 25
	s_cbranch_scc0 .LBB15_746
; %bb.699:
	s_cmp_gt_i32 s26, 28
	s_cbranch_scc0 .LBB15_747
; %bb.700:
	;; [unrolled: 3-line block ×4, first 2 shown]
	s_mov_b32 s28, 0
	s_mov_b32 s0, -1
	s_cmp_eq_u32 s26, 46
	s_cbranch_scc0 .LBB15_750
; %bb.703:
	v_bfe_u32 v1, v4, 16, 1
	v_cmp_o_f32_e32 vcc_lo, v4, v4
	s_mov_b32 s27, -1
	s_mov_b32 s0, 0
	s_delay_alu instid0(VALU_DEP_2) | instskip(NEXT) | instid1(VALU_DEP_1)
	v_add3_u32 v1, v4, v1, 0x7fff
	v_lshrrev_b32_e32 v1, 16, v1
	s_delay_alu instid0(VALU_DEP_1)
	v_cndmask_b32_e32 v1, 0x7fc0, v1, vcc_lo
	global_store_b32 v[2:3], v1, off
	s_branch .LBB15_750
.LBB15_704:
	s_mov_b32 s25, 0
	s_mov_b32 s0, s44
	s_branch .LBB15_745
.LBB15_705:
	s_and_b32 vcc_lo, exec_lo, s26
	s_cbranch_vccz .LBB15_819
; %bb.706:
	s_and_b32 s25, 0xffff, s25
	s_mov_b32 s26, -1
	s_cmp_lt_i32 s25, 5
	s_cbranch_scc1 .LBB15_727
; %bb.707:
	s_cmp_lt_i32 s25, 8
	s_cbranch_scc1 .LBB15_717
; %bb.708:
	;; [unrolled: 3-line block ×3, first 2 shown]
	s_cmp_gt_i32 s25, 9
	s_cbranch_scc0 .LBB15_711
; %bb.710:
	s_wait_xcnt 0x0
	v_cvt_f64_f32_e32 v[6:7], v4
	v_mov_b32_e32 v8, 0
	s_mov_b32 s26, 0
	s_delay_alu instid0(VALU_DEP_1)
	v_mov_b32_e32 v9, v8
	global_store_b128 v[2:3], v[6:9], off
.LBB15_711:
	s_and_not1_b32 vcc_lo, exec_lo, s26
	s_cbranch_vccnz .LBB15_713
; %bb.712:
	s_wait_xcnt 0x0
	v_mov_b32_e32 v5, 0
	global_store_b64 v[2:3], v[4:5], off
.LBB15_713:
	s_mov_b32 s26, 0
.LBB15_714:
	s_delay_alu instid0(SALU_CYCLE_1)
	s_and_not1_b32 vcc_lo, exec_lo, s26
	s_cbranch_vccnz .LBB15_716
; %bb.715:
	s_wait_xcnt 0x0
	v_cvt_f16_f32_e32 v1, v4
	s_delay_alu instid0(VALU_DEP_1)
	v_and_b32_e32 v1, 0xffff, v1
	global_store_b32 v[2:3], v1, off
.LBB15_716:
	s_mov_b32 s26, 0
.LBB15_717:
	s_delay_alu instid0(SALU_CYCLE_1)
	s_and_not1_b32 vcc_lo, exec_lo, s26
	s_cbranch_vccnz .LBB15_726
; %bb.718:
	s_cmp_lt_i32 s25, 6
	s_mov_b32 s26, -1
	s_cbranch_scc1 .LBB15_724
; %bb.719:
	s_cmp_gt_i32 s25, 6
	s_cbranch_scc0 .LBB15_721
; %bb.720:
	s_wait_xcnt 0x0
	v_cvt_f64_f32_e32 v[6:7], v4
	s_mov_b32 s26, 0
	global_store_b64 v[2:3], v[6:7], off
.LBB15_721:
	s_and_not1_b32 vcc_lo, exec_lo, s26
	s_cbranch_vccnz .LBB15_723
; %bb.722:
	global_store_b32 v[2:3], v4, off
.LBB15_723:
	s_mov_b32 s26, 0
.LBB15_724:
	s_delay_alu instid0(SALU_CYCLE_1)
	s_and_not1_b32 vcc_lo, exec_lo, s26
	s_cbranch_vccnz .LBB15_726
; %bb.725:
	s_wait_xcnt 0x0
	v_cvt_f16_f32_e32 v1, v4
	global_store_b16 v[2:3], v1, off
.LBB15_726:
	s_mov_b32 s26, 0
.LBB15_727:
	s_delay_alu instid0(SALU_CYCLE_1)
	s_and_not1_b32 vcc_lo, exec_lo, s26
	s_cbranch_vccnz .LBB15_743
; %bb.728:
	s_cmp_lt_i32 s25, 2
	s_mov_b32 s26, -1
	s_cbranch_scc1 .LBB15_738
; %bb.729:
	s_cmp_lt_i32 s25, 3
	s_cbranch_scc1 .LBB15_735
; %bb.730:
	s_cmp_gt_i32 s25, 3
	s_cbranch_scc0 .LBB15_732
; %bb.731:
	s_wait_xcnt 0x0
	v_trunc_f32_e32 v1, v4
	s_mov_b32 s26, 0
	s_delay_alu instid0(VALU_DEP_1) | instskip(SKIP_1) | instid1(VALU_DEP_2)
	v_mul_f32_e64 v5, 0x2f800000, |v1|
	v_ashrrev_i32_e32 v6, 31, v1
	v_floor_f32_e32 v5, v5
	s_delay_alu instid0(VALU_DEP_1) | instskip(SKIP_1) | instid1(VALU_DEP_2)
	v_fma_f32 v7, 0xcf800000, v5, |v1|
	v_cvt_u32_f32_e32 v1, v5
	v_cvt_u32_f32_e32 v5, v7
	s_delay_alu instid0(VALU_DEP_2) | instskip(NEXT) | instid1(VALU_DEP_2)
	v_dual_mov_b32 v7, v6 :: v_dual_bitop2_b32 v9, v1, v6 bitop3:0x14
	v_xor_b32_e32 v8, v5, v6
	s_delay_alu instid0(VALU_DEP_1)
	v_sub_nc_u64_e32 v[6:7], v[8:9], v[6:7]
	global_store_b64 v[2:3], v[6:7], off
.LBB15_732:
	s_and_not1_b32 vcc_lo, exec_lo, s26
	s_cbranch_vccnz .LBB15_734
; %bb.733:
	s_wait_xcnt 0x0
	v_cvt_i32_f32_e32 v1, v4
	global_store_b32 v[2:3], v1, off
.LBB15_734:
	s_mov_b32 s26, 0
.LBB15_735:
	s_delay_alu instid0(SALU_CYCLE_1)
	s_and_not1_b32 vcc_lo, exec_lo, s26
	s_cbranch_vccnz .LBB15_737
; %bb.736:
	s_wait_xcnt 0x0
	v_cvt_i32_f32_e32 v1, v4
	global_store_b16 v[2:3], v1, off
.LBB15_737:
	s_mov_b32 s26, 0
.LBB15_738:
	s_delay_alu instid0(SALU_CYCLE_1)
	s_and_not1_b32 vcc_lo, exec_lo, s26
	s_cbranch_vccnz .LBB15_743
; %bb.739:
	s_cmp_gt_i32 s25, 0
	s_mov_b32 s25, -1
	s_cbranch_scc0 .LBB15_741
; %bb.740:
	s_wait_xcnt 0x0
	v_cvt_i32_f32_e32 v1, v4
	s_mov_b32 s25, 0
	global_store_b8 v[2:3], v1, off
.LBB15_741:
	s_and_not1_b32 vcc_lo, exec_lo, s25
	s_cbranch_vccnz .LBB15_743
; %bb.742:
	s_wait_xcnt 0x0
	v_trunc_f32_e32 v1, v4
	s_delay_alu instid0(VALU_DEP_1) | instskip(NEXT) | instid1(VALU_DEP_1)
	v_mul_f32_e64 v4, 0x2f800000, |v1|
	v_floor_f32_e32 v4, v4
	s_delay_alu instid0(VALU_DEP_1) | instskip(SKIP_1) | instid1(VALU_DEP_2)
	v_fma_f32 v4, 0xcf800000, v4, |v1|
	v_ashrrev_i32_e32 v1, 31, v1
	v_cvt_u32_f32_e32 v4, v4
	s_delay_alu instid0(VALU_DEP_1) | instskip(NEXT) | instid1(VALU_DEP_1)
	v_xor_b32_e32 v4, v4, v1
	v_sub_nc_u32_e32 v1, v4, v1
	global_store_b8 v[2:3], v1, off
.LBB15_743:
	s_branch .LBB15_820
.LBB15_744:
	s_mov_b32 s25, 0
.LBB15_745:
                                        ; implicit-def: $vgpr0
	s_branch .LBB15_821
.LBB15_746:
	s_mov_b32 s28, -1
	s_mov_b32 s0, s44
	s_branch .LBB15_777
.LBB15_747:
	s_mov_b32 s28, -1
	s_mov_b32 s0, s44
	s_branch .LBB15_760
.LBB15_748:
	s_mov_b32 s28, -1
	s_mov_b32 s0, s44
	s_branch .LBB15_756
.LBB15_749:
	s_mov_b32 s28, -1
	s_mov_b32 s0, s44
.LBB15_750:
	s_and_b32 vcc_lo, exec_lo, s28
	s_cbranch_vccz .LBB15_755
; %bb.751:
	s_cmp_eq_u32 s26, 44
	s_mov_b32 s0, -1
	s_cbranch_scc0 .LBB15_755
; %bb.752:
	v_bfe_u32 v5, v4, 23, 8
	s_wait_xcnt 0x0
	v_mov_b32_e32 v1, 0xff
	s_mov_b32 s27, exec_lo
	s_delay_alu instid0(VALU_DEP_2)
	v_cmpx_ne_u32_e32 0xff, v5
	s_cbranch_execz .LBB15_754
; %bb.753:
	v_and_b32_e32 v1, 0x400000, v4
	v_and_or_b32 v5, 0x3fffff, v4, v5
	s_delay_alu instid0(VALU_DEP_2) | instskip(NEXT) | instid1(VALU_DEP_2)
	v_cmp_ne_u32_e32 vcc_lo, 0, v1
	v_cmp_ne_u32_e64 s0, 0, v5
	v_lshrrev_b32_e32 v1, 23, v4
	s_and_b32 s0, vcc_lo, s0
	s_delay_alu instid0(SALU_CYCLE_1) | instskip(NEXT) | instid1(VALU_DEP_1)
	v_cndmask_b32_e64 v5, 0, 1, s0
	v_add_nc_u32_e32 v1, v1, v5
.LBB15_754:
	s_or_b32 exec_lo, exec_lo, s27
	s_mov_b32 s27, -1
	s_mov_b32 s0, 0
	global_store_b8 v[2:3], v1, off
.LBB15_755:
	s_mov_b32 s28, 0
.LBB15_756:
	s_delay_alu instid0(SALU_CYCLE_1)
	s_and_b32 vcc_lo, exec_lo, s28
	s_cbranch_vccz .LBB15_759
; %bb.757:
	s_cmp_eq_u32 s26, 29
	s_mov_b32 s0, -1
	s_cbranch_scc0 .LBB15_759
; %bb.758:
	s_wait_xcnt 0x0
	v_trunc_f32_e32 v1, v4
	s_mov_b32 s27, -1
	s_mov_b32 s0, 0
	s_mov_b32 s28, 0
	s_delay_alu instid0(VALU_DEP_1) | instskip(NEXT) | instid1(VALU_DEP_1)
	v_mul_f32_e32 v5, 0x2f800000, v1
	v_floor_f32_e32 v5, v5
	s_delay_alu instid0(VALU_DEP_1) | instskip(SKIP_1) | instid1(VALU_DEP_2)
	v_fmamk_f32 v1, v5, 0xcf800000, v1
	v_cvt_u32_f32_e32 v7, v5
	v_cvt_u32_f32_e32 v6, v1
	global_store_b64 v[2:3], v[6:7], off
	s_branch .LBB15_760
.LBB15_759:
	s_mov_b32 s28, 0
.LBB15_760:
	s_delay_alu instid0(SALU_CYCLE_1)
	s_and_b32 vcc_lo, exec_lo, s28
	s_cbranch_vccz .LBB15_776
; %bb.761:
	s_cmp_lt_i32 s26, 27
	s_mov_b32 s27, -1
	s_cbranch_scc1 .LBB15_767
; %bb.762:
	s_wait_xcnt 0x0
	v_cvt_u32_f32_e32 v1, v4
	s_cmp_gt_i32 s26, 27
	s_cbranch_scc0 .LBB15_764
; %bb.763:
	s_mov_b32 s27, 0
	global_store_b32 v[2:3], v1, off
.LBB15_764:
	s_and_not1_b32 vcc_lo, exec_lo, s27
	s_cbranch_vccnz .LBB15_766
; %bb.765:
	global_store_b16 v[2:3], v1, off
.LBB15_766:
	s_mov_b32 s27, 0
.LBB15_767:
	s_delay_alu instid0(SALU_CYCLE_1)
	s_and_not1_b32 vcc_lo, exec_lo, s27
	s_cbranch_vccnz .LBB15_775
; %bb.768:
	s_wait_xcnt 0x0
	v_and_b32_e32 v1, 0x7fffffff, v4
	v_mov_b32_e32 v5, 0x80
	s_mov_b32 s27, exec_lo
	s_delay_alu instid0(VALU_DEP_2)
	v_cmpx_gt_u32_e32 0x43800000, v1
	s_cbranch_execz .LBB15_774
; %bb.769:
	v_cmp_lt_u32_e32 vcc_lo, 0x3bffffff, v1
	s_mov_b32 s28, 0
                                        ; implicit-def: $vgpr1
	s_and_saveexec_b32 s29, vcc_lo
	s_delay_alu instid0(SALU_CYCLE_1)
	s_xor_b32 s29, exec_lo, s29
	s_cbranch_execz .LBB15_852
; %bb.770:
	v_bfe_u32 v1, v4, 20, 1
	s_mov_b32 s28, exec_lo
	s_delay_alu instid0(VALU_DEP_1) | instskip(NEXT) | instid1(VALU_DEP_1)
	v_add3_u32 v1, v4, v1, 0x487ffff
	v_lshrrev_b32_e32 v1, 20, v1
	s_and_not1_saveexec_b32 s29, s29
	s_cbranch_execnz .LBB15_853
.LBB15_771:
	s_or_b32 exec_lo, exec_lo, s29
	v_mov_b32_e32 v5, 0
	s_and_saveexec_b32 s29, s28
.LBB15_772:
	v_lshrrev_b32_e32 v5, 24, v4
	s_delay_alu instid0(VALU_DEP_1)
	v_and_or_b32 v5, 0x80, v5, v1
.LBB15_773:
	s_or_b32 exec_lo, exec_lo, s29
.LBB15_774:
	s_delay_alu instid0(SALU_CYCLE_1)
	s_or_b32 exec_lo, exec_lo, s27
	global_store_b8 v[2:3], v5, off
.LBB15_775:
	s_mov_b32 s27, -1
.LBB15_776:
	s_mov_b32 s28, 0
.LBB15_777:
	s_delay_alu instid0(SALU_CYCLE_1)
	s_and_b32 vcc_lo, exec_lo, s28
	s_cbranch_vccz .LBB15_818
; %bb.778:
	s_cmp_gt_i32 s26, 22
	s_mov_b32 s28, -1
	s_cbranch_scc0 .LBB15_810
; %bb.779:
	s_cmp_lt_i32 s26, 24
	s_mov_b32 s27, -1
	s_cbranch_scc1 .LBB15_799
; %bb.780:
	s_cmp_gt_i32 s26, 24
	s_cbranch_scc0 .LBB15_788
; %bb.781:
	s_wait_xcnt 0x0
	v_and_b32_e32 v1, 0x7fffffff, v4
	v_mov_b32_e32 v5, 0x80
	s_mov_b32 s27, exec_lo
	s_delay_alu instid0(VALU_DEP_2)
	v_cmpx_gt_u32_e32 0x47800000, v1
	s_cbranch_execz .LBB15_787
; %bb.782:
	v_cmp_lt_u32_e32 vcc_lo, 0x37ffffff, v1
	s_mov_b32 s28, 0
                                        ; implicit-def: $vgpr1
	s_and_saveexec_b32 s29, vcc_lo
	s_delay_alu instid0(SALU_CYCLE_1)
	s_xor_b32 s29, exec_lo, s29
	s_cbranch_execz .LBB15_855
; %bb.783:
	v_bfe_u32 v1, v4, 21, 1
	s_mov_b32 s28, exec_lo
	s_delay_alu instid0(VALU_DEP_1) | instskip(NEXT) | instid1(VALU_DEP_1)
	v_add3_u32 v1, v4, v1, 0x88fffff
	v_lshrrev_b32_e32 v1, 21, v1
	s_and_not1_saveexec_b32 s29, s29
	s_cbranch_execnz .LBB15_856
.LBB15_784:
	s_or_b32 exec_lo, exec_lo, s29
	v_mov_b32_e32 v5, 0
	s_and_saveexec_b32 s29, s28
.LBB15_785:
	v_lshrrev_b32_e32 v5, 24, v4
	s_delay_alu instid0(VALU_DEP_1)
	v_and_or_b32 v5, 0x80, v5, v1
.LBB15_786:
	s_or_b32 exec_lo, exec_lo, s29
.LBB15_787:
	s_delay_alu instid0(SALU_CYCLE_1)
	s_or_b32 exec_lo, exec_lo, s27
	s_mov_b32 s27, 0
	global_store_b8 v[2:3], v5, off
.LBB15_788:
	s_and_b32 vcc_lo, exec_lo, s27
	s_cbranch_vccz .LBB15_798
; %bb.789:
	s_wait_xcnt 0x0
	v_and_b32_e32 v5, 0x7fffffff, v4
	s_mov_b32 s27, exec_lo
                                        ; implicit-def: $vgpr1
	s_delay_alu instid0(VALU_DEP_1)
	v_cmpx_gt_u32_e32 0x43f00000, v5
	s_xor_b32 s27, exec_lo, s27
	s_cbranch_execz .LBB15_795
; %bb.790:
	s_mov_b32 s28, exec_lo
                                        ; implicit-def: $vgpr1
	v_cmpx_lt_u32_e32 0x3c7fffff, v5
	s_xor_b32 s28, exec_lo, s28
; %bb.791:
	v_bfe_u32 v1, v4, 20, 1
	s_delay_alu instid0(VALU_DEP_1) | instskip(NEXT) | instid1(VALU_DEP_1)
	v_add3_u32 v1, v4, v1, 0x407ffff
	v_and_b32_e32 v5, 0xff00000, v1
	v_lshrrev_b32_e32 v1, 20, v1
	s_delay_alu instid0(VALU_DEP_2) | instskip(NEXT) | instid1(VALU_DEP_2)
	v_cmp_ne_u32_e32 vcc_lo, 0x7f00000, v5
	v_cndmask_b32_e32 v1, 0x7e, v1, vcc_lo
; %bb.792:
	s_and_not1_saveexec_b32 s28, s28
; %bb.793:
	v_add_f32_e64 v1, 0x46800000, |v4|
; %bb.794:
	s_or_b32 exec_lo, exec_lo, s28
                                        ; implicit-def: $vgpr5
.LBB15_795:
	s_and_not1_saveexec_b32 s27, s27
; %bb.796:
	v_mov_b32_e32 v1, 0x7f
	v_cmp_lt_u32_e32 vcc_lo, 0x7f800000, v5
	s_delay_alu instid0(VALU_DEP_2)
	v_cndmask_b32_e32 v1, 0x7e, v1, vcc_lo
; %bb.797:
	s_or_b32 exec_lo, exec_lo, s27
	v_lshrrev_b32_e32 v5, 24, v4
	s_delay_alu instid0(VALU_DEP_1)
	v_and_or_b32 v1, 0x80, v5, v1
	global_store_b8 v[2:3], v1, off
.LBB15_798:
	s_mov_b32 s27, 0
.LBB15_799:
	s_delay_alu instid0(SALU_CYCLE_1)
	s_and_not1_b32 vcc_lo, exec_lo, s27
	s_cbranch_vccnz .LBB15_809
; %bb.800:
	s_wait_xcnt 0x0
	v_and_b32_e32 v5, 0x7fffffff, v4
	s_mov_b32 s27, exec_lo
                                        ; implicit-def: $vgpr1
	s_delay_alu instid0(VALU_DEP_1)
	v_cmpx_gt_u32_e32 0x47800000, v5
	s_xor_b32 s27, exec_lo, s27
	s_cbranch_execz .LBB15_806
; %bb.801:
	s_mov_b32 s28, exec_lo
                                        ; implicit-def: $vgpr1
	v_cmpx_lt_u32_e32 0x387fffff, v5
	s_xor_b32 s28, exec_lo, s28
; %bb.802:
	v_bfe_u32 v1, v4, 21, 1
	s_delay_alu instid0(VALU_DEP_1) | instskip(NEXT) | instid1(VALU_DEP_1)
	v_add3_u32 v1, v4, v1, 0x80fffff
	v_lshrrev_b32_e32 v1, 21, v1
; %bb.803:
	s_and_not1_saveexec_b32 s28, s28
; %bb.804:
	v_add_f32_e64 v1, 0x43000000, |v4|
; %bb.805:
	s_or_b32 exec_lo, exec_lo, s28
                                        ; implicit-def: $vgpr5
.LBB15_806:
	s_and_not1_saveexec_b32 s27, s27
; %bb.807:
	v_mov_b32_e32 v1, 0x7f
	v_cmp_lt_u32_e32 vcc_lo, 0x7f800000, v5
	s_delay_alu instid0(VALU_DEP_2)
	v_cndmask_b32_e32 v1, 0x7c, v1, vcc_lo
; %bb.808:
	s_or_b32 exec_lo, exec_lo, s27
	v_lshrrev_b32_e32 v5, 24, v4
	s_delay_alu instid0(VALU_DEP_1)
	v_and_or_b32 v1, 0x80, v5, v1
	global_store_b8 v[2:3], v1, off
.LBB15_809:
	s_mov_b32 s28, 0
	s_mov_b32 s27, -1
.LBB15_810:
	s_and_not1_b32 vcc_lo, exec_lo, s28
	s_cbranch_vccnz .LBB15_818
; %bb.811:
	s_cmp_gt_i32 s26, 14
	s_mov_b32 s28, -1
	s_cbranch_scc0 .LBB15_815
; %bb.812:
	s_cmp_eq_u32 s26, 15
	s_mov_b32 s0, -1
	s_cbranch_scc0 .LBB15_814
; %bb.813:
	s_wait_xcnt 0x0
	v_bfe_u32 v1, v4, 16, 1
	v_cmp_o_f32_e32 vcc_lo, v4, v4
	s_mov_b32 s27, -1
	s_mov_b32 s0, 0
	s_delay_alu instid0(VALU_DEP_2) | instskip(NEXT) | instid1(VALU_DEP_1)
	v_add3_u32 v1, v4, v1, 0x7fff
	v_lshrrev_b32_e32 v1, 16, v1
	s_delay_alu instid0(VALU_DEP_1)
	v_cndmask_b32_e32 v1, 0x7fc0, v1, vcc_lo
	global_store_b16 v[2:3], v1, off
.LBB15_814:
	s_mov_b32 s28, 0
.LBB15_815:
	s_delay_alu instid0(SALU_CYCLE_1)
	s_and_b32 vcc_lo, exec_lo, s28
	s_cbranch_vccz .LBB15_818
; %bb.816:
	s_cmp_eq_u32 s26, 11
	s_mov_b32 s0, -1
	s_cbranch_scc0 .LBB15_818
; %bb.817:
	v_cmp_neq_f32_e32 vcc_lo, 0, v4
	s_mov_b32 s0, 0
	s_mov_b32 s27, -1
	s_wait_xcnt 0x0
	v_cndmask_b32_e64 v1, 0, 1, vcc_lo
	global_store_b8 v[2:3], v1, off
.LBB15_818:
.LBB15_819:
	s_and_not1_b32 vcc_lo, exec_lo, s27
	s_cbranch_vccnz .LBB15_744
.LBB15_820:
	v_add_nc_u32_e32 v0, 0x80, v0
	s_mov_b32 s25, -1
.LBB15_821:
	s_and_not1_b32 s26, s44, exec_lo
	s_and_b32 s0, s0, exec_lo
	s_and_not1_b32 s27, s43, exec_lo
	s_and_b32 s24, s24, exec_lo
	s_or_b32 s28, s26, s0
	s_or_b32 s0, s27, s24
	s_or_not1_b32 s27, s25, exec_lo
.LBB15_822:
	s_wait_xcnt 0x0
	s_or_b32 exec_lo, exec_lo, s46
	s_mov_b32 s25, 0
	s_mov_b32 s24, 0
	;; [unrolled: 1-line block ×3, first 2 shown]
                                        ; implicit-def: $vgpr4_vgpr5
                                        ; implicit-def: $vgpr2
                                        ; implicit-def: $vgpr6
	s_and_saveexec_b32 s29, s27
	s_cbranch_execz .LBB15_924
; %bb.823:
	v_cmp_gt_i32_e32 vcc_lo, s37, v0
	s_mov_b32 s27, s0
                                        ; implicit-def: $vgpr4_vgpr5
                                        ; implicit-def: $vgpr2
                                        ; implicit-def: $vgpr6
	s_and_saveexec_b32 s37, vcc_lo
	s_cbranch_execz .LBB15_923
; %bb.824:
	s_and_not1_b32 vcc_lo, exec_lo, s34
	s_cbranch_vccnz .LBB15_830
; %bb.825:
	s_and_not1_b32 vcc_lo, exec_lo, s39
	s_cbranch_vccnz .LBB15_831
; %bb.826:
	s_add_co_i32 s38, s38, 1
	s_cmp_eq_u32 s31, 2
	s_cbranch_scc1 .LBB15_832
; %bb.827:
	v_dual_mov_b32 v2, 0 :: v_dual_mov_b32 v4, 0
	s_wait_loadcnt 0x0
	v_mov_b32_e32 v1, v0
	s_and_b32 s24, s38, 28
	s_mov_b64 s[26:27], s[2:3]
.LBB15_828:                             ; =>This Inner Loop Header: Depth=1
	s_clause 0x1
	s_load_b256 s[48:55], s[26:27], 0x4
	s_load_b128 s[64:67], s[26:27], 0x24
	s_load_b256 s[56:63], s[22:23], 0x0
	s_add_co_i32 s25, s25, 4
	s_wait_xcnt 0x0
	s_add_nc_u64 s[26:27], s[26:27], 48
	s_cmp_eq_u32 s24, s25
	s_add_nc_u64 s[22:23], s[22:23], 32
	s_wait_kmcnt 0x0
	v_mul_hi_u32 v3, s49, v1
	s_delay_alu instid0(VALU_DEP_1) | instskip(NEXT) | instid1(VALU_DEP_1)
	v_add_nc_u32_e32 v3, v1, v3
	v_lshrrev_b32_e32 v3, s50, v3
	s_delay_alu instid0(VALU_DEP_1) | instskip(NEXT) | instid1(VALU_DEP_1)
	v_mul_hi_u32 v5, s52, v3
	v_add_nc_u32_e32 v5, v3, v5
	s_delay_alu instid0(VALU_DEP_1) | instskip(NEXT) | instid1(VALU_DEP_1)
	v_lshrrev_b32_e32 v5, s53, v5
	v_mul_hi_u32 v6, s55, v5
	s_delay_alu instid0(VALU_DEP_1) | instskip(SKIP_1) | instid1(VALU_DEP_1)
	v_add_nc_u32_e32 v6, v5, v6
	v_mul_lo_u32 v7, v3, s48
	v_sub_nc_u32_e32 v1, v1, v7
	v_mul_lo_u32 v7, v5, s51
	s_delay_alu instid0(VALU_DEP_4) | instskip(NEXT) | instid1(VALU_DEP_3)
	v_lshrrev_b32_e32 v6, s64, v6
	v_mad_u32 v4, v1, s57, v4
	v_mad_u32 v1, v1, s56, v2
	s_delay_alu instid0(VALU_DEP_4) | instskip(NEXT) | instid1(VALU_DEP_4)
	v_sub_nc_u32_e32 v2, v3, v7
	v_mul_hi_u32 v8, s66, v6
	v_mul_lo_u32 v3, v6, s54
	s_delay_alu instid0(VALU_DEP_3) | instskip(SKIP_1) | instid1(VALU_DEP_3)
	v_mad_u32 v4, v2, s59, v4
	v_mad_u32 v2, v2, s58, v1
	v_dual_add_nc_u32 v7, v6, v8 :: v_dual_sub_nc_u32 v3, v5, v3
	s_delay_alu instid0(VALU_DEP_1) | instskip(NEXT) | instid1(VALU_DEP_2)
	v_lshrrev_b32_e32 v1, s67, v7
	v_mad_u32 v4, v3, s61, v4
	s_delay_alu instid0(VALU_DEP_4) | instskip(NEXT) | instid1(VALU_DEP_3)
	v_mad_u32 v2, v3, s60, v2
	v_mul_lo_u32 v5, v1, s65
	s_delay_alu instid0(VALU_DEP_1) | instskip(NEXT) | instid1(VALU_DEP_1)
	v_sub_nc_u32_e32 v3, v6, v5
	v_mad_u32 v4, v3, s63, v4
	s_delay_alu instid0(VALU_DEP_4)
	v_mad_u32 v2, v3, s62, v2
	s_cbranch_scc0 .LBB15_828
; %bb.829:
	s_delay_alu instid0(VALU_DEP_2)
	v_mov_b32_e32 v3, v4
	s_branch .LBB15_833
.LBB15_830:
	s_mov_b32 s22, -1
                                        ; implicit-def: $vgpr4
                                        ; implicit-def: $vgpr2
	s_branch .LBB15_838
.LBB15_831:
	v_dual_mov_b32 v4, 0 :: v_dual_mov_b32 v2, 0
	s_branch .LBB15_837
.LBB15_832:
	v_mov_b64_e32 v[2:3], 0
	s_wait_loadcnt 0x0
	v_mov_b32_e32 v1, v0
                                        ; implicit-def: $vgpr4
.LBB15_833:
	s_and_b32 s26, s38, 3
	s_mov_b32 s25, 0
	s_cmp_eq_u32 s26, 0
	s_cbranch_scc1 .LBB15_837
; %bb.834:
	s_lshl_b32 s22, s24, 3
	s_mov_b32 s23, s25
	s_mul_u64 s[24:25], s[24:25], 12
	s_add_nc_u64 s[22:23], s[2:3], s[22:23]
	s_add_nc_u64 s[24:25], s[2:3], s[24:25]
	;; [unrolled: 1-line block ×3, first 2 shown]
.LBB15_835:                             ; =>This Inner Loop Header: Depth=1
	s_load_b96 s[48:50], s[24:25], 0x4
	s_load_b64 s[38:39], s[22:23], 0x0
	s_add_co_i32 s26, s26, -1
	s_wait_xcnt 0x0
	s_add_nc_u64 s[24:25], s[24:25], 12
	s_cmp_lg_u32 s26, 0
	s_add_nc_u64 s[22:23], s[22:23], 8
	s_wait_kmcnt 0x0
	v_mul_hi_u32 v4, s49, v1
	s_delay_alu instid0(VALU_DEP_1) | instskip(NEXT) | instid1(VALU_DEP_1)
	v_add_nc_u32_e32 v4, v1, v4
	v_lshrrev_b32_e32 v4, s50, v4
	s_delay_alu instid0(VALU_DEP_1) | instskip(NEXT) | instid1(VALU_DEP_1)
	v_mul_lo_u32 v5, v4, s48
	v_sub_nc_u32_e32 v1, v1, v5
	s_delay_alu instid0(VALU_DEP_1)
	v_mad_u32 v3, v1, s39, v3
	v_mad_u32 v2, v1, s38, v2
	v_mov_b32_e32 v1, v4
	s_cbranch_scc1 .LBB15_835
; %bb.836:
	s_delay_alu instid0(VALU_DEP_3)
	v_mov_b32_e32 v4, v3
.LBB15_837:
	s_mov_b32 s22, 0
.LBB15_838:
	s_delay_alu instid0(SALU_CYCLE_1)
	s_and_not1_b32 vcc_lo, exec_lo, s22
	s_cbranch_vccnz .LBB15_841
; %bb.839:
	s_wait_loadcnt 0x0
	v_mov_b32_e32 v1, 0
	s_and_not1_b32 vcc_lo, exec_lo, s36
	s_delay_alu instid0(VALU_DEP_1) | instskip(NEXT) | instid1(VALU_DEP_1)
	v_mul_u64_e32 v[2:3], s[18:19], v[0:1]
	v_add_nc_u32_e32 v2, v0, v3
	s_delay_alu instid0(VALU_DEP_1) | instskip(NEXT) | instid1(VALU_DEP_1)
	v_lshrrev_b32_e32 v6, s10, v2
	v_mul_lo_u32 v2, v6, s8
	s_delay_alu instid0(VALU_DEP_1) | instskip(NEXT) | instid1(VALU_DEP_1)
	v_sub_nc_u32_e32 v0, v0, v2
	v_mul_lo_u32 v4, v0, s13
	v_mul_lo_u32 v2, v0, s12
	s_cbranch_vccnz .LBB15_841
; %bb.840:
	v_mov_b32_e32 v7, v1
	s_delay_alu instid0(VALU_DEP_1) | instskip(NEXT) | instid1(VALU_DEP_1)
	v_mul_u64_e32 v[0:1], s[20:21], v[6:7]
	v_add_nc_u32_e32 v0, v6, v1
	s_delay_alu instid0(VALU_DEP_1) | instskip(NEXT) | instid1(VALU_DEP_1)
	v_lshrrev_b32_e32 v0, s1, v0
	v_mul_lo_u32 v0, v0, s11
	s_delay_alu instid0(VALU_DEP_1) | instskip(NEXT) | instid1(VALU_DEP_1)
	v_sub_nc_u32_e32 v0, v6, v0
	v_mad_u32 v2, v0, s14, v2
	v_mad_u32 v4, v0, s15, v4
.LBB15_841:
	v_mov_b32_e32 v5, 0
	s_and_b32 s1, 0xffff, s9
	s_delay_alu instid0(SALU_CYCLE_1) | instskip(NEXT) | instid1(VALU_DEP_1)
	s_cmp_lt_i32 s1, 11
	v_add_nc_u64_e32 v[4:5], s[6:7], v[4:5]
	s_cbranch_scc1 .LBB15_848
; %bb.842:
	s_cmp_gt_i32 s1, 25
	s_mov_b32 s7, 0
	s_cbranch_scc0 .LBB15_849
; %bb.843:
	s_cmp_gt_i32 s1, 28
	s_cbranch_scc0 .LBB15_850
; %bb.844:
	s_cmp_gt_i32 s1, 43
	;; [unrolled: 3-line block ×3, first 2 shown]
	s_cbranch_scc0 .LBB15_854
; %bb.846:
	s_cmp_eq_u32 s1, 46
	s_mov_b32 s10, 0
	s_cbranch_scc0 .LBB15_857
; %bb.847:
	global_load_b32 v0, v[4:5], off
	s_mov_b32 s6, 0
	s_mov_b32 s8, -1
	s_wait_loadcnt 0x0
	v_lshlrev_b32_e32 v6, 16, v0
	s_branch .LBB15_859
.LBB15_848:
	s_mov_b32 s1, -1
	s_mov_b32 s8, 0
	s_mov_b32 s7, 0
	;; [unrolled: 1-line block ×3, first 2 shown]
                                        ; implicit-def: $vgpr6
	s_branch .LBB15_922
.LBB15_849:
	s_mov_b32 s10, -1
	s_mov_b32 s8, 0
	s_mov_b32 s6, s0
                                        ; implicit-def: $vgpr6
	s_branch .LBB15_888
.LBB15_850:
	s_mov_b32 s10, -1
	s_mov_b32 s8, 0
	s_mov_b32 s6, s0
                                        ; implicit-def: $vgpr6
	s_branch .LBB15_869
.LBB15_851:
	s_mov_b32 s10, -1
	s_mov_b32 s8, 0
	s_mov_b32 s6, s0
                                        ; implicit-def: $vgpr6
	s_branch .LBB15_864
.LBB15_852:
	s_and_not1_saveexec_b32 s29, s29
	s_cbranch_execz .LBB15_771
.LBB15_853:
	v_add_f32_e64 v1, 0x46000000, |v4|
	s_and_not1_b32 s28, s28, exec_lo
	s_delay_alu instid0(VALU_DEP_1) | instskip(NEXT) | instid1(VALU_DEP_1)
	v_and_b32_e32 v1, 0xff, v1
	v_cmp_ne_u32_e32 vcc_lo, 0, v1
	s_and_b32 s47, vcc_lo, exec_lo
	s_delay_alu instid0(SALU_CYCLE_1)
	s_or_b32 s28, s28, s47
	s_or_b32 exec_lo, exec_lo, s29
	v_mov_b32_e32 v5, 0
	s_and_saveexec_b32 s29, s28
	s_cbranch_execnz .LBB15_772
	s_branch .LBB15_773
.LBB15_854:
	s_mov_b32 s10, -1
	s_mov_b32 s8, 0
	s_mov_b32 s6, s0
	s_branch .LBB15_858
.LBB15_855:
	s_and_not1_saveexec_b32 s29, s29
	s_cbranch_execz .LBB15_784
.LBB15_856:
	v_add_f32_e64 v1, 0x42800000, |v4|
	s_and_not1_b32 s28, s28, exec_lo
	s_delay_alu instid0(VALU_DEP_1) | instskip(NEXT) | instid1(VALU_DEP_1)
	v_and_b32_e32 v1, 0xff, v1
	v_cmp_ne_u32_e32 vcc_lo, 0, v1
	s_and_b32 s47, vcc_lo, exec_lo
	s_delay_alu instid0(SALU_CYCLE_1)
	s_or_b32 s28, s28, s47
	s_or_b32 exec_lo, exec_lo, s29
	v_mov_b32_e32 v5, 0
	s_and_saveexec_b32 s29, s28
	s_cbranch_execnz .LBB15_785
	s_branch .LBB15_786
.LBB15_857:
	s_mov_b32 s6, -1
	s_mov_b32 s8, 0
.LBB15_858:
                                        ; implicit-def: $vgpr6
.LBB15_859:
	s_and_b32 vcc_lo, exec_lo, s10
	s_cbranch_vccz .LBB15_863
; %bb.860:
	s_cmp_eq_u32 s1, 44
	s_cbranch_scc0 .LBB15_862
; %bb.861:
	global_load_u8 v0, v[4:5], off
	s_mov_b32 s6, 0
	s_mov_b32 s8, -1
	s_wait_loadcnt 0x0
	v_lshlrev_b32_e32 v1, 23, v0
	v_cmp_ne_u32_e32 vcc_lo, 0xff, v0
	s_delay_alu instid0(VALU_DEP_2) | instskip(SKIP_1) | instid1(VALU_DEP_2)
	v_cndmask_b32_e32 v1, 0x7f800001, v1, vcc_lo
	v_cmp_ne_u32_e32 vcc_lo, 0, v0
	v_cndmask_b32_e32 v6, 0x400000, v1, vcc_lo
	s_branch .LBB15_863
.LBB15_862:
	s_mov_b32 s6, -1
                                        ; implicit-def: $vgpr6
.LBB15_863:
	s_mov_b32 s10, 0
.LBB15_864:
	s_delay_alu instid0(SALU_CYCLE_1)
	s_and_b32 vcc_lo, exec_lo, s10
	s_cbranch_vccz .LBB15_868
; %bb.865:
	s_cmp_eq_u32 s1, 29
	s_cbranch_scc0 .LBB15_867
; %bb.866:
	s_wait_loadcnt 0x0
	global_load_b64 v[0:1], v[4:5], off
	s_mov_b32 s6, 0
	s_mov_b32 s8, -1
	s_mov_b32 s10, 0
	s_wait_loadcnt 0x0
	v_clz_i32_u32_e32 v3, v1
	s_delay_alu instid0(VALU_DEP_1) | instskip(NEXT) | instid1(VALU_DEP_1)
	v_min_u32_e32 v3, 32, v3
	v_lshlrev_b64_e32 v[0:1], v3, v[0:1]
	s_delay_alu instid0(VALU_DEP_1) | instskip(NEXT) | instid1(VALU_DEP_1)
	v_min_u32_e32 v0, 1, v0
	v_dual_sub_nc_u32 v1, 32, v3 :: v_dual_bitop2_b32 v0, v1, v0 bitop3:0x54
	s_delay_alu instid0(VALU_DEP_1) | instskip(NEXT) | instid1(VALU_DEP_1)
	v_cvt_f32_u32_e32 v0, v0
	v_ldexp_f32 v6, v0, v1
	s_branch .LBB15_869
.LBB15_867:
	s_mov_b32 s6, -1
                                        ; implicit-def: $vgpr6
.LBB15_868:
	s_mov_b32 s10, 0
.LBB15_869:
	s_delay_alu instid0(SALU_CYCLE_1)
	s_and_b32 vcc_lo, exec_lo, s10
	s_cbranch_vccz .LBB15_887
; %bb.870:
	s_cmp_lt_i32 s1, 27
	s_cbranch_scc1 .LBB15_873
; %bb.871:
	s_cmp_gt_i32 s1, 27
	s_cbranch_scc0 .LBB15_874
; %bb.872:
	global_load_b32 v0, v[4:5], off
	s_mov_b32 s8, 0
	s_wait_loadcnt 0x0
	v_cvt_f32_u32_e32 v6, v0
	s_branch .LBB15_875
.LBB15_873:
	s_mov_b32 s8, -1
                                        ; implicit-def: $vgpr6
	s_branch .LBB15_878
.LBB15_874:
	s_mov_b32 s8, -1
                                        ; implicit-def: $vgpr6
.LBB15_875:
	s_delay_alu instid0(SALU_CYCLE_1)
	s_and_not1_b32 vcc_lo, exec_lo, s8
	s_cbranch_vccnz .LBB15_877
; %bb.876:
	global_load_u16 v0, v[4:5], off
	s_wait_loadcnt 0x0
	v_cvt_f32_u32_e32 v6, v0
.LBB15_877:
	s_mov_b32 s8, 0
.LBB15_878:
	s_delay_alu instid0(SALU_CYCLE_1)
	s_and_not1_b32 vcc_lo, exec_lo, s8
	s_cbranch_vccnz .LBB15_886
; %bb.879:
	global_load_u8 v0, v[4:5], off
	s_mov_b32 s8, 0
	s_mov_b32 s10, exec_lo
	s_wait_loadcnt 0x0
	v_cmpx_lt_i16_e32 0x7f, v0
	s_xor_b32 s10, exec_lo, s10
	s_cbranch_execz .LBB15_900
; %bb.880:
	s_mov_b32 s8, -1
	s_mov_b32 s11, exec_lo
	v_cmpx_eq_u16_e32 0x80, v0
; %bb.881:
	s_xor_b32 s8, exec_lo, -1
; %bb.882:
	s_or_b32 exec_lo, exec_lo, s11
	s_delay_alu instid0(SALU_CYCLE_1)
	s_and_b32 s8, s8, exec_lo
	s_or_saveexec_b32 s10, s10
	v_mov_b32_e32 v6, 0x7f800001
	s_xor_b32 exec_lo, exec_lo, s10
	s_cbranch_execnz .LBB15_901
.LBB15_883:
	s_or_b32 exec_lo, exec_lo, s10
	s_and_saveexec_b32 s10, s8
	s_cbranch_execz .LBB15_885
.LBB15_884:
	v_and_b32_e32 v1, 0xffff, v0
	s_delay_alu instid0(VALU_DEP_1) | instskip(SKIP_1) | instid1(VALU_DEP_2)
	v_and_b32_e32 v3, 7, v1
	v_bfe_u32 v8, v1, 3, 4
	v_clz_i32_u32_e32 v6, v3
	s_delay_alu instid0(VALU_DEP_2) | instskip(NEXT) | instid1(VALU_DEP_2)
	v_cmp_eq_u32_e32 vcc_lo, 0, v8
	v_min_u32_e32 v6, 32, v6
	s_delay_alu instid0(VALU_DEP_1) | instskip(NEXT) | instid1(VALU_DEP_1)
	v_subrev_nc_u32_e32 v7, 28, v6
	v_dual_lshlrev_b32 v1, v7, v1 :: v_dual_sub_nc_u32 v6, 29, v6
	s_delay_alu instid0(VALU_DEP_1) | instskip(NEXT) | instid1(VALU_DEP_1)
	v_dual_lshlrev_b32 v0, 24, v0 :: v_dual_bitop2_b32 v1, 7, v1 bitop3:0x40
	v_dual_cndmask_b32 v6, v8, v6 :: v_dual_cndmask_b32 v1, v3, v1
	s_delay_alu instid0(VALU_DEP_2) | instskip(NEXT) | instid1(VALU_DEP_2)
	v_and_b32_e32 v0, 0x80000000, v0
	v_lshl_add_u32 v3, v6, 23, 0x3b800000
	s_delay_alu instid0(VALU_DEP_3) | instskip(NEXT) | instid1(VALU_DEP_1)
	v_lshlrev_b32_e32 v1, 20, v1
	v_or3_b32 v6, v0, v3, v1
.LBB15_885:
	s_or_b32 exec_lo, exec_lo, s10
.LBB15_886:
	s_mov_b32 s8, -1
.LBB15_887:
	s_mov_b32 s10, 0
.LBB15_888:
	s_delay_alu instid0(SALU_CYCLE_1)
	s_and_b32 vcc_lo, exec_lo, s10
	s_cbranch_vccz .LBB15_921
; %bb.889:
	s_cmp_gt_i32 s1, 22
	s_cbranch_scc0 .LBB15_899
; %bb.890:
	s_cmp_lt_i32 s1, 24
	s_cbranch_scc1 .LBB15_902
; %bb.891:
	s_cmp_gt_i32 s1, 24
	s_cbranch_scc0 .LBB15_903
; %bb.892:
	global_load_u8 v0, v[4:5], off
	s_mov_b32 s8, exec_lo
	s_wait_loadcnt 0x0
	v_cmpx_lt_i16_e32 0x7f, v0
	s_xor_b32 s8, exec_lo, s8
	s_cbranch_execz .LBB15_915
; %bb.893:
	s_mov_b32 s7, -1
	s_mov_b32 s10, exec_lo
	v_cmpx_eq_u16_e32 0x80, v0
; %bb.894:
	s_xor_b32 s7, exec_lo, -1
; %bb.895:
	s_or_b32 exec_lo, exec_lo, s10
	s_delay_alu instid0(SALU_CYCLE_1)
	s_and_b32 s7, s7, exec_lo
	s_or_saveexec_b32 s8, s8
	v_mov_b32_e32 v6, 0x7f800001
	s_xor_b32 exec_lo, exec_lo, s8
	s_cbranch_execnz .LBB15_916
.LBB15_896:
	s_or_b32 exec_lo, exec_lo, s8
	s_and_saveexec_b32 s8, s7
	s_cbranch_execz .LBB15_898
.LBB15_897:
	v_and_b32_e32 v1, 0xffff, v0
	s_delay_alu instid0(VALU_DEP_1) | instskip(SKIP_1) | instid1(VALU_DEP_2)
	v_and_b32_e32 v3, 3, v1
	v_bfe_u32 v8, v1, 2, 5
	v_clz_i32_u32_e32 v6, v3
	s_delay_alu instid0(VALU_DEP_2) | instskip(NEXT) | instid1(VALU_DEP_2)
	v_cmp_eq_u32_e32 vcc_lo, 0, v8
	v_min_u32_e32 v6, 32, v6
	s_delay_alu instid0(VALU_DEP_1) | instskip(NEXT) | instid1(VALU_DEP_1)
	v_subrev_nc_u32_e32 v7, 29, v6
	v_dual_lshlrev_b32 v1, v7, v1 :: v_dual_sub_nc_u32 v6, 30, v6
	s_delay_alu instid0(VALU_DEP_1) | instskip(NEXT) | instid1(VALU_DEP_1)
	v_dual_lshlrev_b32 v0, 24, v0 :: v_dual_bitop2_b32 v1, 3, v1 bitop3:0x40
	v_dual_cndmask_b32 v6, v8, v6 :: v_dual_cndmask_b32 v1, v3, v1
	s_delay_alu instid0(VALU_DEP_2) | instskip(NEXT) | instid1(VALU_DEP_2)
	v_and_b32_e32 v0, 0x80000000, v0
	v_lshl_add_u32 v3, v6, 23, 0x37800000
	s_delay_alu instid0(VALU_DEP_3) | instskip(NEXT) | instid1(VALU_DEP_1)
	v_lshlrev_b32_e32 v1, 21, v1
	v_or3_b32 v6, v0, v3, v1
.LBB15_898:
	s_or_b32 exec_lo, exec_lo, s8
	s_mov_b32 s7, 0
	s_branch .LBB15_904
.LBB15_899:
	s_mov_b32 s7, -1
                                        ; implicit-def: $vgpr6
	s_branch .LBB15_910
.LBB15_900:
	s_or_saveexec_b32 s10, s10
	v_mov_b32_e32 v6, 0x7f800001
	s_xor_b32 exec_lo, exec_lo, s10
	s_cbranch_execz .LBB15_883
.LBB15_901:
	v_cmp_ne_u16_e32 vcc_lo, 0, v0
	v_mov_b32_e32 v6, 0
	s_and_not1_b32 s8, s8, exec_lo
	s_and_b32 s11, vcc_lo, exec_lo
	s_delay_alu instid0(SALU_CYCLE_1)
	s_or_b32 s8, s8, s11
	s_or_b32 exec_lo, exec_lo, s10
	s_and_saveexec_b32 s10, s8
	s_cbranch_execnz .LBB15_884
	s_branch .LBB15_885
.LBB15_902:
	s_mov_b32 s7, -1
                                        ; implicit-def: $vgpr6
	s_branch .LBB15_907
.LBB15_903:
	s_mov_b32 s7, -1
                                        ; implicit-def: $vgpr6
.LBB15_904:
	s_delay_alu instid0(SALU_CYCLE_1)
	s_and_b32 vcc_lo, exec_lo, s7
	s_cbranch_vccz .LBB15_906
; %bb.905:
	global_load_u8 v0, v[4:5], off
	s_wait_loadcnt 0x0
	v_lshlrev_b32_e32 v0, 24, v0
	s_delay_alu instid0(VALU_DEP_1) | instskip(NEXT) | instid1(VALU_DEP_1)
	v_and_b32_e32 v1, 0x7f000000, v0
	v_clz_i32_u32_e32 v3, v1
	v_add_nc_u32_e32 v7, 0x1000000, v1
	v_cmp_ne_u32_e32 vcc_lo, 0, v1
	s_delay_alu instid0(VALU_DEP_3) | instskip(NEXT) | instid1(VALU_DEP_1)
	v_min_u32_e32 v3, 32, v3
	v_sub_nc_u32_e64 v3, v3, 4 clamp
	s_delay_alu instid0(VALU_DEP_1) | instskip(NEXT) | instid1(VALU_DEP_1)
	v_dual_lshlrev_b32 v6, v3, v1 :: v_dual_lshlrev_b32 v3, 23, v3
	v_lshrrev_b32_e32 v6, 4, v6
	s_delay_alu instid0(VALU_DEP_1) | instskip(SKIP_1) | instid1(VALU_DEP_2)
	v_sub_nc_u32_e32 v3, v6, v3
	v_ashrrev_i32_e32 v6, 8, v7
	v_add_nc_u32_e32 v3, 0x3c000000, v3
	s_delay_alu instid0(VALU_DEP_1) | instskip(NEXT) | instid1(VALU_DEP_1)
	v_and_or_b32 v3, 0x7f800000, v6, v3
	v_cndmask_b32_e32 v1, 0, v3, vcc_lo
	s_delay_alu instid0(VALU_DEP_1)
	v_and_or_b32 v6, 0x80000000, v0, v1
.LBB15_906:
	s_mov_b32 s7, 0
.LBB15_907:
	s_delay_alu instid0(SALU_CYCLE_1)
	s_and_not1_b32 vcc_lo, exec_lo, s7
	s_cbranch_vccnz .LBB15_909
; %bb.908:
	global_load_u8 v0, v[4:5], off
	s_wait_loadcnt 0x0
	v_lshlrev_b32_e32 v1, 25, v0
	v_lshlrev_b16 v0, 8, v0
	s_delay_alu instid0(VALU_DEP_1) | instskip(SKIP_1) | instid1(VALU_DEP_2)
	v_and_or_b32 v6, 0x7f00, v0, 0.5
	v_bfe_i32 v0, v0, 0, 16
	v_dual_add_f32 v6, -0.5, v6 :: v_dual_lshrrev_b32 v3, 4, v1
	v_cmp_gt_u32_e32 vcc_lo, 0x8000000, v1
	s_delay_alu instid0(VALU_DEP_2) | instskip(NEXT) | instid1(VALU_DEP_1)
	v_or_b32_e32 v3, 0x70000000, v3
	v_mul_f32_e32 v3, 0x7800000, v3
	s_delay_alu instid0(VALU_DEP_1) | instskip(NEXT) | instid1(VALU_DEP_1)
	v_cndmask_b32_e32 v1, v3, v6, vcc_lo
	v_and_or_b32 v6, 0x80000000, v0, v1
.LBB15_909:
	s_mov_b32 s7, 0
	s_mov_b32 s8, -1
.LBB15_910:
	s_and_not1_b32 vcc_lo, exec_lo, s7
	s_mov_b32 s7, 0
	s_cbranch_vccnz .LBB15_921
; %bb.911:
	s_cmp_gt_i32 s1, 14
	s_cbranch_scc0 .LBB15_914
; %bb.912:
	s_cmp_eq_u32 s1, 15
	s_cbranch_scc0 .LBB15_917
; %bb.913:
	global_load_u16 v0, v[4:5], off
	s_mov_b32 s6, 0
	s_mov_b32 s8, -1
	s_wait_loadcnt 0x0
	v_lshlrev_b32_e32 v6, 16, v0
	s_branch .LBB15_919
.LBB15_914:
	s_mov_b32 s7, -1
	s_branch .LBB15_918
.LBB15_915:
	s_or_saveexec_b32 s8, s8
	v_mov_b32_e32 v6, 0x7f800001
	s_xor_b32 exec_lo, exec_lo, s8
	s_cbranch_execz .LBB15_896
.LBB15_916:
	v_cmp_ne_u16_e32 vcc_lo, 0, v0
	v_mov_b32_e32 v6, 0
	s_and_not1_b32 s7, s7, exec_lo
	s_and_b32 s10, vcc_lo, exec_lo
	s_delay_alu instid0(SALU_CYCLE_1)
	s_or_b32 s7, s7, s10
	s_or_b32 exec_lo, exec_lo, s8
	s_and_saveexec_b32 s8, s7
	s_cbranch_execnz .LBB15_897
	s_branch .LBB15_898
.LBB15_917:
	s_mov_b32 s6, -1
.LBB15_918:
                                        ; implicit-def: $vgpr6
.LBB15_919:
	s_and_b32 vcc_lo, exec_lo, s7
	s_mov_b32 s7, 0
	s_cbranch_vccz .LBB15_921
; %bb.920:
	s_cmp_lg_u32 s1, 11
	s_mov_b32 s7, -1
	s_cselect_b32 s1, -1, 0
	s_and_not1_b32 s6, s6, exec_lo
	s_and_b32 s1, s1, exec_lo
	s_delay_alu instid0(SALU_CYCLE_1)
	s_or_b32 s6, s6, s1
.LBB15_921:
	s_mov_b32 s1, 0
.LBB15_922:
	s_delay_alu instid0(SALU_CYCLE_1)
	s_and_b32 s24, s1, exec_lo
	s_and_not1_b32 s1, s0, exec_lo
	s_and_b32 s6, s6, exec_lo
	s_and_b32 s26, s8, exec_lo
	;; [unrolled: 1-line block ×3, first 2 shown]
	s_or_b32 s27, s1, s6
.LBB15_923:
	s_wait_xcnt 0x0
	s_or_b32 exec_lo, exec_lo, s37
	s_delay_alu instid0(SALU_CYCLE_1)
	s_and_not1_b32 s0, s0, exec_lo
	s_and_b32 s1, s27, exec_lo
	s_and_b32 s26, s26, exec_lo
	;; [unrolled: 1-line block ×4, first 2 shown]
	s_or_b32 s0, s0, s1
.LBB15_924:
	s_or_b32 exec_lo, exec_lo, s29
	s_delay_alu instid0(SALU_CYCLE_1)
	s_and_not1_b32 s1, s44, exec_lo
	s_and_b32 s6, s28, exec_lo
	s_and_b32 s0, s0, exec_lo
	s_or_b32 s44, s1, s6
	s_and_not1_b32 s1, s43, exec_lo
	s_and_b32 s26, s26, exec_lo
	s_and_b32 s24, s24, exec_lo
	;; [unrolled: 1-line block ×3, first 2 shown]
	s_or_b32 s43, s1, s0
.LBB15_925:
	s_or_b32 exec_lo, exec_lo, s45
	s_delay_alu instid0(SALU_CYCLE_1)
	s_and_not1_b32 s0, s40, exec_lo
	s_and_b32 s1, s44, exec_lo
	s_and_b32 s6, s43, exec_lo
	s_or_b32 s40, s0, s1
	s_and_not1_b32 s1, s41, exec_lo
	s_and_b32 s0, s26, exec_lo
	s_and_b32 s24, s24, exec_lo
	;; [unrolled: 1-line block ×3, first 2 shown]
	s_or_b32 s41, s1, s6
	s_or_b32 exec_lo, exec_lo, s42
	s_mov_b32 s1, 0
	s_and_saveexec_b32 s6, s41
	s_cbranch_execz .LBB15_276
.LBB15_926:
	s_mov_b32 s1, exec_lo
	s_and_not1_b32 s19, s19, exec_lo
	s_trap 2
	s_or_b32 exec_lo, exec_lo, s6
	s_and_saveexec_b32 s6, s19
	s_delay_alu instid0(SALU_CYCLE_1)
	s_xor_b32 s6, exec_lo, s6
	s_cbranch_execnz .LBB15_277
.LBB15_927:
	s_or_b32 exec_lo, exec_lo, s6
	s_and_saveexec_b32 s6, s24
	s_cbranch_execz .LBB15_973
.LBB15_928:
	s_sext_i32_i16 s7, s9
	s_delay_alu instid0(SALU_CYCLE_1)
	s_cmp_lt_i32 s7, 5
	s_cbranch_scc1 .LBB15_933
; %bb.929:
	s_cmp_lt_i32 s7, 8
	s_cbranch_scc1 .LBB15_934
; %bb.930:
	;; [unrolled: 3-line block ×3, first 2 shown]
	s_cmp_gt_i32 s7, 9
	s_cbranch_scc0 .LBB15_936
; %bb.932:
	s_wait_loadcnt 0x0
	global_load_b64 v[0:1], v[4:5], off
	s_mov_b32 s7, 0
	s_wait_loadcnt 0x0
	v_cvt_f32_f64_e32 v6, v[0:1]
	s_branch .LBB15_937
.LBB15_933:
                                        ; implicit-def: $vgpr6
	s_branch .LBB15_954
.LBB15_934:
                                        ; implicit-def: $vgpr6
	s_branch .LBB15_943
.LBB15_935:
	s_mov_b32 s7, -1
                                        ; implicit-def: $vgpr6
	s_branch .LBB15_940
.LBB15_936:
	s_mov_b32 s7, -1
                                        ; implicit-def: $vgpr6
.LBB15_937:
	s_delay_alu instid0(SALU_CYCLE_1)
	s_and_not1_b32 vcc_lo, exec_lo, s7
	s_cbranch_vccnz .LBB15_939
; %bb.938:
	global_load_b32 v6, v[4:5], off
.LBB15_939:
	s_mov_b32 s7, 0
.LBB15_940:
	s_delay_alu instid0(SALU_CYCLE_1)
	s_and_not1_b32 vcc_lo, exec_lo, s7
	s_cbranch_vccnz .LBB15_942
; %bb.941:
	global_load_b32 v0, v[4:5], off
	s_wait_loadcnt 0x0
	v_cvt_f32_f16_e32 v6, v0
.LBB15_942:
	s_cbranch_execnz .LBB15_953
.LBB15_943:
	s_sext_i32_i16 s7, s9
	s_delay_alu instid0(SALU_CYCLE_1)
	s_cmp_lt_i32 s7, 6
	s_cbranch_scc1 .LBB15_946
; %bb.944:
	s_cmp_gt_i32 s7, 6
	s_cbranch_scc0 .LBB15_947
; %bb.945:
	s_wait_loadcnt 0x0
	global_load_b64 v[0:1], v[4:5], off
	s_mov_b32 s7, 0
	s_wait_loadcnt 0x0
	v_cvt_f32_f64_e32 v6, v[0:1]
	s_branch .LBB15_948
.LBB15_946:
	s_mov_b32 s7, -1
                                        ; implicit-def: $vgpr6
	s_branch .LBB15_951
.LBB15_947:
	s_mov_b32 s7, -1
                                        ; implicit-def: $vgpr6
.LBB15_948:
	s_delay_alu instid0(SALU_CYCLE_1)
	s_and_not1_b32 vcc_lo, exec_lo, s7
	s_cbranch_vccnz .LBB15_950
; %bb.949:
	s_wait_loadcnt 0x0
	global_load_b32 v6, v[4:5], off
.LBB15_950:
	s_mov_b32 s7, 0
.LBB15_951:
	s_delay_alu instid0(SALU_CYCLE_1)
	s_and_not1_b32 vcc_lo, exec_lo, s7
	s_cbranch_vccnz .LBB15_953
; %bb.952:
	global_load_u16 v0, v[4:5], off
	s_wait_loadcnt 0x0
	v_cvt_f32_f16_e32 v6, v0
.LBB15_953:
	s_cbranch_execnz .LBB15_972
.LBB15_954:
	s_sext_i32_i16 s7, s9
	s_delay_alu instid0(SALU_CYCLE_1)
	s_cmp_lt_i32 s7, 2
	s_cbranch_scc1 .LBB15_958
; %bb.955:
	s_cmp_lt_i32 s7, 3
	s_cbranch_scc1 .LBB15_959
; %bb.956:
	s_cmp_gt_i32 s7, 3
	s_cbranch_scc0 .LBB15_960
; %bb.957:
	s_wait_loadcnt 0x0
	global_load_b64 v[0:1], v[4:5], off
	s_mov_b32 s7, 0
	s_wait_loadcnt 0x0
	v_xor_b32_e32 v3, v0, v1
	v_cls_i32_e32 v6, v1
	s_delay_alu instid0(VALU_DEP_2) | instskip(NEXT) | instid1(VALU_DEP_1)
	v_ashrrev_i32_e32 v3, 31, v3
	v_add_nc_u32_e32 v3, 32, v3
	s_delay_alu instid0(VALU_DEP_1) | instskip(NEXT) | instid1(VALU_DEP_1)
	v_add_min_u32_e64 v3, v6, -1, v3
	v_lshlrev_b64_e32 v[0:1], v3, v[0:1]
	s_delay_alu instid0(VALU_DEP_1) | instskip(NEXT) | instid1(VALU_DEP_1)
	v_min_u32_e32 v0, 1, v0
	v_dual_sub_nc_u32 v1, 32, v3 :: v_dual_bitop2_b32 v0, v1, v0 bitop3:0x54
	s_delay_alu instid0(VALU_DEP_1) | instskip(NEXT) | instid1(VALU_DEP_1)
	v_cvt_f32_i32_e32 v0, v0
	v_ldexp_f32 v6, v0, v1
	s_branch .LBB15_961
.LBB15_958:
                                        ; implicit-def: $vgpr6
	s_branch .LBB15_967
.LBB15_959:
	s_mov_b32 s7, -1
                                        ; implicit-def: $vgpr6
	s_branch .LBB15_964
.LBB15_960:
	s_mov_b32 s7, -1
                                        ; implicit-def: $vgpr6
.LBB15_961:
	s_delay_alu instid0(SALU_CYCLE_1)
	s_and_not1_b32 vcc_lo, exec_lo, s7
	s_cbranch_vccnz .LBB15_963
; %bb.962:
	global_load_b32 v0, v[4:5], off
	s_wait_loadcnt 0x0
	v_cvt_f32_i32_e32 v6, v0
.LBB15_963:
	s_mov_b32 s7, 0
.LBB15_964:
	s_delay_alu instid0(SALU_CYCLE_1)
	s_and_not1_b32 vcc_lo, exec_lo, s7
	s_cbranch_vccnz .LBB15_966
; %bb.965:
	global_load_i16 v0, v[4:5], off
	s_wait_loadcnt 0x0
	v_cvt_f32_i32_e32 v6, v0
.LBB15_966:
	s_cbranch_execnz .LBB15_972
.LBB15_967:
	s_sext_i32_i16 s7, s9
	s_delay_alu instid0(SALU_CYCLE_1)
	s_cmp_gt_i32 s7, 0
	s_mov_b32 s7, 0
	s_cbranch_scc0 .LBB15_969
; %bb.968:
	global_load_i8 v0, v[4:5], off
	s_wait_loadcnt 0x0
	v_cvt_f32_i32_e32 v6, v0
	s_branch .LBB15_970
.LBB15_969:
	s_mov_b32 s7, -1
                                        ; implicit-def: $vgpr6
.LBB15_970:
	s_delay_alu instid0(SALU_CYCLE_1)
	s_and_not1_b32 vcc_lo, exec_lo, s7
	s_cbranch_vccnz .LBB15_972
; %bb.971:
	global_load_u8 v0, v[4:5], off
	s_wait_loadcnt 0x0
	v_cvt_f32_ubyte0_e32 v6, v0
.LBB15_972:
	s_or_b32 s0, s0, exec_lo
.LBB15_973:
	s_wait_xcnt 0x0
	s_or_b32 exec_lo, exec_lo, s6
	s_mov_b32 s9, 0
	s_mov_b32 s8, 0
                                        ; implicit-def: $sgpr6
                                        ; implicit-def: $vgpr0_vgpr1
                                        ; implicit-def: $vgpr4
	s_and_saveexec_b32 s7, s0
	s_cbranch_execz .LBB15_1048
; %bb.974:
	s_wait_loadcnt 0x0
	s_delay_alu instid0(VALU_DEP_1)
	v_cmp_nge_f32_e64 s0, v6, -s16
	v_cmp_nge_f32_e32 vcc_lo, s16, v6
	s_and_b32 s6, s17, 0xff
	s_or_b32 vcc_lo, s0, vcc_lo
	v_dual_mov_b32 v3, 0 :: v_dual_cndmask_b32 v4, 0, v6
	s_cmp_lt_i32 s6, 11
	s_mov_b32 s0, s40
	s_delay_alu instid0(VALU_DEP_1)
	v_add_nc_u64_e32 v[0:1], s[4:5], v[2:3]
	s_mov_b32 s5, -1
	s_cbranch_scc1 .LBB15_1052
; %bb.975:
	s_and_b32 s4, 0xffff, s6
	s_mov_b32 s0, s40
	s_cmp_gt_i32 s4, 25
	s_cbranch_scc0 .LBB15_1008
; %bb.976:
	s_cmp_gt_i32 s4, 28
	s_mov_b32 s0, s40
	s_cbranch_scc0 .LBB15_992
; %bb.977:
	s_cmp_gt_i32 s4, 43
	s_mov_b32 s0, s40
	;; [unrolled: 4-line block ×3, first 2 shown]
	s_cbranch_scc0 .LBB15_982
; %bb.979:
	s_cmp_eq_u32 s4, 46
	s_mov_b32 s0, -1
	s_cbranch_scc0 .LBB15_981
; %bb.980:
	v_bfe_u32 v2, v4, 16, 1
	v_cmp_o_f32_e32 vcc_lo, v4, v4
	s_mov_b32 s0, 0
	s_delay_alu instid0(VALU_DEP_2) | instskip(NEXT) | instid1(VALU_DEP_1)
	v_add3_u32 v2, v4, v2, 0x7fff
	v_lshrrev_b32_e32 v2, 16, v2
	s_delay_alu instid0(VALU_DEP_1)
	v_cndmask_b32_e32 v2, 0x7fc0, v2, vcc_lo
	global_store_b32 v[0:1], v2, off
.LBB15_981:
	s_mov_b32 s5, 0
.LBB15_982:
	s_delay_alu instid0(SALU_CYCLE_1)
	s_and_b32 vcc_lo, exec_lo, s5
	s_cbranch_vccz .LBB15_987
; %bb.983:
	s_cmp_eq_u32 s4, 44
	s_mov_b32 s0, -1
	s_cbranch_scc0 .LBB15_987
; %bb.984:
	v_bfe_u32 v3, v4, 23, 8
	s_wait_xcnt 0x0
	v_mov_b32_e32 v2, 0xff
	s_mov_b32 s5, exec_lo
	s_delay_alu instid0(VALU_DEP_2)
	v_cmpx_ne_u32_e32 0xff, v3
	s_cbranch_execz .LBB15_986
; %bb.985:
	v_and_b32_e32 v2, 0x400000, v4
	v_and_or_b32 v3, 0x3fffff, v4, v3
	s_delay_alu instid0(VALU_DEP_2) | instskip(NEXT) | instid1(VALU_DEP_2)
	v_cmp_ne_u32_e32 vcc_lo, 0, v2
	v_cmp_ne_u32_e64 s0, 0, v3
	v_lshrrev_b32_e32 v2, 23, v4
	s_and_b32 s0, vcc_lo, s0
	s_delay_alu instid0(SALU_CYCLE_1) | instskip(NEXT) | instid1(VALU_DEP_1)
	v_cndmask_b32_e64 v3, 0, 1, s0
	v_add_nc_u32_e32 v2, v2, v3
.LBB15_986:
	s_or_b32 exec_lo, exec_lo, s5
	s_mov_b32 s0, 0
	global_store_b8 v[0:1], v2, off
.LBB15_987:
	s_mov_b32 s5, 0
.LBB15_988:
	s_delay_alu instid0(SALU_CYCLE_1)
	s_and_b32 vcc_lo, exec_lo, s5
	s_cbranch_vccz .LBB15_991
; %bb.989:
	s_cmp_eq_u32 s4, 29
	s_mov_b32 s0, -1
	s_cbranch_scc0 .LBB15_991
; %bb.990:
	s_wait_xcnt 0x0
	v_trunc_f32_e32 v2, v4
	s_mov_b32 s0, 0
	s_delay_alu instid0(VALU_DEP_1) | instskip(NEXT) | instid1(VALU_DEP_1)
	v_mul_f32_e32 v3, 0x2f800000, v2
	v_floor_f32_e32 v3, v3
	s_delay_alu instid0(VALU_DEP_1) | instskip(SKIP_1) | instid1(VALU_DEP_2)
	v_fmamk_f32 v2, v3, 0xcf800000, v2
	v_cvt_u32_f32_e32 v3, v3
	v_cvt_u32_f32_e32 v2, v2
	global_store_b64 v[0:1], v[2:3], off
.LBB15_991:
	s_mov_b32 s5, 0
.LBB15_992:
	s_delay_alu instid0(SALU_CYCLE_1)
	s_and_b32 vcc_lo, exec_lo, s5
	s_cbranch_vccz .LBB15_1007
; %bb.993:
	s_cmp_lt_i32 s4, 27
	s_mov_b32 s5, -1
	s_cbranch_scc1 .LBB15_999
; %bb.994:
	s_cmp_gt_i32 s4, 27
	s_cbranch_scc0 .LBB15_996
; %bb.995:
	s_wait_xcnt 0x0
	v_cvt_u32_f32_e32 v2, v4
	s_mov_b32 s5, 0
	global_store_b32 v[0:1], v2, off
.LBB15_996:
	s_and_not1_b32 vcc_lo, exec_lo, s5
	s_cbranch_vccnz .LBB15_998
; %bb.997:
	s_wait_xcnt 0x0
	v_cvt_u32_f32_e32 v2, v4
	global_store_b16 v[0:1], v2, off
.LBB15_998:
	s_mov_b32 s5, 0
.LBB15_999:
	s_delay_alu instid0(SALU_CYCLE_1)
	s_and_not1_b32 vcc_lo, exec_lo, s5
	s_cbranch_vccnz .LBB15_1007
; %bb.1000:
	s_wait_xcnt 0x0
	v_and_b32_e32 v2, 0x7fffffff, v4
	v_mov_b32_e32 v3, 0x80
	s_mov_b32 s5, exec_lo
	s_delay_alu instid0(VALU_DEP_2)
	v_cmpx_gt_u32_e32 0x43800000, v2
	s_cbranch_execz .LBB15_1006
; %bb.1001:
	v_cmp_lt_u32_e32 vcc_lo, 0x3bffffff, v2
                                        ; implicit-def: $vgpr2
	s_and_saveexec_b32 s9, vcc_lo
	s_delay_alu instid0(SALU_CYCLE_1)
	s_xor_b32 s9, exec_lo, s9
	s_cbranch_execz .LBB15_1167
; %bb.1002:
	v_bfe_u32 v2, v4, 20, 1
	s_mov_b32 s8, exec_lo
	s_delay_alu instid0(VALU_DEP_1) | instskip(NEXT) | instid1(VALU_DEP_1)
	v_add3_u32 v2, v4, v2, 0x487ffff
	v_lshrrev_b32_e32 v2, 20, v2
	s_and_not1_saveexec_b32 s9, s9
	s_cbranch_execnz .LBB15_1168
.LBB15_1003:
	s_or_b32 exec_lo, exec_lo, s9
	v_mov_b32_e32 v3, 0
	s_and_saveexec_b32 s9, s8
.LBB15_1004:
	v_lshrrev_b32_e32 v3, 24, v4
	s_delay_alu instid0(VALU_DEP_1)
	v_and_or_b32 v3, 0x80, v3, v2
.LBB15_1005:
	s_or_b32 exec_lo, exec_lo, s9
.LBB15_1006:
	s_delay_alu instid0(SALU_CYCLE_1)
	s_or_b32 exec_lo, exec_lo, s5
	global_store_b8 v[0:1], v3, off
.LBB15_1007:
	s_mov_b32 s5, 0
.LBB15_1008:
	s_delay_alu instid0(SALU_CYCLE_1)
	s_and_b32 vcc_lo, exec_lo, s5
	s_mov_b32 s5, 0
	s_cbranch_vccz .LBB15_1051
; %bb.1009:
	s_cmp_gt_i32 s4, 22
	s_mov_b32 s8, -1
	s_cbranch_scc0 .LBB15_1041
; %bb.1010:
	s_cmp_lt_i32 s4, 24
	s_cbranch_scc1 .LBB15_1030
; %bb.1011:
	s_cmp_gt_i32 s4, 24
	s_cbranch_scc0 .LBB15_1019
; %bb.1012:
	s_wait_xcnt 0x0
	v_and_b32_e32 v2, 0x7fffffff, v4
	v_mov_b32_e32 v3, 0x80
	s_mov_b32 s8, exec_lo
	s_delay_alu instid0(VALU_DEP_2)
	v_cmpx_gt_u32_e32 0x47800000, v2
	s_cbranch_execz .LBB15_1018
; %bb.1013:
	v_cmp_lt_u32_e32 vcc_lo, 0x37ffffff, v2
	s_mov_b32 s9, 0
                                        ; implicit-def: $vgpr2
	s_and_saveexec_b32 s10, vcc_lo
	s_delay_alu instid0(SALU_CYCLE_1)
	s_xor_b32 s10, exec_lo, s10
	s_cbranch_execz .LBB15_1293
; %bb.1014:
	v_bfe_u32 v2, v4, 21, 1
	s_mov_b32 s9, exec_lo
	s_delay_alu instid0(VALU_DEP_1) | instskip(NEXT) | instid1(VALU_DEP_1)
	v_add3_u32 v2, v4, v2, 0x88fffff
	v_lshrrev_b32_e32 v2, 21, v2
	s_and_not1_saveexec_b32 s10, s10
	s_cbranch_execnz .LBB15_1294
.LBB15_1015:
	s_or_b32 exec_lo, exec_lo, s10
	v_mov_b32_e32 v3, 0
	s_and_saveexec_b32 s10, s9
.LBB15_1016:
	v_lshrrev_b32_e32 v3, 24, v4
	s_delay_alu instid0(VALU_DEP_1)
	v_and_or_b32 v3, 0x80, v3, v2
.LBB15_1017:
	s_or_b32 exec_lo, exec_lo, s10
.LBB15_1018:
	s_delay_alu instid0(SALU_CYCLE_1)
	s_or_b32 exec_lo, exec_lo, s8
	s_mov_b32 s8, 0
	global_store_b8 v[0:1], v3, off
.LBB15_1019:
	s_and_b32 vcc_lo, exec_lo, s8
	s_cbranch_vccz .LBB15_1029
; %bb.1020:
	s_wait_xcnt 0x0
	v_and_b32_e32 v3, 0x7fffffff, v4
	s_mov_b32 s8, exec_lo
                                        ; implicit-def: $vgpr2
	s_delay_alu instid0(VALU_DEP_1)
	v_cmpx_gt_u32_e32 0x43f00000, v3
	s_xor_b32 s8, exec_lo, s8
	s_cbranch_execz .LBB15_1026
; %bb.1021:
	s_mov_b32 s9, exec_lo
                                        ; implicit-def: $vgpr2
	v_cmpx_lt_u32_e32 0x3c7fffff, v3
	s_xor_b32 s9, exec_lo, s9
; %bb.1022:
	v_bfe_u32 v2, v4, 20, 1
	s_delay_alu instid0(VALU_DEP_1) | instskip(NEXT) | instid1(VALU_DEP_1)
	v_add3_u32 v2, v4, v2, 0x407ffff
	v_and_b32_e32 v3, 0xff00000, v2
	v_lshrrev_b32_e32 v2, 20, v2
	s_delay_alu instid0(VALU_DEP_2) | instskip(NEXT) | instid1(VALU_DEP_2)
	v_cmp_ne_u32_e32 vcc_lo, 0x7f00000, v3
	v_cndmask_b32_e32 v2, 0x7e, v2, vcc_lo
; %bb.1023:
	s_and_not1_saveexec_b32 s9, s9
; %bb.1024:
	v_add_f32_e64 v2, 0x46800000, |v4|
; %bb.1025:
	s_or_b32 exec_lo, exec_lo, s9
                                        ; implicit-def: $vgpr3
.LBB15_1026:
	s_and_not1_saveexec_b32 s8, s8
; %bb.1027:
	v_mov_b32_e32 v2, 0x7f
	v_cmp_lt_u32_e32 vcc_lo, 0x7f800000, v3
	s_delay_alu instid0(VALU_DEP_2)
	v_cndmask_b32_e32 v2, 0x7e, v2, vcc_lo
; %bb.1028:
	s_or_b32 exec_lo, exec_lo, s8
	v_lshrrev_b32_e32 v3, 24, v4
	s_delay_alu instid0(VALU_DEP_1)
	v_and_or_b32 v2, 0x80, v3, v2
	global_store_b8 v[0:1], v2, off
.LBB15_1029:
	s_mov_b32 s8, 0
.LBB15_1030:
	s_delay_alu instid0(SALU_CYCLE_1)
	s_and_not1_b32 vcc_lo, exec_lo, s8
	s_cbranch_vccnz .LBB15_1040
; %bb.1031:
	s_wait_xcnt 0x0
	v_and_b32_e32 v3, 0x7fffffff, v4
	s_mov_b32 s8, exec_lo
                                        ; implicit-def: $vgpr2
	s_delay_alu instid0(VALU_DEP_1)
	v_cmpx_gt_u32_e32 0x47800000, v3
	s_xor_b32 s8, exec_lo, s8
	s_cbranch_execz .LBB15_1037
; %bb.1032:
	s_mov_b32 s9, exec_lo
                                        ; implicit-def: $vgpr2
	v_cmpx_lt_u32_e32 0x387fffff, v3
	s_xor_b32 s9, exec_lo, s9
; %bb.1033:
	v_bfe_u32 v2, v4, 21, 1
	s_delay_alu instid0(VALU_DEP_1) | instskip(NEXT) | instid1(VALU_DEP_1)
	v_add3_u32 v2, v4, v2, 0x80fffff
	v_lshrrev_b32_e32 v2, 21, v2
; %bb.1034:
	s_and_not1_saveexec_b32 s9, s9
; %bb.1035:
	v_add_f32_e64 v2, 0x43000000, |v4|
; %bb.1036:
	s_or_b32 exec_lo, exec_lo, s9
                                        ; implicit-def: $vgpr3
.LBB15_1037:
	s_and_not1_saveexec_b32 s8, s8
; %bb.1038:
	v_mov_b32_e32 v2, 0x7f
	v_cmp_lt_u32_e32 vcc_lo, 0x7f800000, v3
	s_delay_alu instid0(VALU_DEP_2)
	v_cndmask_b32_e32 v2, 0x7c, v2, vcc_lo
; %bb.1039:
	s_or_b32 exec_lo, exec_lo, s8
	v_lshrrev_b32_e32 v3, 24, v4
	s_delay_alu instid0(VALU_DEP_1)
	v_and_or_b32 v2, 0x80, v3, v2
	global_store_b8 v[0:1], v2, off
.LBB15_1040:
	s_mov_b32 s8, 0
.LBB15_1041:
	s_delay_alu instid0(SALU_CYCLE_1)
	s_and_not1_b32 vcc_lo, exec_lo, s8
	s_mov_b32 s9, 0
	s_cbranch_vccnz .LBB15_1052
; %bb.1042:
	s_cmp_gt_i32 s4, 14
	s_mov_b32 s8, -1
	s_cbranch_scc0 .LBB15_1046
; %bb.1043:
	s_cmp_eq_u32 s4, 15
	s_mov_b32 s0, -1
	s_cbranch_scc0 .LBB15_1045
; %bb.1044:
	s_wait_xcnt 0x0
	v_bfe_u32 v2, v4, 16, 1
	v_cmp_o_f32_e32 vcc_lo, v4, v4
	s_mov_b32 s0, 0
	s_delay_alu instid0(VALU_DEP_2) | instskip(NEXT) | instid1(VALU_DEP_1)
	v_add3_u32 v2, v4, v2, 0x7fff
	v_lshrrev_b32_e32 v2, 16, v2
	s_delay_alu instid0(VALU_DEP_1)
	v_cndmask_b32_e32 v2, 0x7fc0, v2, vcc_lo
	global_store_b16 v[0:1], v2, off
.LBB15_1045:
	s_mov_b32 s8, 0
.LBB15_1046:
	s_delay_alu instid0(SALU_CYCLE_1)
	s_and_b32 vcc_lo, exec_lo, s8
	s_cbranch_vccz .LBB15_1052
; %bb.1047:
	s_cmp_lg_u32 s4, 11
	s_mov_b32 s9, -1
	s_cselect_b32 s4, -1, 0
	s_and_not1_b32 s0, s0, exec_lo
	s_and_b32 s4, s4, exec_lo
	s_delay_alu instid0(SALU_CYCLE_1)
	s_or_b32 s0, s0, s4
	s_branch .LBB15_1052
.LBB15_1048:
	s_or_b32 exec_lo, exec_lo, s7
	s_and_saveexec_b32 s0, s40
	s_cbranch_execnz .LBB15_1053
.LBB15_1049:
	s_or_b32 exec_lo, exec_lo, s0
	s_and_saveexec_b32 s0, s9
	s_delay_alu instid0(SALU_CYCLE_1)
	s_xor_b32 s0, exec_lo, s0
	s_cbranch_execz .LBB15_1054
.LBB15_1050:
	v_cmp_neq_f32_e32 vcc_lo, 0, v4
	v_cndmask_b32_e64 v2, 0, 1, vcc_lo
	s_wait_loadcnt 0x0
	global_store_b8 v[0:1], v2, off
	s_wait_xcnt 0x0
	s_or_b32 exec_lo, exec_lo, s0
	s_and_saveexec_b32 s0, s8
	s_delay_alu instid0(SALU_CYCLE_1)
	s_xor_b32 s0, exec_lo, s0
	s_cbranch_execz .LBB15_1092
	s_branch .LBB15_1055
.LBB15_1051:
	s_mov_b32 s9, 0
.LBB15_1052:
	s_and_not1_b32 s4, s40, exec_lo
	s_and_b32 s0, s0, exec_lo
	s_and_b32 s8, s5, exec_lo
	;; [unrolled: 1-line block ×3, first 2 shown]
	s_or_b32 s40, s4, s0
	s_wait_xcnt 0x0
	s_or_b32 exec_lo, exec_lo, s7
	s_and_saveexec_b32 s0, s40
	s_cbranch_execz .LBB15_1049
.LBB15_1053:
	s_or_b32 s1, s1, exec_lo
	s_and_not1_b32 s9, s9, exec_lo
	s_trap 2
	s_or_b32 exec_lo, exec_lo, s0
	s_and_saveexec_b32 s0, s9
	s_delay_alu instid0(SALU_CYCLE_1)
	s_xor_b32 s0, exec_lo, s0
	s_cbranch_execnz .LBB15_1050
.LBB15_1054:
	s_or_b32 exec_lo, exec_lo, s0
	s_and_saveexec_b32 s0, s8
	s_delay_alu instid0(SALU_CYCLE_1)
	s_xor_b32 s0, exec_lo, s0
	s_cbranch_execz .LBB15_1092
.LBB15_1055:
	s_sext_i32_i16 s5, s6
	s_mov_b32 s4, -1
	s_cmp_lt_i32 s5, 5
	s_cbranch_scc1 .LBB15_1076
; %bb.1056:
	s_cmp_lt_i32 s5, 8
	s_cbranch_scc1 .LBB15_1066
; %bb.1057:
	;; [unrolled: 3-line block ×3, first 2 shown]
	s_cmp_gt_i32 s5, 9
	s_cbranch_scc0 .LBB15_1060
; %bb.1059:
	s_wait_loadcnt 0x0
	v_cvt_f64_f32_e32 v[6:7], v4
	v_mov_b32_e32 v8, 0
	s_mov_b32 s4, 0
	s_delay_alu instid0(VALU_DEP_1)
	v_mov_b32_e32 v9, v8
	global_store_b128 v[0:1], v[6:9], off
.LBB15_1060:
	s_and_not1_b32 vcc_lo, exec_lo, s4
	s_cbranch_vccnz .LBB15_1062
; %bb.1061:
	v_mov_b32_e32 v5, 0
	s_wait_loadcnt 0x0
	global_store_b64 v[0:1], v[4:5], off
.LBB15_1062:
	s_mov_b32 s4, 0
.LBB15_1063:
	s_delay_alu instid0(SALU_CYCLE_1)
	s_and_not1_b32 vcc_lo, exec_lo, s4
	s_cbranch_vccnz .LBB15_1065
; %bb.1064:
	v_cvt_f16_f32_e32 v2, v4
	s_delay_alu instid0(VALU_DEP_1)
	v_and_b32_e32 v2, 0xffff, v2
	s_wait_loadcnt 0x0
	global_store_b32 v[0:1], v2, off
.LBB15_1065:
	s_mov_b32 s4, 0
.LBB15_1066:
	s_delay_alu instid0(SALU_CYCLE_1)
	s_and_not1_b32 vcc_lo, exec_lo, s4
	s_cbranch_vccnz .LBB15_1075
; %bb.1067:
	s_sext_i32_i16 s5, s6
	s_mov_b32 s4, -1
	s_cmp_lt_i32 s5, 6
	s_cbranch_scc1 .LBB15_1073
; %bb.1068:
	s_cmp_gt_i32 s5, 6
	s_cbranch_scc0 .LBB15_1070
; %bb.1069:
	s_wait_xcnt 0x0
	v_cvt_f64_f32_e32 v[2:3], v4
	s_mov_b32 s4, 0
	s_wait_loadcnt 0x0
	global_store_b64 v[0:1], v[2:3], off
.LBB15_1070:
	s_and_not1_b32 vcc_lo, exec_lo, s4
	s_cbranch_vccnz .LBB15_1072
; %bb.1071:
	s_wait_loadcnt 0x0
	global_store_b32 v[0:1], v4, off
.LBB15_1072:
	s_mov_b32 s4, 0
.LBB15_1073:
	s_delay_alu instid0(SALU_CYCLE_1)
	s_and_not1_b32 vcc_lo, exec_lo, s4
	s_cbranch_vccnz .LBB15_1075
; %bb.1074:
	s_wait_xcnt 0x0
	v_cvt_f16_f32_e32 v2, v4
	s_wait_loadcnt 0x0
	global_store_b16 v[0:1], v2, off
.LBB15_1075:
	s_mov_b32 s4, 0
.LBB15_1076:
	s_delay_alu instid0(SALU_CYCLE_1)
	s_and_not1_b32 vcc_lo, exec_lo, s4
	s_cbranch_vccnz .LBB15_1092
; %bb.1077:
	s_sext_i32_i16 s5, s6
	s_mov_b32 s4, -1
	s_cmp_lt_i32 s5, 2
	s_cbranch_scc1 .LBB15_1087
; %bb.1078:
	s_cmp_lt_i32 s5, 3
	s_cbranch_scc1 .LBB15_1084
; %bb.1079:
	s_cmp_gt_i32 s5, 3
	s_cbranch_scc0 .LBB15_1081
; %bb.1080:
	s_wait_xcnt 0x0
	v_trunc_f32_e32 v2, v4
	s_mov_b32 s4, 0
	s_delay_alu instid0(VALU_DEP_1) | instskip(NEXT) | instid1(VALU_DEP_1)
	v_mul_f32_e64 v3, 0x2f800000, |v2|
	v_floor_f32_e32 v3, v3
	s_delay_alu instid0(VALU_DEP_1) | instskip(SKIP_3) | instid1(VALU_DEP_3)
	v_fma_f32 v5, 0xcf800000, v3, |v2|
	v_ashrrev_i32_e32 v2, 31, v2
	s_wait_loadcnt 0x0
	v_cvt_u32_f32_e32 v6, v3
	v_cvt_u32_f32_e32 v5, v5
	s_delay_alu instid0(VALU_DEP_3) | instskip(NEXT) | instid1(VALU_DEP_3)
	v_mov_b32_e32 v3, v2
	v_xor_b32_e32 v7, v6, v2
	s_delay_alu instid0(VALU_DEP_3) | instskip(NEXT) | instid1(VALU_DEP_1)
	v_xor_b32_e32 v6, v5, v2
	v_sub_nc_u64_e32 v[2:3], v[6:7], v[2:3]
	global_store_b64 v[0:1], v[2:3], off
.LBB15_1081:
	s_and_not1_b32 vcc_lo, exec_lo, s4
	s_cbranch_vccnz .LBB15_1083
; %bb.1082:
	s_wait_xcnt 0x0
	v_cvt_i32_f32_e32 v2, v4
	s_wait_loadcnt 0x0
	global_store_b32 v[0:1], v2, off
.LBB15_1083:
	s_mov_b32 s4, 0
.LBB15_1084:
	s_delay_alu instid0(SALU_CYCLE_1)
	s_and_not1_b32 vcc_lo, exec_lo, s4
	s_cbranch_vccnz .LBB15_1086
; %bb.1085:
	s_wait_xcnt 0x0
	v_cvt_i32_f32_e32 v2, v4
	s_wait_loadcnt 0x0
	global_store_b16 v[0:1], v2, off
.LBB15_1086:
	s_mov_b32 s4, 0
.LBB15_1087:
	s_delay_alu instid0(SALU_CYCLE_1)
	s_and_not1_b32 vcc_lo, exec_lo, s4
	s_cbranch_vccnz .LBB15_1092
; %bb.1088:
	s_sext_i32_i16 s4, s6
	s_delay_alu instid0(SALU_CYCLE_1)
	s_cmp_gt_i32 s4, 0
	s_mov_b32 s4, -1
	s_cbranch_scc0 .LBB15_1090
; %bb.1089:
	s_wait_xcnt 0x0
	v_cvt_i32_f32_e32 v2, v4
	s_mov_b32 s4, 0
	s_wait_loadcnt 0x0
	global_store_b8 v[0:1], v2, off
.LBB15_1090:
	s_and_not1_b32 vcc_lo, exec_lo, s4
	s_cbranch_vccnz .LBB15_1092
; %bb.1091:
	s_wait_xcnt 0x0
	v_trunc_f32_e32 v2, v4
	s_delay_alu instid0(VALU_DEP_1) | instskip(NEXT) | instid1(VALU_DEP_1)
	v_mul_f32_e64 v3, 0x2f800000, |v2|
	v_floor_f32_e32 v3, v3
	s_delay_alu instid0(VALU_DEP_1) | instskip(SKIP_1) | instid1(VALU_DEP_2)
	v_fma_f32 v3, 0xcf800000, v3, |v2|
	v_ashrrev_i32_e32 v2, 31, v2
	v_cvt_u32_f32_e32 v3, v3
	s_delay_alu instid0(VALU_DEP_1) | instskip(NEXT) | instid1(VALU_DEP_1)
	v_xor_b32_e32 v3, v3, v2
	v_sub_nc_u32_e32 v2, v3, v2
	s_wait_loadcnt 0x0
	global_store_b8 v[0:1], v2, off
.LBB15_1092:
	s_wait_xcnt 0x0
	s_or_b32 exec_lo, exec_lo, s0
	s_delay_alu instid0(SALU_CYCLE_1)
	s_and_b32 s8, s1, exec_lo
                                        ; implicit-def: $vgpr9
                                        ; implicit-def: $vgpr0
.LBB15_1093:
	s_or_saveexec_b32 s9, s35
	s_mov_b32 s0, 0
                                        ; implicit-def: $vgpr2_vgpr3
                                        ; implicit-def: $sgpr6
                                        ; implicit-def: $vgpr4
	s_xor_b32 exec_lo, exec_lo, s9
	s_cbranch_execz .LBB15_2102
; %bb.1094:
	s_wait_loadcnt 0x0
	v_cndmask_b32_e64 v1, 0, 1, s34
	s_and_not1_b32 vcc_lo, exec_lo, s34
	s_cbranch_vccnz .LBB15_1100
; %bb.1095:
	s_cmp_lg_u32 s30, 0
	s_mov_b32 s10, 0
	s_cbranch_scc0 .LBB15_1101
; %bb.1096:
	s_min_u32 s1, s31, 15
	s_delay_alu instid0(SALU_CYCLE_1)
	s_add_co_i32 s1, s1, 1
	s_cmp_eq_u32 s31, 2
	s_cbranch_scc1 .LBB15_1102
; %bb.1097:
	v_dual_mov_b32 v6, 0 :: v_dual_mov_b32 v14, 0
	v_mov_b32_e32 v2, v0
	s_and_b32 s0, s1, 28
	s_add_nc_u64 s[4:5], s[2:3], 0xc4
	s_mov_b32 s11, 0
	s_mov_b64 s[6:7], s[2:3]
.LBB15_1098:                            ; =>This Inner Loop Header: Depth=1
	s_clause 0x1
	s_load_b256 s[12:19], s[6:7], 0x4
	s_load_b128 s[36:39], s[6:7], 0x24
	s_load_b256 s[20:27], s[4:5], 0x0
	s_add_co_i32 s11, s11, 4
	s_wait_xcnt 0x0
	s_add_nc_u64 s[6:7], s[6:7], 48
	s_cmp_lg_u32 s0, s11
	s_add_nc_u64 s[4:5], s[4:5], 32
	s_wait_kmcnt 0x0
	v_mul_hi_u32 v3, s13, v2
	s_delay_alu instid0(VALU_DEP_1) | instskip(NEXT) | instid1(VALU_DEP_1)
	v_add_nc_u32_e32 v3, v2, v3
	v_lshrrev_b32_e32 v3, s14, v3
	s_delay_alu instid0(VALU_DEP_1) | instskip(NEXT) | instid1(VALU_DEP_1)
	v_mul_hi_u32 v4, s16, v3
	v_add_nc_u32_e32 v4, v3, v4
	s_delay_alu instid0(VALU_DEP_1) | instskip(NEXT) | instid1(VALU_DEP_1)
	v_lshrrev_b32_e32 v4, s17, v4
	v_mul_hi_u32 v5, s19, v4
	s_delay_alu instid0(VALU_DEP_1) | instskip(SKIP_1) | instid1(VALU_DEP_1)
	v_add_nc_u32_e32 v5, v4, v5
	v_mul_lo_u32 v7, v3, s12
	v_sub_nc_u32_e32 v2, v2, v7
	v_mul_lo_u32 v7, v4, s15
	s_delay_alu instid0(VALU_DEP_4) | instskip(NEXT) | instid1(VALU_DEP_3)
	v_lshrrev_b32_e32 v5, s36, v5
	v_mad_u32 v10, v2, s21, v14
	v_mad_u32 v2, v2, s20, v6
	s_delay_alu instid0(VALU_DEP_4) | instskip(NEXT) | instid1(VALU_DEP_4)
	v_sub_nc_u32_e32 v3, v3, v7
	v_mul_hi_u32 v8, s38, v5
	v_mul_lo_u32 v6, v5, s18
	s_delay_alu instid0(VALU_DEP_1) | instskip(NEXT) | instid1(VALU_DEP_4)
	v_dual_add_nc_u32 v7, v5, v8 :: v_dual_sub_nc_u32 v4, v4, v6
	v_mad_u32 v8, v3, s23, v10
	v_mad_u32 v3, v3, s22, v2
	s_delay_alu instid0(VALU_DEP_3) | instskip(NEXT) | instid1(VALU_DEP_1)
	v_lshrrev_b32_e32 v2, s39, v7
	v_mul_lo_u32 v6, v2, s37
	s_delay_alu instid0(VALU_DEP_4) | instskip(NEXT) | instid1(VALU_DEP_4)
	v_mad_u32 v7, v4, s25, v8
	v_mad_u32 v3, v4, s24, v3
	s_delay_alu instid0(VALU_DEP_3) | instskip(NEXT) | instid1(VALU_DEP_1)
	v_sub_nc_u32_e32 v4, v5, v6
	v_mad_u32 v14, v4, s27, v7
	s_delay_alu instid0(VALU_DEP_3)
	v_mad_u32 v6, v4, s26, v3
	s_cbranch_scc1 .LBB15_1098
; %bb.1099:
	s_delay_alu instid0(VALU_DEP_2)
	v_mov_b32_e32 v7, v14
	s_and_b32 s6, s1, 3
	s_mov_b32 s1, 0
	s_cmp_eq_u32 s6, 0
	s_cbranch_scc0 .LBB15_1103
	s_branch .LBB15_1106
.LBB15_1100:
	s_mov_b32 s10, -1
                                        ; implicit-def: $vgpr14
                                        ; implicit-def: $vgpr6
	s_branch .LBB15_1106
.LBB15_1101:
	v_dual_mov_b32 v14, 0 :: v_dual_mov_b32 v6, 0
	s_branch .LBB15_1106
.LBB15_1102:
	v_mov_b64_e32 v[6:7], 0
	v_mov_b32_e32 v2, v0
                                        ; implicit-def: $vgpr14
	s_and_b32 s6, s1, 3
	s_mov_b32 s1, 0
	s_cmp_eq_u32 s6, 0
	s_cbranch_scc1 .LBB15_1106
.LBB15_1103:
	s_lshl_b32 s4, s0, 3
	s_mov_b32 s5, s1
	s_mul_u64 s[12:13], s[0:1], 12
	s_add_nc_u64 s[4:5], s[2:3], s[4:5]
	s_delay_alu instid0(SALU_CYCLE_1)
	s_add_nc_u64 s[0:1], s[4:5], 0xc4
	s_add_nc_u64 s[4:5], s[2:3], s[12:13]
.LBB15_1104:                            ; =>This Inner Loop Header: Depth=1
	s_load_b96 s[12:14], s[4:5], 0x4
	s_add_co_i32 s6, s6, -1
	s_wait_xcnt 0x0
	s_add_nc_u64 s[4:5], s[4:5], 12
	s_cmp_lg_u32 s6, 0
	s_wait_kmcnt 0x0
	v_mul_hi_u32 v3, s13, v2
	s_delay_alu instid0(VALU_DEP_1) | instskip(NEXT) | instid1(VALU_DEP_1)
	v_add_nc_u32_e32 v3, v2, v3
	v_lshrrev_b32_e32 v3, s14, v3
	s_load_b64 s[14:15], s[0:1], 0x0
	s_wait_xcnt 0x0
	s_add_nc_u64 s[0:1], s[0:1], 8
	s_delay_alu instid0(VALU_DEP_1) | instskip(NEXT) | instid1(VALU_DEP_1)
	v_mul_lo_u32 v4, v3, s12
	v_sub_nc_u32_e32 v2, v2, v4
	s_wait_kmcnt 0x0
	s_delay_alu instid0(VALU_DEP_1)
	v_mad_u32 v7, v2, s15, v7
	v_mad_u32 v6, v2, s14, v6
	v_mov_b32_e32 v2, v3
	s_cbranch_scc1 .LBB15_1104
; %bb.1105:
	s_delay_alu instid0(VALU_DEP_3)
	v_mov_b32_e32 v14, v7
.LBB15_1106:
	s_and_not1_b32 vcc_lo, exec_lo, s10
	s_cbranch_vccnz .LBB15_1109
; %bb.1107:
	s_clause 0x1
	s_load_b96 s[4:6], s[2:3], 0x4
	s_load_b64 s[0:1], s[2:3], 0xc4
	s_cmp_lt_u32 s30, 2
	s_wait_kmcnt 0x0
	v_mul_hi_u32 v2, s5, v0
	s_delay_alu instid0(VALU_DEP_1) | instskip(NEXT) | instid1(VALU_DEP_1)
	v_add_nc_u32_e32 v2, v0, v2
	v_lshrrev_b32_e32 v2, s6, v2
	s_delay_alu instid0(VALU_DEP_1) | instskip(NEXT) | instid1(VALU_DEP_1)
	v_mul_lo_u32 v3, v2, s4
	v_sub_nc_u32_e32 v3, v0, v3
	s_delay_alu instid0(VALU_DEP_1)
	v_mul_lo_u32 v14, v3, s1
	v_mul_lo_u32 v6, v3, s0
	s_cbranch_scc1 .LBB15_1109
; %bb.1108:
	s_clause 0x1
	s_load_b96 s[4:6], s[2:3], 0x10
	s_load_b64 s[0:1], s[2:3], 0xcc
	s_wait_kmcnt 0x0
	v_mul_hi_u32 v3, s5, v2
	s_delay_alu instid0(VALU_DEP_1) | instskip(NEXT) | instid1(VALU_DEP_1)
	v_add_nc_u32_e32 v3, v2, v3
	v_lshrrev_b32_e32 v3, s6, v3
	s_delay_alu instid0(VALU_DEP_1) | instskip(NEXT) | instid1(VALU_DEP_1)
	v_mul_lo_u32 v3, v3, s4
	v_sub_nc_u32_e32 v2, v2, v3
	s_delay_alu instid0(VALU_DEP_1)
	v_mad_u32 v6, v2, s0, v6
	v_mad_u32 v14, v2, s1, v14
.LBB15_1109:
	v_cmp_ne_u32_e32 vcc_lo, 1, v1
	v_add_nc_u32_e32 v2, 0x80, v0
	s_cbranch_vccnz .LBB15_1115
; %bb.1110:
	s_cmp_lg_u32 s30, 0
	s_mov_b32 s10, 0
	s_cbranch_scc0 .LBB15_1116
; %bb.1111:
	s_min_u32 s1, s31, 15
	s_delay_alu instid0(SALU_CYCLE_1)
	s_add_co_i32 s1, s1, 1
	s_cmp_eq_u32 s31, 2
	s_cbranch_scc1 .LBB15_1117
; %bb.1112:
	v_dual_mov_b32 v4, 0 :: v_dual_mov_b32 v12, 0
	v_mov_b32_e32 v3, v2
	s_and_b32 s0, s1, 28
	s_add_nc_u64 s[4:5], s[2:3], 0xc4
	s_mov_b32 s11, 0
	s_mov_b64 s[6:7], s[2:3]
.LBB15_1113:                            ; =>This Inner Loop Header: Depth=1
	s_clause 0x1
	s_load_b256 s[12:19], s[6:7], 0x4
	s_load_b128 s[36:39], s[6:7], 0x24
	s_load_b256 s[20:27], s[4:5], 0x0
	s_add_co_i32 s11, s11, 4
	s_wait_xcnt 0x0
	s_add_nc_u64 s[6:7], s[6:7], 48
	s_cmp_lg_u32 s0, s11
	s_add_nc_u64 s[4:5], s[4:5], 32
	s_wait_kmcnt 0x0
	v_mul_hi_u32 v5, s13, v3
	s_delay_alu instid0(VALU_DEP_1) | instskip(NEXT) | instid1(VALU_DEP_1)
	v_add_nc_u32_e32 v5, v3, v5
	v_lshrrev_b32_e32 v5, s14, v5
	s_delay_alu instid0(VALU_DEP_1) | instskip(NEXT) | instid1(VALU_DEP_1)
	v_mul_hi_u32 v7, s16, v5
	v_add_nc_u32_e32 v7, v5, v7
	s_delay_alu instid0(VALU_DEP_1) | instskip(NEXT) | instid1(VALU_DEP_1)
	v_lshrrev_b32_e32 v7, s17, v7
	v_mul_hi_u32 v8, s19, v7
	s_delay_alu instid0(VALU_DEP_1) | instskip(SKIP_1) | instid1(VALU_DEP_1)
	v_add_nc_u32_e32 v8, v7, v8
	v_mul_lo_u32 v10, v5, s12
	v_sub_nc_u32_e32 v3, v3, v10
	v_mul_lo_u32 v10, v7, s15
	s_delay_alu instid0(VALU_DEP_4) | instskip(NEXT) | instid1(VALU_DEP_3)
	v_lshrrev_b32_e32 v8, s36, v8
	v_mad_u32 v12, v3, s21, v12
	v_mad_u32 v3, v3, s20, v4
	s_delay_alu instid0(VALU_DEP_4) | instskip(NEXT) | instid1(VALU_DEP_4)
	v_sub_nc_u32_e32 v4, v5, v10
	v_mul_hi_u32 v11, s38, v8
	v_mul_lo_u32 v5, v8, s18
	s_delay_alu instid0(VALU_DEP_1) | instskip(NEXT) | instid1(VALU_DEP_4)
	v_dual_add_nc_u32 v10, v8, v11 :: v_dual_sub_nc_u32 v5, v7, v5
	v_mad_u32 v11, v4, s23, v12
	v_mad_u32 v4, v4, s22, v3
	s_delay_alu instid0(VALU_DEP_3) | instskip(NEXT) | instid1(VALU_DEP_1)
	v_lshrrev_b32_e32 v3, s39, v10
	v_mul_lo_u32 v7, v3, s37
	s_delay_alu instid0(VALU_DEP_4) | instskip(NEXT) | instid1(VALU_DEP_4)
	v_mad_u32 v10, v5, s25, v11
	v_mad_u32 v4, v5, s24, v4
	s_delay_alu instid0(VALU_DEP_3) | instskip(NEXT) | instid1(VALU_DEP_1)
	v_sub_nc_u32_e32 v5, v8, v7
	v_mad_u32 v12, v5, s27, v10
	s_delay_alu instid0(VALU_DEP_3)
	v_mad_u32 v4, v5, s26, v4
	s_cbranch_scc1 .LBB15_1113
; %bb.1114:
	s_delay_alu instid0(VALU_DEP_2)
	v_mov_b32_e32 v5, v12
	s_and_b32 s6, s1, 3
	s_mov_b32 s1, 0
	s_cmp_eq_u32 s6, 0
	s_cbranch_scc0 .LBB15_1118
	s_branch .LBB15_1121
.LBB15_1115:
	s_mov_b32 s10, -1
                                        ; implicit-def: $vgpr12
                                        ; implicit-def: $vgpr4
	s_branch .LBB15_1121
.LBB15_1116:
	v_dual_mov_b32 v12, 0 :: v_dual_mov_b32 v4, 0
	s_branch .LBB15_1121
.LBB15_1117:
	v_mov_b64_e32 v[4:5], 0
	v_mov_b32_e32 v3, v2
	s_mov_b32 s0, 0
                                        ; implicit-def: $vgpr12
	s_and_b32 s6, s1, 3
	s_mov_b32 s1, 0
	s_cmp_eq_u32 s6, 0
	s_cbranch_scc1 .LBB15_1121
.LBB15_1118:
	s_lshl_b32 s4, s0, 3
	s_mov_b32 s5, s1
	s_mul_u64 s[12:13], s[0:1], 12
	s_add_nc_u64 s[4:5], s[2:3], s[4:5]
	s_delay_alu instid0(SALU_CYCLE_1)
	s_add_nc_u64 s[0:1], s[4:5], 0xc4
	s_add_nc_u64 s[4:5], s[2:3], s[12:13]
.LBB15_1119:                            ; =>This Inner Loop Header: Depth=1
	s_load_b96 s[12:14], s[4:5], 0x4
	s_add_co_i32 s6, s6, -1
	s_wait_xcnt 0x0
	s_add_nc_u64 s[4:5], s[4:5], 12
	s_cmp_lg_u32 s6, 0
	s_wait_kmcnt 0x0
	v_mul_hi_u32 v7, s13, v3
	s_delay_alu instid0(VALU_DEP_1) | instskip(NEXT) | instid1(VALU_DEP_1)
	v_add_nc_u32_e32 v7, v3, v7
	v_lshrrev_b32_e32 v7, s14, v7
	s_load_b64 s[14:15], s[0:1], 0x0
	s_wait_xcnt 0x0
	s_add_nc_u64 s[0:1], s[0:1], 8
	s_delay_alu instid0(VALU_DEP_1) | instskip(NEXT) | instid1(VALU_DEP_1)
	v_mul_lo_u32 v8, v7, s12
	v_sub_nc_u32_e32 v3, v3, v8
	s_wait_kmcnt 0x0
	s_delay_alu instid0(VALU_DEP_1)
	v_mad_u32 v5, v3, s15, v5
	v_mad_u32 v4, v3, s14, v4
	v_mov_b32_e32 v3, v7
	s_cbranch_scc1 .LBB15_1119
; %bb.1120:
	s_delay_alu instid0(VALU_DEP_3)
	v_mov_b32_e32 v12, v5
.LBB15_1121:
	s_and_not1_b32 vcc_lo, exec_lo, s10
	s_cbranch_vccnz .LBB15_1124
; %bb.1122:
	s_clause 0x1
	s_load_b96 s[4:6], s[2:3], 0x4
	s_load_b64 s[0:1], s[2:3], 0xc4
	s_cmp_lt_u32 s30, 2
	s_wait_kmcnt 0x0
	v_mul_hi_u32 v3, s5, v2
	s_delay_alu instid0(VALU_DEP_1) | instskip(NEXT) | instid1(VALU_DEP_1)
	v_add_nc_u32_e32 v3, v2, v3
	v_lshrrev_b32_e32 v3, s6, v3
	s_delay_alu instid0(VALU_DEP_1) | instskip(NEXT) | instid1(VALU_DEP_1)
	v_mul_lo_u32 v4, v3, s4
	v_sub_nc_u32_e32 v2, v2, v4
	s_delay_alu instid0(VALU_DEP_1)
	v_mul_lo_u32 v12, v2, s1
	v_mul_lo_u32 v4, v2, s0
	s_cbranch_scc1 .LBB15_1124
; %bb.1123:
	s_clause 0x1
	s_load_b96 s[4:6], s[2:3], 0x10
	s_load_b64 s[0:1], s[2:3], 0xcc
	s_wait_kmcnt 0x0
	v_mul_hi_u32 v2, s5, v3
	s_delay_alu instid0(VALU_DEP_1) | instskip(NEXT) | instid1(VALU_DEP_1)
	v_add_nc_u32_e32 v2, v3, v2
	v_lshrrev_b32_e32 v2, s6, v2
	s_delay_alu instid0(VALU_DEP_1) | instskip(NEXT) | instid1(VALU_DEP_1)
	v_mul_lo_u32 v2, v2, s4
	v_sub_nc_u32_e32 v2, v3, v2
	s_delay_alu instid0(VALU_DEP_1)
	v_mad_u32 v4, v2, s0, v4
	v_mad_u32 v12, v2, s1, v12
.LBB15_1124:
	v_cmp_ne_u32_e32 vcc_lo, 1, v1
	v_add_nc_u32_e32 v0, 0x100, v0
	s_cbranch_vccnz .LBB15_1130
; %bb.1125:
	s_cmp_lg_u32 s30, 0
	s_mov_b32 s10, 0
	s_cbranch_scc0 .LBB15_1131
; %bb.1126:
	s_min_u32 s1, s31, 15
	s_delay_alu instid0(SALU_CYCLE_1)
	s_add_co_i32 s1, s1, 1
	s_cmp_eq_u32 s31, 2
	s_cbranch_scc1 .LBB15_1132
; %bb.1127:
	v_dual_mov_b32 v2, 0 :: v_dual_mov_b32 v10, 0
	v_mov_b32_e32 v5, v0
	s_and_b32 s0, s1, 28
	s_add_nc_u64 s[4:5], s[2:3], 0xc4
	s_mov_b32 s11, 0
	s_mov_b64 s[6:7], s[2:3]
.LBB15_1128:                            ; =>This Inner Loop Header: Depth=1
	s_clause 0x1
	s_load_b256 s[12:19], s[6:7], 0x4
	s_load_b128 s[36:39], s[6:7], 0x24
	s_load_b256 s[20:27], s[4:5], 0x0
	s_add_co_i32 s11, s11, 4
	s_wait_xcnt 0x0
	s_add_nc_u64 s[6:7], s[6:7], 48
	s_cmp_lg_u32 s0, s11
	s_add_nc_u64 s[4:5], s[4:5], 32
	s_wait_kmcnt 0x0
	v_mul_hi_u32 v3, s13, v5
	s_delay_alu instid0(VALU_DEP_1) | instskip(NEXT) | instid1(VALU_DEP_1)
	v_add_nc_u32_e32 v3, v5, v3
	v_lshrrev_b32_e32 v3, s14, v3
	s_delay_alu instid0(VALU_DEP_1) | instskip(NEXT) | instid1(VALU_DEP_1)
	v_mul_hi_u32 v7, s16, v3
	v_add_nc_u32_e32 v7, v3, v7
	s_delay_alu instid0(VALU_DEP_1) | instskip(NEXT) | instid1(VALU_DEP_1)
	v_lshrrev_b32_e32 v7, s17, v7
	v_mul_hi_u32 v8, s19, v7
	s_delay_alu instid0(VALU_DEP_1) | instskip(NEXT) | instid1(VALU_DEP_1)
	v_add_nc_u32_e32 v8, v7, v8
	v_lshrrev_b32_e32 v8, s36, v8
	v_mul_lo_u32 v11, v3, s12
	s_delay_alu instid0(VALU_DEP_2) | instskip(NEXT) | instid1(VALU_DEP_2)
	v_mul_hi_u32 v13, s38, v8
	v_sub_nc_u32_e32 v5, v5, v11
	s_delay_alu instid0(VALU_DEP_1) | instskip(SKIP_1) | instid1(VALU_DEP_4)
	v_mad_u32 v10, v5, s21, v10
	v_mad_u32 v2, v5, s20, v2
	v_add_nc_u32_e32 v5, v8, v13
	s_delay_alu instid0(VALU_DEP_1) | instskip(SKIP_1) | instid1(VALU_DEP_1)
	v_lshrrev_b32_e32 v5, s39, v5
	v_mul_lo_u32 v11, v7, s15
	v_sub_nc_u32_e32 v3, v3, v11
	v_mul_lo_u32 v11, v8, s18
	s_delay_alu instid0(VALU_DEP_2) | instskip(SKIP_1) | instid1(VALU_DEP_3)
	v_mad_u32 v10, v3, s23, v10
	v_mad_u32 v2, v3, s22, v2
	v_sub_nc_u32_e32 v3, v7, v11
	v_mul_lo_u32 v7, v5, s37
	s_delay_alu instid0(VALU_DEP_2) | instskip(NEXT) | instid1(VALU_DEP_4)
	v_mad_u32 v10, v3, s25, v10
	v_mad_u32 v2, v3, s24, v2
	s_delay_alu instid0(VALU_DEP_3) | instskip(NEXT) | instid1(VALU_DEP_1)
	v_sub_nc_u32_e32 v3, v8, v7
	v_mad_u32 v10, v3, s27, v10
	s_delay_alu instid0(VALU_DEP_3)
	v_mad_u32 v2, v3, s26, v2
	s_cbranch_scc1 .LBB15_1128
; %bb.1129:
	s_delay_alu instid0(VALU_DEP_2)
	v_mov_b32_e32 v3, v10
	s_and_b32 s6, s1, 3
	s_mov_b32 s1, 0
	s_cmp_eq_u32 s6, 0
	s_cbranch_scc0 .LBB15_1133
	s_branch .LBB15_1136
.LBB15_1130:
	s_mov_b32 s10, -1
                                        ; implicit-def: $vgpr10
                                        ; implicit-def: $vgpr2
	s_branch .LBB15_1136
.LBB15_1131:
	v_dual_mov_b32 v10, 0 :: v_dual_mov_b32 v2, 0
	s_branch .LBB15_1136
.LBB15_1132:
	v_mov_b64_e32 v[2:3], 0
	v_mov_b32_e32 v5, v0
	s_mov_b32 s0, 0
                                        ; implicit-def: $vgpr10
	s_and_b32 s6, s1, 3
	s_mov_b32 s1, 0
	s_cmp_eq_u32 s6, 0
	s_cbranch_scc1 .LBB15_1136
.LBB15_1133:
	s_lshl_b32 s4, s0, 3
	s_mov_b32 s5, s1
	s_mul_u64 s[12:13], s[0:1], 12
	s_add_nc_u64 s[4:5], s[2:3], s[4:5]
	s_delay_alu instid0(SALU_CYCLE_1)
	s_add_nc_u64 s[0:1], s[4:5], 0xc4
	s_add_nc_u64 s[4:5], s[2:3], s[12:13]
.LBB15_1134:                            ; =>This Inner Loop Header: Depth=1
	s_load_b96 s[12:14], s[4:5], 0x4
	s_add_co_i32 s6, s6, -1
	s_wait_xcnt 0x0
	s_add_nc_u64 s[4:5], s[4:5], 12
	s_cmp_lg_u32 s6, 0
	s_wait_kmcnt 0x0
	v_mul_hi_u32 v7, s13, v5
	s_delay_alu instid0(VALU_DEP_1) | instskip(NEXT) | instid1(VALU_DEP_1)
	v_add_nc_u32_e32 v7, v5, v7
	v_lshrrev_b32_e32 v7, s14, v7
	s_load_b64 s[14:15], s[0:1], 0x0
	s_wait_xcnt 0x0
	s_add_nc_u64 s[0:1], s[0:1], 8
	s_delay_alu instid0(VALU_DEP_1) | instskip(NEXT) | instid1(VALU_DEP_1)
	v_mul_lo_u32 v8, v7, s12
	v_sub_nc_u32_e32 v5, v5, v8
	s_wait_kmcnt 0x0
	s_delay_alu instid0(VALU_DEP_1)
	v_mad_u32 v3, v5, s15, v3
	v_mad_u32 v2, v5, s14, v2
	v_mov_b32_e32 v5, v7
	s_cbranch_scc1 .LBB15_1134
; %bb.1135:
	s_delay_alu instid0(VALU_DEP_3)
	v_mov_b32_e32 v10, v3
.LBB15_1136:
	s_and_not1_b32 vcc_lo, exec_lo, s10
	s_cbranch_vccnz .LBB15_1139
; %bb.1137:
	s_clause 0x1
	s_load_b96 s[4:6], s[2:3], 0x4
	s_load_b64 s[0:1], s[2:3], 0xc4
	s_cmp_lt_u32 s30, 2
	s_wait_kmcnt 0x0
	v_mul_hi_u32 v2, s5, v0
	s_delay_alu instid0(VALU_DEP_1) | instskip(NEXT) | instid1(VALU_DEP_1)
	v_add_nc_u32_e32 v2, v0, v2
	v_lshrrev_b32_e32 v3, s6, v2
	s_delay_alu instid0(VALU_DEP_1) | instskip(NEXT) | instid1(VALU_DEP_1)
	v_mul_lo_u32 v2, v3, s4
	v_sub_nc_u32_e32 v0, v0, v2
	s_delay_alu instid0(VALU_DEP_1)
	v_mul_lo_u32 v10, v0, s1
	v_mul_lo_u32 v2, v0, s0
	s_cbranch_scc1 .LBB15_1139
; %bb.1138:
	s_clause 0x1
	s_load_b96 s[4:6], s[2:3], 0x10
	s_load_b64 s[0:1], s[2:3], 0xcc
	s_wait_kmcnt 0x0
	v_mul_hi_u32 v0, s5, v3
	s_delay_alu instid0(VALU_DEP_1) | instskip(NEXT) | instid1(VALU_DEP_1)
	v_add_nc_u32_e32 v0, v3, v0
	v_lshrrev_b32_e32 v0, s6, v0
	s_delay_alu instid0(VALU_DEP_1) | instskip(NEXT) | instid1(VALU_DEP_1)
	v_mul_lo_u32 v0, v0, s4
	v_sub_nc_u32_e32 v0, v3, v0
	s_delay_alu instid0(VALU_DEP_1)
	v_mad_u32 v2, v0, s0, v2
	v_mad_u32 v10, v0, s1, v10
.LBB15_1139:
	v_cmp_ne_u32_e32 vcc_lo, 1, v1
	s_cbranch_vccnz .LBB15_1145
; %bb.1140:
	s_cmp_lg_u32 s30, 0
	s_mov_b32 s10, 0
	s_cbranch_scc0 .LBB15_1146
; %bb.1141:
	s_min_u32 s1, s31, 15
	s_delay_alu instid0(SALU_CYCLE_1)
	s_add_co_i32 s1, s1, 1
	s_cmp_eq_u32 s31, 2
	s_cbranch_scc1 .LBB15_1147
; %bb.1142:
	v_dual_mov_b32 v0, 0 :: v_dual_mov_b32 v8, 0
	v_mov_b32_e32 v3, v9
	s_and_b32 s0, s1, 28
	s_add_nc_u64 s[4:5], s[2:3], 0xc4
	s_mov_b32 s11, 0
	s_mov_b64 s[6:7], s[2:3]
.LBB15_1143:                            ; =>This Inner Loop Header: Depth=1
	s_clause 0x1
	s_load_b256 s[12:19], s[6:7], 0x4
	s_load_b128 s[36:39], s[6:7], 0x24
	s_load_b256 s[20:27], s[4:5], 0x0
	s_add_co_i32 s11, s11, 4
	s_wait_xcnt 0x0
	s_add_nc_u64 s[6:7], s[6:7], 48
	s_cmp_lg_u32 s0, s11
	s_add_nc_u64 s[4:5], s[4:5], 32
	s_wait_kmcnt 0x0
	v_mul_hi_u32 v1, s13, v3
	s_delay_alu instid0(VALU_DEP_1) | instskip(NEXT) | instid1(VALU_DEP_1)
	v_add_nc_u32_e32 v1, v3, v1
	v_lshrrev_b32_e32 v1, s14, v1
	s_delay_alu instid0(VALU_DEP_1) | instskip(NEXT) | instid1(VALU_DEP_1)
	v_mul_lo_u32 v11, v1, s12
	v_sub_nc_u32_e32 v3, v3, v11
	v_mul_hi_u32 v5, s16, v1
	s_delay_alu instid0(VALU_DEP_2) | instskip(SKIP_1) | instid1(VALU_DEP_3)
	v_mad_u32 v8, v3, s21, v8
	v_mad_u32 v0, v3, s20, v0
	v_add_nc_u32_e32 v5, v1, v5
	s_delay_alu instid0(VALU_DEP_1) | instskip(NEXT) | instid1(VALU_DEP_1)
	v_lshrrev_b32_e32 v5, s17, v5
	v_mul_lo_u32 v11, v5, s15
	s_delay_alu instid0(VALU_DEP_1) | instskip(SKIP_1) | instid1(VALU_DEP_2)
	v_sub_nc_u32_e32 v1, v1, v11
	v_mul_hi_u32 v7, s19, v5
	v_mad_u32 v8, v1, s23, v8
	v_mad_u32 v0, v1, s22, v0
	s_delay_alu instid0(VALU_DEP_3) | instskip(NEXT) | instid1(VALU_DEP_1)
	v_add_nc_u32_e32 v7, v5, v7
	v_lshrrev_b32_e32 v7, s36, v7
	s_delay_alu instid0(VALU_DEP_1) | instskip(SKIP_1) | instid1(VALU_DEP_1)
	v_mul_hi_u32 v13, s38, v7
	v_mul_lo_u32 v11, v7, s18
	v_dual_add_nc_u32 v3, v7, v13 :: v_dual_sub_nc_u32 v1, v5, v11
	s_delay_alu instid0(VALU_DEP_1) | instskip(NEXT) | instid1(VALU_DEP_2)
	v_lshrrev_b32_e32 v3, s39, v3
	v_mad_u32 v8, v1, s25, v8
	v_mad_u32 v0, v1, s24, v0
	s_delay_alu instid0(VALU_DEP_3) | instskip(NEXT) | instid1(VALU_DEP_1)
	v_mul_lo_u32 v5, v3, s37
	v_sub_nc_u32_e32 v1, v7, v5
	s_delay_alu instid0(VALU_DEP_1) | instskip(NEXT) | instid1(VALU_DEP_4)
	v_mad_u32 v8, v1, s27, v8
	v_mad_u32 v0, v1, s26, v0
	s_cbranch_scc1 .LBB15_1143
; %bb.1144:
	s_delay_alu instid0(VALU_DEP_2)
	v_mov_b32_e32 v1, v8
	s_and_b32 s6, s1, 3
	s_mov_b32 s1, 0
	s_cmp_eq_u32 s6, 0
	s_cbranch_scc0 .LBB15_1148
	s_branch .LBB15_1151
.LBB15_1145:
	s_mov_b32 s10, -1
                                        ; implicit-def: $vgpr8
                                        ; implicit-def: $vgpr0
	s_branch .LBB15_1151
.LBB15_1146:
	v_dual_mov_b32 v8, 0 :: v_dual_mov_b32 v0, 0
	s_branch .LBB15_1151
.LBB15_1147:
	v_mov_b64_e32 v[0:1], 0
	v_mov_b32_e32 v3, v9
	s_mov_b32 s0, 0
                                        ; implicit-def: $vgpr8
	s_and_b32 s6, s1, 3
	s_mov_b32 s1, 0
	s_cmp_eq_u32 s6, 0
	s_cbranch_scc1 .LBB15_1151
.LBB15_1148:
	s_lshl_b32 s4, s0, 3
	s_mov_b32 s5, s1
	s_mul_u64 s[12:13], s[0:1], 12
	s_add_nc_u64 s[4:5], s[2:3], s[4:5]
	s_delay_alu instid0(SALU_CYCLE_1)
	s_add_nc_u64 s[0:1], s[4:5], 0xc4
	s_add_nc_u64 s[4:5], s[2:3], s[12:13]
.LBB15_1149:                            ; =>This Inner Loop Header: Depth=1
	s_load_b96 s[12:14], s[4:5], 0x4
	s_add_co_i32 s6, s6, -1
	s_wait_xcnt 0x0
	s_add_nc_u64 s[4:5], s[4:5], 12
	s_cmp_lg_u32 s6, 0
	s_wait_kmcnt 0x0
	v_mul_hi_u32 v5, s13, v3
	s_delay_alu instid0(VALU_DEP_1) | instskip(NEXT) | instid1(VALU_DEP_1)
	v_add_nc_u32_e32 v5, v3, v5
	v_lshrrev_b32_e32 v5, s14, v5
	s_load_b64 s[14:15], s[0:1], 0x0
	s_wait_xcnt 0x0
	s_add_nc_u64 s[0:1], s[0:1], 8
	s_delay_alu instid0(VALU_DEP_1) | instskip(NEXT) | instid1(VALU_DEP_1)
	v_mul_lo_u32 v7, v5, s12
	v_sub_nc_u32_e32 v3, v3, v7
	s_wait_kmcnt 0x0
	s_delay_alu instid0(VALU_DEP_1)
	v_mad_u32 v1, v3, s15, v1
	v_mad_u32 v0, v3, s14, v0
	v_mov_b32_e32 v3, v5
	s_cbranch_scc1 .LBB15_1149
; %bb.1150:
	s_delay_alu instid0(VALU_DEP_3)
	v_mov_b32_e32 v8, v1
.LBB15_1151:
	s_and_not1_b32 vcc_lo, exec_lo, s10
	s_cbranch_vccnz .LBB15_1154
; %bb.1152:
	s_clause 0x1
	s_load_b96 s[4:6], s[2:3], 0x4
	s_load_b64 s[0:1], s[2:3], 0xc4
	s_cmp_lt_u32 s30, 2
	s_wait_kmcnt 0x0
	v_mul_hi_u32 v0, s5, v9
	s_delay_alu instid0(VALU_DEP_1) | instskip(NEXT) | instid1(VALU_DEP_1)
	v_add_nc_u32_e32 v0, v9, v0
	v_lshrrev_b32_e32 v1, s6, v0
	s_delay_alu instid0(VALU_DEP_1) | instskip(NEXT) | instid1(VALU_DEP_1)
	v_mul_lo_u32 v0, v1, s4
	v_sub_nc_u32_e32 v0, v9, v0
	s_delay_alu instid0(VALU_DEP_1)
	v_mul_lo_u32 v8, v0, s1
	v_mul_lo_u32 v0, v0, s0
	s_cbranch_scc1 .LBB15_1154
; %bb.1153:
	s_clause 0x1
	s_load_b96 s[4:6], s[2:3], 0x10
	s_load_b64 s[0:1], s[2:3], 0xcc
	s_wait_kmcnt 0x0
	v_mul_hi_u32 v3, s5, v1
	s_delay_alu instid0(VALU_DEP_1) | instskip(NEXT) | instid1(VALU_DEP_1)
	v_add_nc_u32_e32 v3, v1, v3
	v_lshrrev_b32_e32 v3, s6, v3
	s_delay_alu instid0(VALU_DEP_1) | instskip(NEXT) | instid1(VALU_DEP_1)
	v_mul_lo_u32 v3, v3, s4
	v_sub_nc_u32_e32 v1, v1, v3
	s_delay_alu instid0(VALU_DEP_1)
	v_mad_u32 v0, v1, s0, v0
	v_mad_u32 v8, v1, s1, v8
.LBB15_1154:
	v_mov_b32_e32 v15, 0
	s_load_b128 s[4:7], s[2:3], 0x148
	global_load_u8 v1, v15, s[2:3] offset:349
	s_wait_kmcnt 0x0
	v_add_nc_u64_e32 v[14:15], s[6:7], v[14:15]
	s_wait_loadcnt 0x0
	v_and_b32_e32 v3, 0xffff, v1
	v_readfirstlane_b32 s0, v1
	s_delay_alu instid0(VALU_DEP_2)
	v_cmp_gt_i32_e32 vcc_lo, 11, v3
	s_cbranch_vccnz .LBB15_1161
; %bb.1155:
	s_and_b32 s1, 0xffff, s0
	s_mov_b32 s11, 0
	s_cmp_gt_i32 s1, 25
	s_cbranch_scc0 .LBB15_1163
; %bb.1156:
	s_cmp_gt_i32 s1, 28
	s_cbranch_scc0 .LBB15_1164
; %bb.1157:
	;; [unrolled: 3-line block ×4, first 2 shown]
	s_cmp_eq_u32 s1, 46
	s_mov_b32 s13, 0
	s_cbranch_scc0 .LBB15_1169
; %bb.1160:
	global_load_b32 v1, v[14:15], off
	s_mov_b32 s10, 0
	s_mov_b32 s12, -1
	s_wait_loadcnt 0x0
	v_lshlrev_b32_e32 v5, 16, v1
	s_branch .LBB15_1171
.LBB15_1161:
	s_mov_b32 s12, 0
	s_mov_b32 s1, s8
                                        ; implicit-def: $vgpr5
	s_cbranch_execnz .LBB15_1234
.LBB15_1162:
	s_and_not1_b32 vcc_lo, exec_lo, s12
	s_cbranch_vccz .LBB15_1279
	s_branch .LBB15_2100
.LBB15_1163:
	s_mov_b32 s12, 0
	s_mov_b32 s10, 0
                                        ; implicit-def: $vgpr5
	s_cbranch_execnz .LBB15_1199
	s_branch .LBB15_1230
.LBB15_1164:
	s_mov_b32 s13, -1
	s_mov_b32 s12, 0
	s_mov_b32 s10, 0
                                        ; implicit-def: $vgpr5
	s_branch .LBB15_1180
.LBB15_1165:
	s_mov_b32 s12, 0
	s_mov_b32 s10, 0
                                        ; implicit-def: $vgpr5
	s_cbranch_execnz .LBB15_1176
	s_branch .LBB15_1179
.LBB15_1166:
	s_mov_b32 s13, -1
	s_mov_b32 s12, 0
	s_mov_b32 s10, 0
	s_branch .LBB15_1170
.LBB15_1167:
	s_and_not1_saveexec_b32 s9, s9
	s_cbranch_execz .LBB15_1003
.LBB15_1168:
	v_add_f32_e64 v2, 0x46000000, |v4|
	s_and_not1_b32 s8, s8, exec_lo
	s_delay_alu instid0(VALU_DEP_1) | instskip(NEXT) | instid1(VALU_DEP_1)
	v_and_b32_e32 v2, 0xff, v2
	v_cmp_ne_u32_e32 vcc_lo, 0, v2
	s_and_b32 s10, vcc_lo, exec_lo
	s_delay_alu instid0(SALU_CYCLE_1)
	s_or_b32 s8, s8, s10
	s_or_b32 exec_lo, exec_lo, s9
	v_mov_b32_e32 v3, 0
	s_and_saveexec_b32 s9, s8
	s_cbranch_execnz .LBB15_1004
	s_branch .LBB15_1005
.LBB15_1169:
	s_mov_b32 s10, -1
	s_mov_b32 s12, 0
.LBB15_1170:
                                        ; implicit-def: $vgpr5
.LBB15_1171:
	s_and_b32 vcc_lo, exec_lo, s13
	s_cbranch_vccz .LBB15_1174
; %bb.1172:
	s_cmp_eq_u32 s1, 44
	s_cbranch_scc0 .LBB15_1175
; %bb.1173:
	global_load_u8 v1, v[14:15], off
	s_mov_b32 s10, 0
	s_mov_b32 s12, -1
	s_wait_loadcnt 0x0
	v_lshlrev_b32_e32 v3, 23, v1
	v_cmp_ne_u32_e32 vcc_lo, 0xff, v1
	s_delay_alu instid0(VALU_DEP_2) | instskip(SKIP_1) | instid1(VALU_DEP_2)
	v_cndmask_b32_e32 v3, 0x7f800001, v3, vcc_lo
	v_cmp_ne_u32_e32 vcc_lo, 0, v1
	v_cndmask_b32_e32 v5, 0x400000, v3, vcc_lo
.LBB15_1174:
	s_branch .LBB15_1179
.LBB15_1175:
	s_mov_b32 s10, -1
                                        ; implicit-def: $vgpr5
	s_branch .LBB15_1179
.LBB15_1176:
	s_cmp_eq_u32 s1, 29
	s_cbranch_scc0 .LBB15_1178
; %bb.1177:
	global_load_b64 v[16:17], v[14:15], off
	s_mov_b32 s10, 0
	s_mov_b32 s12, -1
	s_mov_b32 s13, 0
	s_wait_loadcnt 0x0
	v_clz_i32_u32_e32 v1, v17
	s_delay_alu instid0(VALU_DEP_1) | instskip(NEXT) | instid1(VALU_DEP_1)
	v_min_u32_e32 v1, 32, v1
	v_lshlrev_b64_e32 v[16:17], v1, v[16:17]
	v_sub_nc_u32_e32 v1, 32, v1
	s_delay_alu instid0(VALU_DEP_2) | instskip(NEXT) | instid1(VALU_DEP_1)
	v_min_u32_e32 v3, 1, v16
	v_or_b32_e32 v3, v17, v3
	s_delay_alu instid0(VALU_DEP_1) | instskip(NEXT) | instid1(VALU_DEP_1)
	v_cvt_f32_u32_e32 v3, v3
	v_ldexp_f32 v5, v3, v1
	s_branch .LBB15_1180
.LBB15_1178:
	s_mov_b32 s10, -1
                                        ; implicit-def: $vgpr5
.LBB15_1179:
	s_mov_b32 s13, 0
.LBB15_1180:
	s_delay_alu instid0(SALU_CYCLE_1)
	s_and_b32 vcc_lo, exec_lo, s13
	s_cbranch_vccz .LBB15_1198
; %bb.1181:
	s_cmp_lt_i32 s1, 27
	s_cbranch_scc1 .LBB15_1184
; %bb.1182:
	s_cmp_gt_i32 s1, 27
	s_cbranch_scc0 .LBB15_1185
; %bb.1183:
	global_load_b32 v1, v[14:15], off
	s_mov_b32 s12, 0
	s_wait_loadcnt 0x0
	v_cvt_f32_u32_e32 v5, v1
	s_branch .LBB15_1186
.LBB15_1184:
	s_mov_b32 s12, -1
                                        ; implicit-def: $vgpr5
	s_branch .LBB15_1189
.LBB15_1185:
	s_mov_b32 s12, -1
                                        ; implicit-def: $vgpr5
.LBB15_1186:
	s_delay_alu instid0(SALU_CYCLE_1)
	s_and_not1_b32 vcc_lo, exec_lo, s12
	s_cbranch_vccnz .LBB15_1188
; %bb.1187:
	global_load_u16 v1, v[14:15], off
	s_wait_loadcnt 0x0
	v_cvt_f32_u32_e32 v5, v1
.LBB15_1188:
	s_mov_b32 s12, 0
.LBB15_1189:
	s_delay_alu instid0(SALU_CYCLE_1)
	s_and_not1_b32 vcc_lo, exec_lo, s12
	s_cbranch_vccnz .LBB15_1197
; %bb.1190:
	global_load_u8 v1, v[14:15], off
	s_mov_b32 s12, 0
	s_mov_b32 s13, exec_lo
	s_wait_loadcnt 0x0
	v_cmpx_lt_i16_e32 0x7f, v1
	s_xor_b32 s13, exec_lo, s13
	s_cbranch_execz .LBB15_1210
; %bb.1191:
	s_mov_b32 s12, -1
	s_mov_b32 s14, exec_lo
	v_cmpx_eq_u16_e32 0x80, v1
; %bb.1192:
	s_xor_b32 s12, exec_lo, -1
; %bb.1193:
	s_or_b32 exec_lo, exec_lo, s14
	s_delay_alu instid0(SALU_CYCLE_1)
	s_and_b32 s12, s12, exec_lo
	s_or_saveexec_b32 s13, s13
	v_mov_b32_e32 v5, 0x7f800001
	s_xor_b32 exec_lo, exec_lo, s13
	s_cbranch_execnz .LBB15_1211
.LBB15_1194:
	s_or_b32 exec_lo, exec_lo, s13
	s_and_saveexec_b32 s13, s12
	s_cbranch_execz .LBB15_1196
.LBB15_1195:
	v_and_b32_e32 v3, 0xffff, v1
	s_delay_alu instid0(VALU_DEP_1) | instskip(SKIP_1) | instid1(VALU_DEP_2)
	v_dual_lshlrev_b32 v1, 24, v1 :: v_dual_bitop2_b32 v5, 7, v3 bitop3:0x40
	v_bfe_u32 v11, v3, 3, 4
	v_and_b32_e32 v1, 0x80000000, v1
	s_delay_alu instid0(VALU_DEP_3) | instskip(NEXT) | instid1(VALU_DEP_3)
	v_clz_i32_u32_e32 v7, v5
	v_cmp_eq_u32_e32 vcc_lo, 0, v11
	s_delay_alu instid0(VALU_DEP_2) | instskip(NEXT) | instid1(VALU_DEP_1)
	v_min_u32_e32 v7, 32, v7
	v_subrev_nc_u32_e32 v9, 28, v7
	v_sub_nc_u32_e32 v7, 29, v7
	s_delay_alu instid0(VALU_DEP_2) | instskip(NEXT) | instid1(VALU_DEP_2)
	v_lshlrev_b32_e32 v3, v9, v3
	v_cndmask_b32_e32 v7, v11, v7, vcc_lo
	s_delay_alu instid0(VALU_DEP_2) | instskip(NEXT) | instid1(VALU_DEP_1)
	v_and_b32_e32 v3, 7, v3
	v_cndmask_b32_e32 v3, v5, v3, vcc_lo
	s_delay_alu instid0(VALU_DEP_3) | instskip(NEXT) | instid1(VALU_DEP_2)
	v_lshl_add_u32 v5, v7, 23, 0x3b800000
	v_lshlrev_b32_e32 v3, 20, v3
	s_delay_alu instid0(VALU_DEP_1)
	v_or3_b32 v5, v1, v5, v3
.LBB15_1196:
	s_or_b32 exec_lo, exec_lo, s13
.LBB15_1197:
	s_mov_b32 s12, -1
.LBB15_1198:
	s_branch .LBB15_1230
.LBB15_1199:
	s_cmp_gt_i32 s1, 22
	s_cbranch_scc0 .LBB15_1209
; %bb.1200:
	s_cmp_lt_i32 s1, 24
	s_cbranch_scc1 .LBB15_1212
; %bb.1201:
	s_cmp_gt_i32 s1, 24
	s_cbranch_scc0 .LBB15_1213
; %bb.1202:
	global_load_u8 v1, v[14:15], off
	s_mov_b32 s12, exec_lo
	s_wait_loadcnt 0x0
	v_cmpx_lt_i16_e32 0x7f, v1
	s_xor_b32 s12, exec_lo, s12
	s_cbranch_execz .LBB15_1224
; %bb.1203:
	s_mov_b32 s11, -1
	s_mov_b32 s13, exec_lo
	v_cmpx_eq_u16_e32 0x80, v1
; %bb.1204:
	s_xor_b32 s11, exec_lo, -1
; %bb.1205:
	s_or_b32 exec_lo, exec_lo, s13
	s_delay_alu instid0(SALU_CYCLE_1)
	s_and_b32 s11, s11, exec_lo
	s_or_saveexec_b32 s12, s12
	v_mov_b32_e32 v5, 0x7f800001
	s_xor_b32 exec_lo, exec_lo, s12
	s_cbranch_execnz .LBB15_1225
.LBB15_1206:
	s_or_b32 exec_lo, exec_lo, s12
	s_and_saveexec_b32 s12, s11
	s_cbranch_execz .LBB15_1208
.LBB15_1207:
	v_and_b32_e32 v3, 0xffff, v1
	s_delay_alu instid0(VALU_DEP_1) | instskip(SKIP_1) | instid1(VALU_DEP_2)
	v_dual_lshlrev_b32 v1, 24, v1 :: v_dual_bitop2_b32 v5, 3, v3 bitop3:0x40
	v_bfe_u32 v11, v3, 2, 5
	v_and_b32_e32 v1, 0x80000000, v1
	s_delay_alu instid0(VALU_DEP_3) | instskip(NEXT) | instid1(VALU_DEP_3)
	v_clz_i32_u32_e32 v7, v5
	v_cmp_eq_u32_e32 vcc_lo, 0, v11
	s_delay_alu instid0(VALU_DEP_2) | instskip(NEXT) | instid1(VALU_DEP_1)
	v_min_u32_e32 v7, 32, v7
	v_subrev_nc_u32_e32 v9, 29, v7
	v_sub_nc_u32_e32 v7, 30, v7
	s_delay_alu instid0(VALU_DEP_2) | instskip(NEXT) | instid1(VALU_DEP_2)
	v_lshlrev_b32_e32 v3, v9, v3
	v_cndmask_b32_e32 v7, v11, v7, vcc_lo
	s_delay_alu instid0(VALU_DEP_2) | instskip(NEXT) | instid1(VALU_DEP_1)
	v_and_b32_e32 v3, 3, v3
	v_cndmask_b32_e32 v3, v5, v3, vcc_lo
	s_delay_alu instid0(VALU_DEP_3) | instskip(NEXT) | instid1(VALU_DEP_2)
	v_lshl_add_u32 v5, v7, 23, 0x37800000
	v_lshlrev_b32_e32 v3, 21, v3
	s_delay_alu instid0(VALU_DEP_1)
	v_or3_b32 v5, v1, v5, v3
.LBB15_1208:
	s_or_b32 exec_lo, exec_lo, s12
	s_mov_b32 s11, 0
	s_branch .LBB15_1214
.LBB15_1209:
                                        ; implicit-def: $vgpr5
	s_mov_b32 s11, 0
	s_branch .LBB15_1220
.LBB15_1210:
	s_or_saveexec_b32 s13, s13
	v_mov_b32_e32 v5, 0x7f800001
	s_xor_b32 exec_lo, exec_lo, s13
	s_cbranch_execz .LBB15_1194
.LBB15_1211:
	v_cmp_ne_u16_e32 vcc_lo, 0, v1
	v_mov_b32_e32 v5, 0
	s_and_not1_b32 s12, s12, exec_lo
	s_and_b32 s14, vcc_lo, exec_lo
	s_delay_alu instid0(SALU_CYCLE_1)
	s_or_b32 s12, s12, s14
	s_or_b32 exec_lo, exec_lo, s13
	s_and_saveexec_b32 s13, s12
	s_cbranch_execnz .LBB15_1195
	s_branch .LBB15_1196
.LBB15_1212:
	s_mov_b32 s11, -1
                                        ; implicit-def: $vgpr5
	s_branch .LBB15_1217
.LBB15_1213:
	s_mov_b32 s11, -1
                                        ; implicit-def: $vgpr5
.LBB15_1214:
	s_delay_alu instid0(SALU_CYCLE_1)
	s_and_b32 vcc_lo, exec_lo, s11
	s_cbranch_vccz .LBB15_1216
; %bb.1215:
	global_load_u8 v1, v[14:15], off
	s_wait_loadcnt 0x0
	v_lshlrev_b32_e32 v1, 24, v1
	s_delay_alu instid0(VALU_DEP_1) | instskip(NEXT) | instid1(VALU_DEP_1)
	v_and_b32_e32 v3, 0x7f000000, v1
	v_clz_i32_u32_e32 v5, v3
	v_add_nc_u32_e32 v9, 0x1000000, v3
	v_cmp_ne_u32_e32 vcc_lo, 0, v3
	s_delay_alu instid0(VALU_DEP_3) | instskip(NEXT) | instid1(VALU_DEP_1)
	v_min_u32_e32 v5, 32, v5
	v_sub_nc_u32_e64 v5, v5, 4 clamp
	s_delay_alu instid0(VALU_DEP_1) | instskip(NEXT) | instid1(VALU_DEP_1)
	v_dual_lshlrev_b32 v7, v5, v3 :: v_dual_lshlrev_b32 v5, 23, v5
	v_lshrrev_b32_e32 v7, 4, v7
	s_delay_alu instid0(VALU_DEP_1) | instskip(SKIP_1) | instid1(VALU_DEP_2)
	v_sub_nc_u32_e32 v5, v7, v5
	v_ashrrev_i32_e32 v7, 8, v9
	v_add_nc_u32_e32 v5, 0x3c000000, v5
	s_delay_alu instid0(VALU_DEP_1) | instskip(NEXT) | instid1(VALU_DEP_1)
	v_and_or_b32 v5, 0x7f800000, v7, v5
	v_cndmask_b32_e32 v3, 0, v5, vcc_lo
	s_delay_alu instid0(VALU_DEP_1)
	v_and_or_b32 v5, 0x80000000, v1, v3
.LBB15_1216:
	s_mov_b32 s11, 0
.LBB15_1217:
	s_delay_alu instid0(SALU_CYCLE_1)
	s_and_not1_b32 vcc_lo, exec_lo, s11
	s_cbranch_vccnz .LBB15_1219
; %bb.1218:
	global_load_u8 v1, v[14:15], off
	s_wait_loadcnt 0x0
	v_lshlrev_b32_e32 v3, 25, v1
	v_lshlrev_b16 v1, 8, v1
	s_delay_alu instid0(VALU_DEP_1) | instskip(SKIP_1) | instid1(VALU_DEP_2)
	v_and_or_b32 v7, 0x7f00, v1, 0.5
	v_bfe_i32 v1, v1, 0, 16
	v_add_f32_e32 v7, -0.5, v7
	v_lshrrev_b32_e32 v5, 4, v3
	v_cmp_gt_u32_e32 vcc_lo, 0x8000000, v3
	s_delay_alu instid0(VALU_DEP_2) | instskip(NEXT) | instid1(VALU_DEP_1)
	v_or_b32_e32 v5, 0x70000000, v5
	v_mul_f32_e32 v5, 0x7800000, v5
	s_delay_alu instid0(VALU_DEP_1) | instskip(NEXT) | instid1(VALU_DEP_1)
	v_cndmask_b32_e32 v3, v5, v7, vcc_lo
	v_and_or_b32 v5, 0x80000000, v1, v3
.LBB15_1219:
	s_mov_b32 s12, -1
	s_mov_b32 s11, 0
	s_cbranch_execnz .LBB15_1230
.LBB15_1220:
	s_cmp_gt_i32 s1, 14
	s_cbranch_scc0 .LBB15_1223
; %bb.1221:
	s_cmp_eq_u32 s1, 15
	s_cbranch_scc0 .LBB15_1226
; %bb.1222:
	global_load_u16 v1, v[14:15], off
	s_mov_b32 s10, 0
	s_mov_b32 s12, -1
	s_wait_loadcnt 0x0
	v_lshlrev_b32_e32 v5, 16, v1
	s_branch .LBB15_1228
.LBB15_1223:
	s_mov_b32 s11, -1
	s_branch .LBB15_1227
.LBB15_1224:
	s_or_saveexec_b32 s12, s12
	v_mov_b32_e32 v5, 0x7f800001
	s_xor_b32 exec_lo, exec_lo, s12
	s_cbranch_execz .LBB15_1206
.LBB15_1225:
	v_cmp_ne_u16_e32 vcc_lo, 0, v1
	v_mov_b32_e32 v5, 0
	s_and_not1_b32 s11, s11, exec_lo
	s_and_b32 s13, vcc_lo, exec_lo
	s_delay_alu instid0(SALU_CYCLE_1)
	s_or_b32 s11, s11, s13
	s_or_b32 exec_lo, exec_lo, s12
	s_and_saveexec_b32 s12, s11
	s_cbranch_execnz .LBB15_1207
	s_branch .LBB15_1208
.LBB15_1226:
	s_mov_b32 s10, -1
.LBB15_1227:
                                        ; implicit-def: $vgpr5
.LBB15_1228:
	s_and_b32 vcc_lo, exec_lo, s11
	s_mov_b32 s11, 0
	s_cbranch_vccz .LBB15_1230
; %bb.1229:
	s_cmp_lg_u32 s1, 11
	s_mov_b32 s11, -1
	s_cselect_b32 s10, -1, 0
.LBB15_1230:
	s_delay_alu instid0(SALU_CYCLE_1)
	s_and_b32 vcc_lo, exec_lo, s10
	s_mov_b32 s1, s8
	s_cbranch_vccnz .LBB15_1291
; %bb.1231:
	s_and_not1_b32 vcc_lo, exec_lo, s11
	s_cbranch_vccnz .LBB15_1233
.LBB15_1232:
	global_load_u8 v1, v[14:15], off
	s_mov_b32 s12, -1
	s_wait_loadcnt 0x0
	v_cmp_ne_u16_e32 vcc_lo, 0, v1
	v_cndmask_b32_e64 v5, 0, 1.0, vcc_lo
.LBB15_1233:
	s_branch .LBB15_1162
.LBB15_1234:
	s_and_b32 s10, 0xffff, s0
	s_delay_alu instid0(SALU_CYCLE_1)
	s_cmp_lt_i32 s10, 5
	s_cbranch_scc1 .LBB15_1239
; %bb.1235:
	s_cmp_lt_i32 s10, 8
	s_cbranch_scc1 .LBB15_1240
; %bb.1236:
	;; [unrolled: 3-line block ×3, first 2 shown]
	s_cmp_gt_i32 s10, 9
	s_cbranch_scc0 .LBB15_1242
; %bb.1238:
	global_load_b64 v[16:17], v[14:15], off
	s_mov_b32 s11, 0
	s_wait_loadcnt 0x0
	v_cvt_f32_f64_e32 v5, v[16:17]
	s_branch .LBB15_1243
.LBB15_1239:
                                        ; implicit-def: $vgpr5
	s_branch .LBB15_1260
.LBB15_1240:
                                        ; implicit-def: $vgpr5
	s_branch .LBB15_1249
.LBB15_1241:
	s_mov_b32 s11, -1
                                        ; implicit-def: $vgpr5
	s_branch .LBB15_1246
.LBB15_1242:
	s_mov_b32 s11, -1
                                        ; implicit-def: $vgpr5
.LBB15_1243:
	s_delay_alu instid0(SALU_CYCLE_1)
	s_and_not1_b32 vcc_lo, exec_lo, s11
	s_cbranch_vccnz .LBB15_1245
; %bb.1244:
	global_load_b32 v5, v[14:15], off
.LBB15_1245:
	s_mov_b32 s11, 0
.LBB15_1246:
	s_delay_alu instid0(SALU_CYCLE_1)
	s_and_not1_b32 vcc_lo, exec_lo, s11
	s_cbranch_vccnz .LBB15_1248
; %bb.1247:
	global_load_b32 v1, v[14:15], off
	s_wait_loadcnt 0x0
	v_cvt_f32_f16_e32 v5, v1
.LBB15_1248:
	s_cbranch_execnz .LBB15_1259
.LBB15_1249:
	s_cmp_lt_i32 s10, 6
	s_cbranch_scc1 .LBB15_1252
; %bb.1250:
	s_cmp_gt_i32 s10, 6
	s_cbranch_scc0 .LBB15_1253
; %bb.1251:
	global_load_b64 v[16:17], v[14:15], off
	s_mov_b32 s11, 0
	s_wait_loadcnt 0x0
	v_cvt_f32_f64_e32 v5, v[16:17]
	s_branch .LBB15_1254
.LBB15_1252:
	s_mov_b32 s11, -1
                                        ; implicit-def: $vgpr5
	s_branch .LBB15_1257
.LBB15_1253:
	s_mov_b32 s11, -1
                                        ; implicit-def: $vgpr5
.LBB15_1254:
	s_delay_alu instid0(SALU_CYCLE_1)
	s_and_not1_b32 vcc_lo, exec_lo, s11
	s_cbranch_vccnz .LBB15_1256
; %bb.1255:
	s_wait_loadcnt 0x0
	global_load_b32 v5, v[14:15], off
.LBB15_1256:
	s_mov_b32 s11, 0
.LBB15_1257:
	s_delay_alu instid0(SALU_CYCLE_1)
	s_and_not1_b32 vcc_lo, exec_lo, s11
	s_cbranch_vccnz .LBB15_1259
; %bb.1258:
	global_load_u16 v1, v[14:15], off
	s_wait_loadcnt 0x0
	v_cvt_f32_f16_e32 v5, v1
.LBB15_1259:
	s_cbranch_execnz .LBB15_1278
.LBB15_1260:
	s_cmp_lt_i32 s10, 2
	s_cbranch_scc1 .LBB15_1264
; %bb.1261:
	s_cmp_lt_i32 s10, 3
	s_cbranch_scc1 .LBB15_1265
; %bb.1262:
	s_cmp_gt_i32 s10, 3
	s_cbranch_scc0 .LBB15_1266
; %bb.1263:
	global_load_b64 v[16:17], v[14:15], off
	s_mov_b32 s11, 0
	s_wait_loadcnt 0x0
	v_xor_b32_e32 v1, v16, v17
	v_cls_i32_e32 v3, v17
	s_delay_alu instid0(VALU_DEP_2) | instskip(NEXT) | instid1(VALU_DEP_1)
	v_ashrrev_i32_e32 v1, 31, v1
	v_add_nc_u32_e32 v1, 32, v1
	s_delay_alu instid0(VALU_DEP_1) | instskip(NEXT) | instid1(VALU_DEP_1)
	v_add_min_u32_e64 v1, v3, -1, v1
	v_lshlrev_b64_e32 v[16:17], v1, v[16:17]
	v_sub_nc_u32_e32 v1, 32, v1
	s_delay_alu instid0(VALU_DEP_2) | instskip(NEXT) | instid1(VALU_DEP_1)
	v_min_u32_e32 v3, 1, v16
	v_or_b32_e32 v3, v17, v3
	s_delay_alu instid0(VALU_DEP_1) | instskip(NEXT) | instid1(VALU_DEP_1)
	v_cvt_f32_i32_e32 v3, v3
	v_ldexp_f32 v5, v3, v1
	s_branch .LBB15_1267
.LBB15_1264:
                                        ; implicit-def: $vgpr5
	s_branch .LBB15_1273
.LBB15_1265:
	s_mov_b32 s11, -1
                                        ; implicit-def: $vgpr5
	s_branch .LBB15_1270
.LBB15_1266:
	s_mov_b32 s11, -1
                                        ; implicit-def: $vgpr5
.LBB15_1267:
	s_delay_alu instid0(SALU_CYCLE_1)
	s_and_not1_b32 vcc_lo, exec_lo, s11
	s_cbranch_vccnz .LBB15_1269
; %bb.1268:
	global_load_b32 v1, v[14:15], off
	s_wait_loadcnt 0x0
	v_cvt_f32_i32_e32 v5, v1
.LBB15_1269:
	s_mov_b32 s11, 0
.LBB15_1270:
	s_delay_alu instid0(SALU_CYCLE_1)
	s_and_not1_b32 vcc_lo, exec_lo, s11
	s_cbranch_vccnz .LBB15_1272
; %bb.1271:
	global_load_i16 v1, v[14:15], off
	s_wait_loadcnt 0x0
	v_cvt_f32_i32_e32 v5, v1
.LBB15_1272:
	s_cbranch_execnz .LBB15_1278
.LBB15_1273:
	s_cmp_gt_i32 s10, 0
	s_mov_b32 s10, 0
	s_cbranch_scc0 .LBB15_1275
; %bb.1274:
	global_load_i8 v1, v[14:15], off
	s_wait_loadcnt 0x0
	v_cvt_f32_i32_e32 v5, v1
	s_branch .LBB15_1276
.LBB15_1275:
	s_mov_b32 s10, -1
                                        ; implicit-def: $vgpr5
.LBB15_1276:
	s_delay_alu instid0(SALU_CYCLE_1)
	s_and_not1_b32 vcc_lo, exec_lo, s10
	s_cbranch_vccnz .LBB15_1278
; %bb.1277:
	global_load_u8 v1, v[14:15], off
	s_wait_loadcnt 0x0
	v_cvt_f32_ubyte0_e32 v5, v1
.LBB15_1278:
.LBB15_1279:
	v_mov_b32_e32 v13, 0
	s_and_b32 s0, 0xffff, s0
	s_delay_alu instid0(SALU_CYCLE_1) | instskip(NEXT) | instid1(VALU_DEP_1)
	s_cmp_lt_i32 s0, 11
	v_add_nc_u64_e32 v[12:13], s[6:7], v[12:13]
	s_cbranch_scc1 .LBB15_1286
; %bb.1280:
	s_cmp_gt_i32 s0, 25
	s_mov_b32 s11, 0
	s_cbranch_scc0 .LBB15_1288
; %bb.1281:
	s_cmp_gt_i32 s0, 28
	s_cbranch_scc0 .LBB15_1289
; %bb.1282:
	s_cmp_gt_i32 s0, 43
	;; [unrolled: 3-line block ×3, first 2 shown]
	s_cbranch_scc0 .LBB15_1292
; %bb.1284:
	s_cmp_eq_u32 s0, 46
	s_mov_b32 s13, 0
	s_cbranch_scc0 .LBB15_1295
; %bb.1285:
	global_load_b32 v1, v[12:13], off
	s_mov_b32 s10, 0
	s_mov_b32 s12, -1
	s_wait_loadcnt 0x0
	v_lshlrev_b32_e32 v3, 16, v1
	s_branch .LBB15_1297
.LBB15_1286:
	s_mov_b32 s12, 0
                                        ; implicit-def: $vgpr3
	s_cbranch_execnz .LBB15_1362
.LBB15_1287:
	s_and_not1_b32 vcc_lo, exec_lo, s12
	s_cbranch_vccz .LBB15_1409
	s_branch .LBB15_2100
.LBB15_1288:
	s_mov_b32 s12, 0
	s_mov_b32 s10, 0
                                        ; implicit-def: $vgpr3
	s_cbranch_execnz .LBB15_1326
	s_branch .LBB15_1358
.LBB15_1289:
	s_mov_b32 s13, -1
	s_mov_b32 s12, 0
	s_mov_b32 s10, 0
                                        ; implicit-def: $vgpr3
	s_branch .LBB15_1307
.LBB15_1290:
	s_mov_b32 s13, -1
	s_mov_b32 s12, 0
	s_mov_b32 s10, 0
                                        ; implicit-def: $vgpr3
	s_branch .LBB15_1302
.LBB15_1291:
	s_or_b32 s1, s8, exec_lo
	s_trap 2
	s_cbranch_execz .LBB15_1232
	s_branch .LBB15_1233
.LBB15_1292:
	s_mov_b32 s13, -1
	s_mov_b32 s12, 0
	s_mov_b32 s10, 0
	s_branch .LBB15_1296
.LBB15_1293:
	s_and_not1_saveexec_b32 s10, s10
	s_cbranch_execz .LBB15_1015
.LBB15_1294:
	v_add_f32_e64 v2, 0x42800000, |v4|
	s_and_not1_b32 s9, s9, exec_lo
	s_delay_alu instid0(VALU_DEP_1) | instskip(NEXT) | instid1(VALU_DEP_1)
	v_and_b32_e32 v2, 0xff, v2
	v_cmp_ne_u32_e32 vcc_lo, 0, v2
	s_and_b32 s11, vcc_lo, exec_lo
	s_delay_alu instid0(SALU_CYCLE_1)
	s_or_b32 s9, s9, s11
	s_or_b32 exec_lo, exec_lo, s10
	v_mov_b32_e32 v3, 0
	s_and_saveexec_b32 s10, s9
	s_cbranch_execnz .LBB15_1016
	s_branch .LBB15_1017
.LBB15_1295:
	s_mov_b32 s10, -1
	s_mov_b32 s12, 0
.LBB15_1296:
                                        ; implicit-def: $vgpr3
.LBB15_1297:
	s_and_b32 vcc_lo, exec_lo, s13
	s_cbranch_vccz .LBB15_1301
; %bb.1298:
	s_cmp_eq_u32 s0, 44
	s_cbranch_scc0 .LBB15_1300
; %bb.1299:
	global_load_u8 v1, v[12:13], off
	s_mov_b32 s10, 0
	s_mov_b32 s12, -1
	s_wait_loadcnt 0x0
	v_lshlrev_b32_e32 v3, 23, v1
	v_cmp_ne_u32_e32 vcc_lo, 0xff, v1
	s_delay_alu instid0(VALU_DEP_2) | instskip(SKIP_1) | instid1(VALU_DEP_2)
	v_cndmask_b32_e32 v3, 0x7f800001, v3, vcc_lo
	v_cmp_ne_u32_e32 vcc_lo, 0, v1
	v_cndmask_b32_e32 v3, 0x400000, v3, vcc_lo
	s_branch .LBB15_1301
.LBB15_1300:
	s_mov_b32 s10, -1
                                        ; implicit-def: $vgpr3
.LBB15_1301:
	s_mov_b32 s13, 0
.LBB15_1302:
	s_delay_alu instid0(SALU_CYCLE_1)
	s_and_b32 vcc_lo, exec_lo, s13
	s_cbranch_vccz .LBB15_1306
; %bb.1303:
	s_cmp_eq_u32 s0, 29
	s_cbranch_scc0 .LBB15_1305
; %bb.1304:
	global_load_b64 v[14:15], v[12:13], off
	s_mov_b32 s10, 0
	s_mov_b32 s12, -1
	s_mov_b32 s13, 0
	s_wait_loadcnt 0x0
	v_clz_i32_u32_e32 v1, v15
	s_delay_alu instid0(VALU_DEP_1) | instskip(NEXT) | instid1(VALU_DEP_1)
	v_min_u32_e32 v1, 32, v1
	v_lshlrev_b64_e32 v[14:15], v1, v[14:15]
	v_sub_nc_u32_e32 v1, 32, v1
	s_delay_alu instid0(VALU_DEP_2) | instskip(NEXT) | instid1(VALU_DEP_1)
	v_min_u32_e32 v3, 1, v14
	v_or_b32_e32 v3, v15, v3
	s_delay_alu instid0(VALU_DEP_1) | instskip(NEXT) | instid1(VALU_DEP_1)
	v_cvt_f32_u32_e32 v3, v3
	v_ldexp_f32 v3, v3, v1
	s_branch .LBB15_1307
.LBB15_1305:
	s_mov_b32 s10, -1
                                        ; implicit-def: $vgpr3
.LBB15_1306:
	s_mov_b32 s13, 0
.LBB15_1307:
	s_delay_alu instid0(SALU_CYCLE_1)
	s_and_b32 vcc_lo, exec_lo, s13
	s_cbranch_vccz .LBB15_1325
; %bb.1308:
	s_cmp_lt_i32 s0, 27
	s_cbranch_scc1 .LBB15_1311
; %bb.1309:
	s_cmp_gt_i32 s0, 27
	s_cbranch_scc0 .LBB15_1312
; %bb.1310:
	global_load_b32 v1, v[12:13], off
	s_mov_b32 s12, 0
	s_wait_loadcnt 0x0
	v_cvt_f32_u32_e32 v3, v1
	s_branch .LBB15_1313
.LBB15_1311:
	s_mov_b32 s12, -1
                                        ; implicit-def: $vgpr3
	s_branch .LBB15_1316
.LBB15_1312:
	s_mov_b32 s12, -1
                                        ; implicit-def: $vgpr3
.LBB15_1313:
	s_delay_alu instid0(SALU_CYCLE_1)
	s_and_not1_b32 vcc_lo, exec_lo, s12
	s_cbranch_vccnz .LBB15_1315
; %bb.1314:
	global_load_u16 v1, v[12:13], off
	s_wait_loadcnt 0x0
	v_cvt_f32_u32_e32 v3, v1
.LBB15_1315:
	s_mov_b32 s12, 0
.LBB15_1316:
	s_delay_alu instid0(SALU_CYCLE_1)
	s_and_not1_b32 vcc_lo, exec_lo, s12
	s_cbranch_vccnz .LBB15_1324
; %bb.1317:
	global_load_u8 v1, v[12:13], off
	s_mov_b32 s12, 0
	s_mov_b32 s13, exec_lo
	s_wait_loadcnt 0x0
	v_cmpx_lt_i16_e32 0x7f, v1
	s_xor_b32 s13, exec_lo, s13
	s_cbranch_execz .LBB15_1337
; %bb.1318:
	s_mov_b32 s12, -1
	s_mov_b32 s14, exec_lo
	v_cmpx_eq_u16_e32 0x80, v1
; %bb.1319:
	s_xor_b32 s12, exec_lo, -1
; %bb.1320:
	s_or_b32 exec_lo, exec_lo, s14
	s_delay_alu instid0(SALU_CYCLE_1)
	s_and_b32 s12, s12, exec_lo
	s_or_saveexec_b32 s13, s13
	v_mov_b32_e32 v3, 0x7f800001
	s_xor_b32 exec_lo, exec_lo, s13
	s_cbranch_execnz .LBB15_1338
.LBB15_1321:
	s_or_b32 exec_lo, exec_lo, s13
	s_and_saveexec_b32 s13, s12
	s_cbranch_execz .LBB15_1323
.LBB15_1322:
	v_and_b32_e32 v3, 0xffff, v1
	s_delay_alu instid0(VALU_DEP_1) | instskip(SKIP_1) | instid1(VALU_DEP_2)
	v_and_b32_e32 v7, 7, v3
	v_bfe_u32 v14, v3, 3, 4
	v_clz_i32_u32_e32 v9, v7
	s_delay_alu instid0(VALU_DEP_2) | instskip(NEXT) | instid1(VALU_DEP_2)
	v_cmp_eq_u32_e32 vcc_lo, 0, v14
	v_min_u32_e32 v9, 32, v9
	s_delay_alu instid0(VALU_DEP_1) | instskip(NEXT) | instid1(VALU_DEP_1)
	v_subrev_nc_u32_e32 v11, 28, v9
	v_dual_lshlrev_b32 v3, v11, v3 :: v_dual_sub_nc_u32 v9, 29, v9
	s_delay_alu instid0(VALU_DEP_1) | instskip(NEXT) | instid1(VALU_DEP_1)
	v_dual_lshlrev_b32 v1, 24, v1 :: v_dual_bitop2_b32 v3, 7, v3 bitop3:0x40
	v_dual_cndmask_b32 v3, v7, v3, vcc_lo :: v_dual_cndmask_b32 v9, v14, v9, vcc_lo
	s_delay_alu instid0(VALU_DEP_2) | instskip(NEXT) | instid1(VALU_DEP_2)
	v_and_b32_e32 v1, 0x80000000, v1
	v_lshlrev_b32_e32 v3, 20, v3
	s_delay_alu instid0(VALU_DEP_3) | instskip(NEXT) | instid1(VALU_DEP_1)
	v_lshl_add_u32 v7, v9, 23, 0x3b800000
	v_or3_b32 v3, v1, v7, v3
.LBB15_1323:
	s_or_b32 exec_lo, exec_lo, s13
.LBB15_1324:
	s_mov_b32 s12, -1
.LBB15_1325:
	s_branch .LBB15_1358
.LBB15_1326:
	s_cmp_gt_i32 s0, 22
	s_cbranch_scc0 .LBB15_1336
; %bb.1327:
	s_cmp_lt_i32 s0, 24
	s_cbranch_scc1 .LBB15_1339
; %bb.1328:
	s_cmp_gt_i32 s0, 24
	s_cbranch_scc0 .LBB15_1340
; %bb.1329:
	global_load_u8 v1, v[12:13], off
	s_mov_b32 s12, exec_lo
	s_wait_loadcnt 0x0
	v_cmpx_lt_i16_e32 0x7f, v1
	s_xor_b32 s12, exec_lo, s12
	s_cbranch_execz .LBB15_1352
; %bb.1330:
	s_mov_b32 s11, -1
	s_mov_b32 s13, exec_lo
	v_cmpx_eq_u16_e32 0x80, v1
; %bb.1331:
	s_xor_b32 s11, exec_lo, -1
; %bb.1332:
	s_or_b32 exec_lo, exec_lo, s13
	s_delay_alu instid0(SALU_CYCLE_1)
	s_and_b32 s11, s11, exec_lo
	s_or_saveexec_b32 s12, s12
	v_mov_b32_e32 v3, 0x7f800001
	s_xor_b32 exec_lo, exec_lo, s12
	s_cbranch_execnz .LBB15_1353
.LBB15_1333:
	s_or_b32 exec_lo, exec_lo, s12
	s_and_saveexec_b32 s12, s11
	s_cbranch_execz .LBB15_1335
.LBB15_1334:
	v_and_b32_e32 v3, 0xffff, v1
	s_delay_alu instid0(VALU_DEP_1) | instskip(SKIP_1) | instid1(VALU_DEP_2)
	v_and_b32_e32 v7, 3, v3
	v_bfe_u32 v14, v3, 2, 5
	v_clz_i32_u32_e32 v9, v7
	s_delay_alu instid0(VALU_DEP_2) | instskip(NEXT) | instid1(VALU_DEP_2)
	v_cmp_eq_u32_e32 vcc_lo, 0, v14
	v_min_u32_e32 v9, 32, v9
	s_delay_alu instid0(VALU_DEP_1) | instskip(NEXT) | instid1(VALU_DEP_1)
	v_subrev_nc_u32_e32 v11, 29, v9
	v_dual_lshlrev_b32 v3, v11, v3 :: v_dual_sub_nc_u32 v9, 30, v9
	s_delay_alu instid0(VALU_DEP_1) | instskip(NEXT) | instid1(VALU_DEP_1)
	v_dual_lshlrev_b32 v1, 24, v1 :: v_dual_bitop2_b32 v3, 3, v3 bitop3:0x40
	v_dual_cndmask_b32 v3, v7, v3, vcc_lo :: v_dual_cndmask_b32 v9, v14, v9, vcc_lo
	s_delay_alu instid0(VALU_DEP_2) | instskip(NEXT) | instid1(VALU_DEP_2)
	v_and_b32_e32 v1, 0x80000000, v1
	v_lshlrev_b32_e32 v3, 21, v3
	s_delay_alu instid0(VALU_DEP_3) | instskip(NEXT) | instid1(VALU_DEP_1)
	v_lshl_add_u32 v7, v9, 23, 0x37800000
	v_or3_b32 v3, v1, v7, v3
.LBB15_1335:
	s_or_b32 exec_lo, exec_lo, s12
	s_mov_b32 s11, 0
	s_branch .LBB15_1341
.LBB15_1336:
	s_mov_b32 s11, -1
                                        ; implicit-def: $vgpr3
	s_branch .LBB15_1347
.LBB15_1337:
	s_or_saveexec_b32 s13, s13
	v_mov_b32_e32 v3, 0x7f800001
	s_xor_b32 exec_lo, exec_lo, s13
	s_cbranch_execz .LBB15_1321
.LBB15_1338:
	v_cmp_ne_u16_e32 vcc_lo, 0, v1
	v_mov_b32_e32 v3, 0
	s_and_not1_b32 s12, s12, exec_lo
	s_and_b32 s14, vcc_lo, exec_lo
	s_delay_alu instid0(SALU_CYCLE_1)
	s_or_b32 s12, s12, s14
	s_or_b32 exec_lo, exec_lo, s13
	s_and_saveexec_b32 s13, s12
	s_cbranch_execnz .LBB15_1322
	s_branch .LBB15_1323
.LBB15_1339:
	s_mov_b32 s11, -1
                                        ; implicit-def: $vgpr3
	s_branch .LBB15_1344
.LBB15_1340:
	s_mov_b32 s11, -1
                                        ; implicit-def: $vgpr3
.LBB15_1341:
	s_delay_alu instid0(SALU_CYCLE_1)
	s_and_b32 vcc_lo, exec_lo, s11
	s_cbranch_vccz .LBB15_1343
; %bb.1342:
	global_load_u8 v1, v[12:13], off
	s_wait_loadcnt 0x0
	v_lshlrev_b32_e32 v1, 24, v1
	s_delay_alu instid0(VALU_DEP_1) | instskip(NEXT) | instid1(VALU_DEP_1)
	v_and_b32_e32 v3, 0x7f000000, v1
	v_clz_i32_u32_e32 v7, v3
	v_add_nc_u32_e32 v11, 0x1000000, v3
	v_cmp_ne_u32_e32 vcc_lo, 0, v3
	s_delay_alu instid0(VALU_DEP_3) | instskip(NEXT) | instid1(VALU_DEP_1)
	v_min_u32_e32 v7, 32, v7
	v_sub_nc_u32_e64 v7, v7, 4 clamp
	s_delay_alu instid0(VALU_DEP_1) | instskip(NEXT) | instid1(VALU_DEP_1)
	v_lshlrev_b32_e32 v9, v7, v3
	v_dual_lshlrev_b32 v7, 23, v7 :: v_dual_lshrrev_b32 v9, 4, v9
	s_delay_alu instid0(VALU_DEP_1) | instskip(SKIP_1) | instid1(VALU_DEP_2)
	v_sub_nc_u32_e32 v7, v9, v7
	v_ashrrev_i32_e32 v9, 8, v11
	v_add_nc_u32_e32 v7, 0x3c000000, v7
	s_delay_alu instid0(VALU_DEP_1) | instskip(NEXT) | instid1(VALU_DEP_1)
	v_and_or_b32 v7, 0x7f800000, v9, v7
	v_cndmask_b32_e32 v3, 0, v7, vcc_lo
	s_delay_alu instid0(VALU_DEP_1)
	v_and_or_b32 v3, 0x80000000, v1, v3
.LBB15_1343:
	s_mov_b32 s11, 0
.LBB15_1344:
	s_delay_alu instid0(SALU_CYCLE_1)
	s_and_not1_b32 vcc_lo, exec_lo, s11
	s_cbranch_vccnz .LBB15_1346
; %bb.1345:
	global_load_u8 v1, v[12:13], off
	s_wait_loadcnt 0x0
	v_lshlrev_b32_e32 v3, 25, v1
	v_lshlrev_b16 v1, 8, v1
	s_delay_alu instid0(VALU_DEP_2) | instskip(NEXT) | instid1(VALU_DEP_2)
	v_cmp_gt_u32_e32 vcc_lo, 0x8000000, v3
	v_and_or_b32 v9, 0x7f00, v1, 0.5
	v_lshrrev_b32_e32 v7, 4, v3
	v_bfe_i32 v1, v1, 0, 16
	s_delay_alu instid0(VALU_DEP_3) | instskip(NEXT) | instid1(VALU_DEP_3)
	v_add_f32_e32 v9, -0.5, v9
	v_or_b32_e32 v7, 0x70000000, v7
	s_delay_alu instid0(VALU_DEP_1) | instskip(NEXT) | instid1(VALU_DEP_1)
	v_mul_f32_e32 v7, 0x7800000, v7
	v_cndmask_b32_e32 v3, v7, v9, vcc_lo
	s_delay_alu instid0(VALU_DEP_1)
	v_and_or_b32 v3, 0x80000000, v1, v3
.LBB15_1346:
	s_mov_b32 s11, 0
	s_mov_b32 s12, -1
.LBB15_1347:
	s_and_not1_b32 vcc_lo, exec_lo, s11
	s_mov_b32 s11, 0
	s_cbranch_vccnz .LBB15_1358
; %bb.1348:
	s_cmp_gt_i32 s0, 14
	s_cbranch_scc0 .LBB15_1351
; %bb.1349:
	s_cmp_eq_u32 s0, 15
	s_cbranch_scc0 .LBB15_1354
; %bb.1350:
	global_load_u16 v1, v[12:13], off
	s_mov_b32 s10, 0
	s_mov_b32 s12, -1
	s_wait_loadcnt 0x0
	v_lshlrev_b32_e32 v3, 16, v1
	s_branch .LBB15_1356
.LBB15_1351:
	s_mov_b32 s11, -1
	s_branch .LBB15_1355
.LBB15_1352:
	s_or_saveexec_b32 s12, s12
	v_mov_b32_e32 v3, 0x7f800001
	s_xor_b32 exec_lo, exec_lo, s12
	s_cbranch_execz .LBB15_1333
.LBB15_1353:
	v_cmp_ne_u16_e32 vcc_lo, 0, v1
	v_mov_b32_e32 v3, 0
	s_and_not1_b32 s11, s11, exec_lo
	s_and_b32 s13, vcc_lo, exec_lo
	s_delay_alu instid0(SALU_CYCLE_1)
	s_or_b32 s11, s11, s13
	s_or_b32 exec_lo, exec_lo, s12
	s_and_saveexec_b32 s12, s11
	s_cbranch_execnz .LBB15_1334
	s_branch .LBB15_1335
.LBB15_1354:
	s_mov_b32 s10, -1
.LBB15_1355:
                                        ; implicit-def: $vgpr3
.LBB15_1356:
	s_and_b32 vcc_lo, exec_lo, s11
	s_mov_b32 s11, 0
	s_cbranch_vccz .LBB15_1358
; %bb.1357:
	s_cmp_lg_u32 s0, 11
	s_mov_b32 s11, -1
	s_cselect_b32 s10, -1, 0
.LBB15_1358:
	s_delay_alu instid0(SALU_CYCLE_1)
	s_and_b32 vcc_lo, exec_lo, s10
	s_cbranch_vccnz .LBB15_1421
; %bb.1359:
	s_and_not1_b32 vcc_lo, exec_lo, s11
	s_cbranch_vccnz .LBB15_1361
.LBB15_1360:
	global_load_u8 v1, v[12:13], off
	s_mov_b32 s12, -1
	s_wait_loadcnt 0x0
	v_cmp_ne_u16_e32 vcc_lo, 0, v1
	v_cndmask_b32_e64 v3, 0, 1.0, vcc_lo
.LBB15_1361:
	s_branch .LBB15_1287
.LBB15_1362:
	s_cmp_lt_i32 s0, 5
	s_cbranch_scc1 .LBB15_1367
; %bb.1363:
	s_cmp_lt_i32 s0, 8
	s_cbranch_scc1 .LBB15_1368
; %bb.1364:
	;; [unrolled: 3-line block ×3, first 2 shown]
	s_cmp_gt_i32 s0, 9
	s_cbranch_scc0 .LBB15_1370
; %bb.1366:
	global_load_b64 v[14:15], v[12:13], off
	s_mov_b32 s10, 0
	s_wait_loadcnt 0x0
	v_cvt_f32_f64_e32 v3, v[14:15]
	s_branch .LBB15_1371
.LBB15_1367:
                                        ; implicit-def: $vgpr3
	s_branch .LBB15_1389
.LBB15_1368:
	s_mov_b32 s10, -1
                                        ; implicit-def: $vgpr3
	s_branch .LBB15_1377
.LBB15_1369:
	s_mov_b32 s10, -1
                                        ; implicit-def: $vgpr3
	s_branch .LBB15_1374
.LBB15_1370:
	s_mov_b32 s10, -1
                                        ; implicit-def: $vgpr3
.LBB15_1371:
	s_delay_alu instid0(SALU_CYCLE_1)
	s_and_not1_b32 vcc_lo, exec_lo, s10
	s_cbranch_vccnz .LBB15_1373
; %bb.1372:
	global_load_b32 v3, v[12:13], off
.LBB15_1373:
	s_mov_b32 s10, 0
.LBB15_1374:
	s_delay_alu instid0(SALU_CYCLE_1)
	s_and_not1_b32 vcc_lo, exec_lo, s10
	s_cbranch_vccnz .LBB15_1376
; %bb.1375:
	global_load_b32 v1, v[12:13], off
	s_wait_loadcnt 0x0
	v_cvt_f32_f16_e32 v3, v1
.LBB15_1376:
	s_mov_b32 s10, 0
.LBB15_1377:
	s_delay_alu instid0(SALU_CYCLE_1)
	s_and_not1_b32 vcc_lo, exec_lo, s10
	s_cbranch_vccnz .LBB15_1388
; %bb.1378:
	s_cmp_lt_i32 s0, 6
	s_cbranch_scc1 .LBB15_1381
; %bb.1379:
	s_cmp_gt_i32 s0, 6
	s_cbranch_scc0 .LBB15_1382
; %bb.1380:
	global_load_b64 v[14:15], v[12:13], off
	s_mov_b32 s10, 0
	s_wait_loadcnt 0x0
	v_cvt_f32_f64_e32 v3, v[14:15]
	s_branch .LBB15_1383
.LBB15_1381:
	s_mov_b32 s10, -1
                                        ; implicit-def: $vgpr3
	s_branch .LBB15_1386
.LBB15_1382:
	s_mov_b32 s10, -1
                                        ; implicit-def: $vgpr3
.LBB15_1383:
	s_delay_alu instid0(SALU_CYCLE_1)
	s_and_not1_b32 vcc_lo, exec_lo, s10
	s_cbranch_vccnz .LBB15_1385
; %bb.1384:
	s_wait_loadcnt 0x0
	global_load_b32 v3, v[12:13], off
.LBB15_1385:
	s_mov_b32 s10, 0
.LBB15_1386:
	s_delay_alu instid0(SALU_CYCLE_1)
	s_and_not1_b32 vcc_lo, exec_lo, s10
	s_cbranch_vccnz .LBB15_1388
; %bb.1387:
	global_load_u16 v1, v[12:13], off
	s_wait_loadcnt 0x0
	v_cvt_f32_f16_e32 v3, v1
.LBB15_1388:
	s_cbranch_execnz .LBB15_1408
.LBB15_1389:
	s_cmp_lt_i32 s0, 2
	s_cbranch_scc1 .LBB15_1393
; %bb.1390:
	s_cmp_lt_i32 s0, 3
	s_cbranch_scc1 .LBB15_1394
; %bb.1391:
	s_cmp_gt_i32 s0, 3
	s_cbranch_scc0 .LBB15_1395
; %bb.1392:
	global_load_b64 v[14:15], v[12:13], off
	s_mov_b32 s10, 0
	s_wait_loadcnt 0x0
	v_xor_b32_e32 v1, v14, v15
	v_cls_i32_e32 v3, v15
	s_delay_alu instid0(VALU_DEP_2) | instskip(NEXT) | instid1(VALU_DEP_1)
	v_ashrrev_i32_e32 v1, 31, v1
	v_add_nc_u32_e32 v1, 32, v1
	s_delay_alu instid0(VALU_DEP_1) | instskip(NEXT) | instid1(VALU_DEP_1)
	v_add_min_u32_e64 v1, v3, -1, v1
	v_lshlrev_b64_e32 v[14:15], v1, v[14:15]
	v_sub_nc_u32_e32 v1, 32, v1
	s_delay_alu instid0(VALU_DEP_2) | instskip(NEXT) | instid1(VALU_DEP_1)
	v_min_u32_e32 v3, 1, v14
	v_or_b32_e32 v3, v15, v3
	s_delay_alu instid0(VALU_DEP_1) | instskip(NEXT) | instid1(VALU_DEP_1)
	v_cvt_f32_i32_e32 v3, v3
	v_ldexp_f32 v3, v3, v1
	s_branch .LBB15_1396
.LBB15_1393:
	s_mov_b32 s10, -1
                                        ; implicit-def: $vgpr3
	s_branch .LBB15_1402
.LBB15_1394:
	s_mov_b32 s10, -1
                                        ; implicit-def: $vgpr3
	s_branch .LBB15_1399
.LBB15_1395:
	s_mov_b32 s10, -1
                                        ; implicit-def: $vgpr3
.LBB15_1396:
	s_delay_alu instid0(SALU_CYCLE_1)
	s_and_not1_b32 vcc_lo, exec_lo, s10
	s_cbranch_vccnz .LBB15_1398
; %bb.1397:
	global_load_b32 v1, v[12:13], off
	s_wait_loadcnt 0x0
	v_cvt_f32_i32_e32 v3, v1
.LBB15_1398:
	s_mov_b32 s10, 0
.LBB15_1399:
	s_delay_alu instid0(SALU_CYCLE_1)
	s_and_not1_b32 vcc_lo, exec_lo, s10
	s_cbranch_vccnz .LBB15_1401
; %bb.1400:
	global_load_i16 v1, v[12:13], off
	s_wait_loadcnt 0x0
	v_cvt_f32_i32_e32 v3, v1
.LBB15_1401:
	s_mov_b32 s10, 0
.LBB15_1402:
	s_delay_alu instid0(SALU_CYCLE_1)
	s_and_not1_b32 vcc_lo, exec_lo, s10
	s_cbranch_vccnz .LBB15_1408
; %bb.1403:
	s_cmp_gt_i32 s0, 0
	s_mov_b32 s10, 0
	s_cbranch_scc0 .LBB15_1405
; %bb.1404:
	global_load_i8 v1, v[12:13], off
	s_wait_loadcnt 0x0
	v_cvt_f32_i32_e32 v3, v1
	s_branch .LBB15_1406
.LBB15_1405:
	s_mov_b32 s10, -1
                                        ; implicit-def: $vgpr3
.LBB15_1406:
	s_delay_alu instid0(SALU_CYCLE_1)
	s_and_not1_b32 vcc_lo, exec_lo, s10
	s_cbranch_vccnz .LBB15_1408
; %bb.1407:
	global_load_u8 v1, v[12:13], off
	s_wait_loadcnt 0x0
	v_cvt_f32_ubyte0_e32 v3, v1
.LBB15_1408:
.LBB15_1409:
	v_mov_b32_e32 v11, 0
	s_cmp_lt_i32 s0, 11
	s_delay_alu instid0(VALU_DEP_1)
	v_add_nc_u64_e32 v[10:11], s[6:7], v[10:11]
	s_cbranch_scc1 .LBB15_1416
; %bb.1410:
	s_cmp_gt_i32 s0, 25
	s_mov_b32 s11, 0
	s_cbranch_scc0 .LBB15_1418
; %bb.1411:
	s_cmp_gt_i32 s0, 28
	s_cbranch_scc0 .LBB15_1419
; %bb.1412:
	s_cmp_gt_i32 s0, 43
	;; [unrolled: 3-line block ×3, first 2 shown]
	s_cbranch_scc0 .LBB15_1422
; %bb.1414:
	s_cmp_eq_u32 s0, 46
	s_mov_b32 s13, 0
	s_cbranch_scc0 .LBB15_1423
; %bb.1415:
	global_load_b32 v1, v[10:11], off
	s_mov_b32 s10, 0
	s_mov_b32 s12, -1
	s_wait_loadcnt 0x0
	v_lshlrev_b32_e32 v1, 16, v1
	s_branch .LBB15_1425
.LBB15_1416:
	s_mov_b32 s12, 0
                                        ; implicit-def: $vgpr1
	s_cbranch_execnz .LBB15_1491
.LBB15_1417:
	s_and_not1_b32 vcc_lo, exec_lo, s12
	s_cbranch_vccz .LBB15_1539
	s_branch .LBB15_2100
.LBB15_1418:
	s_mov_b32 s13, -1
	s_mov_b32 s12, 0
	s_mov_b32 s10, 0
                                        ; implicit-def: $vgpr1
	s_branch .LBB15_1454
.LBB15_1419:
	s_mov_b32 s13, -1
	s_mov_b32 s12, 0
	s_mov_b32 s10, 0
                                        ; implicit-def: $vgpr1
	s_branch .LBB15_1435
.LBB15_1420:
	s_mov_b32 s13, -1
	s_mov_b32 s12, 0
	s_mov_b32 s10, 0
                                        ; implicit-def: $vgpr1
	s_branch .LBB15_1430
.LBB15_1421:
	s_or_b32 s1, s1, exec_lo
	s_trap 2
	s_cbranch_execz .LBB15_1360
	s_branch .LBB15_1361
.LBB15_1422:
	s_mov_b32 s13, -1
	s_mov_b32 s12, 0
	s_mov_b32 s10, 0
	s_branch .LBB15_1424
.LBB15_1423:
	s_mov_b32 s10, -1
	s_mov_b32 s12, 0
.LBB15_1424:
                                        ; implicit-def: $vgpr1
.LBB15_1425:
	s_and_b32 vcc_lo, exec_lo, s13
	s_cbranch_vccz .LBB15_1429
; %bb.1426:
	s_cmp_eq_u32 s0, 44
	s_cbranch_scc0 .LBB15_1428
; %bb.1427:
	global_load_u8 v1, v[10:11], off
	s_mov_b32 s10, 0
	s_mov_b32 s12, -1
	s_wait_loadcnt 0x0
	v_lshlrev_b32_e32 v7, 23, v1
	v_cmp_ne_u32_e32 vcc_lo, 0xff, v1
	s_delay_alu instid0(VALU_DEP_2) | instskip(SKIP_1) | instid1(VALU_DEP_2)
	v_cndmask_b32_e32 v7, 0x7f800001, v7, vcc_lo
	v_cmp_ne_u32_e32 vcc_lo, 0, v1
	v_cndmask_b32_e32 v1, 0x400000, v7, vcc_lo
	s_branch .LBB15_1429
.LBB15_1428:
	s_mov_b32 s10, -1
                                        ; implicit-def: $vgpr1
.LBB15_1429:
	s_mov_b32 s13, 0
.LBB15_1430:
	s_delay_alu instid0(SALU_CYCLE_1)
	s_and_b32 vcc_lo, exec_lo, s13
	s_cbranch_vccz .LBB15_1434
; %bb.1431:
	s_cmp_eq_u32 s0, 29
	s_cbranch_scc0 .LBB15_1433
; %bb.1432:
	global_load_b64 v[12:13], v[10:11], off
	s_mov_b32 s10, 0
	s_mov_b32 s12, -1
	s_mov_b32 s13, 0
	s_wait_loadcnt 0x0
	v_clz_i32_u32_e32 v1, v13
	s_delay_alu instid0(VALU_DEP_1) | instskip(NEXT) | instid1(VALU_DEP_1)
	v_min_u32_e32 v1, 32, v1
	v_lshlrev_b64_e32 v[12:13], v1, v[12:13]
	v_sub_nc_u32_e32 v1, 32, v1
	s_delay_alu instid0(VALU_DEP_2) | instskip(NEXT) | instid1(VALU_DEP_1)
	v_min_u32_e32 v7, 1, v12
	v_or_b32_e32 v7, v13, v7
	s_delay_alu instid0(VALU_DEP_1) | instskip(NEXT) | instid1(VALU_DEP_1)
	v_cvt_f32_u32_e32 v7, v7
	v_ldexp_f32 v1, v7, v1
	s_branch .LBB15_1435
.LBB15_1433:
	s_mov_b32 s10, -1
                                        ; implicit-def: $vgpr1
.LBB15_1434:
	s_mov_b32 s13, 0
.LBB15_1435:
	s_delay_alu instid0(SALU_CYCLE_1)
	s_and_b32 vcc_lo, exec_lo, s13
	s_cbranch_vccz .LBB15_1453
; %bb.1436:
	s_cmp_lt_i32 s0, 27
	s_cbranch_scc1 .LBB15_1439
; %bb.1437:
	s_cmp_gt_i32 s0, 27
	s_cbranch_scc0 .LBB15_1440
; %bb.1438:
	global_load_b32 v1, v[10:11], off
	s_mov_b32 s12, 0
	s_wait_loadcnt 0x0
	v_cvt_f32_u32_e32 v1, v1
	s_branch .LBB15_1441
.LBB15_1439:
	s_mov_b32 s12, -1
                                        ; implicit-def: $vgpr1
	s_branch .LBB15_1444
.LBB15_1440:
	s_mov_b32 s12, -1
                                        ; implicit-def: $vgpr1
.LBB15_1441:
	s_delay_alu instid0(SALU_CYCLE_1)
	s_and_not1_b32 vcc_lo, exec_lo, s12
	s_cbranch_vccnz .LBB15_1443
; %bb.1442:
	global_load_u16 v1, v[10:11], off
	s_wait_loadcnt 0x0
	v_cvt_f32_u32_e32 v1, v1
.LBB15_1443:
	s_mov_b32 s12, 0
.LBB15_1444:
	s_delay_alu instid0(SALU_CYCLE_1)
	s_and_not1_b32 vcc_lo, exec_lo, s12
	s_cbranch_vccnz .LBB15_1452
; %bb.1445:
	global_load_u8 v7, v[10:11], off
	s_mov_b32 s12, 0
	s_mov_b32 s13, exec_lo
	s_wait_loadcnt 0x0
	v_cmpx_lt_i16_e32 0x7f, v7
	s_xor_b32 s13, exec_lo, s13
	s_cbranch_execz .LBB15_1466
; %bb.1446:
	s_mov_b32 s12, -1
	s_mov_b32 s14, exec_lo
	v_cmpx_eq_u16_e32 0x80, v7
; %bb.1447:
	s_xor_b32 s12, exec_lo, -1
; %bb.1448:
	s_or_b32 exec_lo, exec_lo, s14
	s_delay_alu instid0(SALU_CYCLE_1)
	s_and_b32 s12, s12, exec_lo
	s_or_saveexec_b32 s13, s13
	v_mov_b32_e32 v1, 0x7f800001
	s_xor_b32 exec_lo, exec_lo, s13
	s_cbranch_execnz .LBB15_1467
.LBB15_1449:
	s_or_b32 exec_lo, exec_lo, s13
	s_and_saveexec_b32 s13, s12
	s_cbranch_execz .LBB15_1451
.LBB15_1450:
	v_and_b32_e32 v1, 0xffff, v7
	s_delay_alu instid0(VALU_DEP_1) | instskip(SKIP_1) | instid1(VALU_DEP_2)
	v_and_b32_e32 v9, 7, v1
	v_bfe_u32 v14, v1, 3, 4
	v_clz_i32_u32_e32 v12, v9
	s_delay_alu instid0(VALU_DEP_2) | instskip(NEXT) | instid1(VALU_DEP_2)
	v_cmp_eq_u32_e32 vcc_lo, 0, v14
	v_min_u32_e32 v12, 32, v12
	s_delay_alu instid0(VALU_DEP_1) | instskip(NEXT) | instid1(VALU_DEP_1)
	v_subrev_nc_u32_e32 v13, 28, v12
	v_dual_lshlrev_b32 v1, v13, v1 :: v_dual_sub_nc_u32 v12, 29, v12
	s_delay_alu instid0(VALU_DEP_1) | instskip(NEXT) | instid1(VALU_DEP_1)
	v_dual_lshlrev_b32 v7, 24, v7 :: v_dual_bitop2_b32 v1, 7, v1 bitop3:0x40
	v_dual_cndmask_b32 v12, v14, v12 :: v_dual_cndmask_b32 v1, v9, v1
	s_delay_alu instid0(VALU_DEP_2) | instskip(NEXT) | instid1(VALU_DEP_2)
	v_and_b32_e32 v7, 0x80000000, v7
	v_lshl_add_u32 v9, v12, 23, 0x3b800000
	s_delay_alu instid0(VALU_DEP_3) | instskip(NEXT) | instid1(VALU_DEP_1)
	v_lshlrev_b32_e32 v1, 20, v1
	v_or3_b32 v1, v7, v9, v1
.LBB15_1451:
	s_or_b32 exec_lo, exec_lo, s13
.LBB15_1452:
	s_mov_b32 s12, -1
.LBB15_1453:
	s_mov_b32 s13, 0
.LBB15_1454:
	s_delay_alu instid0(SALU_CYCLE_1)
	s_and_b32 vcc_lo, exec_lo, s13
	s_cbranch_vccz .LBB15_1487
; %bb.1455:
	s_cmp_gt_i32 s0, 22
	s_cbranch_scc0 .LBB15_1465
; %bb.1456:
	s_cmp_lt_i32 s0, 24
	s_cbranch_scc1 .LBB15_1468
; %bb.1457:
	s_cmp_gt_i32 s0, 24
	s_cbranch_scc0 .LBB15_1469
; %bb.1458:
	global_load_u8 v7, v[10:11], off
	s_mov_b32 s12, exec_lo
	s_wait_loadcnt 0x0
	v_cmpx_lt_i16_e32 0x7f, v7
	s_xor_b32 s12, exec_lo, s12
	s_cbranch_execz .LBB15_1481
; %bb.1459:
	s_mov_b32 s11, -1
	s_mov_b32 s13, exec_lo
	v_cmpx_eq_u16_e32 0x80, v7
; %bb.1460:
	s_xor_b32 s11, exec_lo, -1
; %bb.1461:
	s_or_b32 exec_lo, exec_lo, s13
	s_delay_alu instid0(SALU_CYCLE_1)
	s_and_b32 s11, s11, exec_lo
	s_or_saveexec_b32 s12, s12
	v_mov_b32_e32 v1, 0x7f800001
	s_xor_b32 exec_lo, exec_lo, s12
	s_cbranch_execnz .LBB15_1482
.LBB15_1462:
	s_or_b32 exec_lo, exec_lo, s12
	s_and_saveexec_b32 s12, s11
	s_cbranch_execz .LBB15_1464
.LBB15_1463:
	v_and_b32_e32 v1, 0xffff, v7
	s_delay_alu instid0(VALU_DEP_1) | instskip(SKIP_1) | instid1(VALU_DEP_2)
	v_and_b32_e32 v9, 3, v1
	v_bfe_u32 v14, v1, 2, 5
	v_clz_i32_u32_e32 v12, v9
	s_delay_alu instid0(VALU_DEP_2) | instskip(NEXT) | instid1(VALU_DEP_2)
	v_cmp_eq_u32_e32 vcc_lo, 0, v14
	v_min_u32_e32 v12, 32, v12
	s_delay_alu instid0(VALU_DEP_1) | instskip(NEXT) | instid1(VALU_DEP_1)
	v_subrev_nc_u32_e32 v13, 29, v12
	v_dual_lshlrev_b32 v1, v13, v1 :: v_dual_sub_nc_u32 v12, 30, v12
	s_delay_alu instid0(VALU_DEP_1) | instskip(NEXT) | instid1(VALU_DEP_1)
	v_dual_lshlrev_b32 v7, 24, v7 :: v_dual_bitop2_b32 v1, 3, v1 bitop3:0x40
	v_dual_cndmask_b32 v12, v14, v12 :: v_dual_cndmask_b32 v1, v9, v1
	s_delay_alu instid0(VALU_DEP_2) | instskip(NEXT) | instid1(VALU_DEP_2)
	v_and_b32_e32 v7, 0x80000000, v7
	v_lshl_add_u32 v9, v12, 23, 0x37800000
	s_delay_alu instid0(VALU_DEP_3) | instskip(NEXT) | instid1(VALU_DEP_1)
	v_lshlrev_b32_e32 v1, 21, v1
	v_or3_b32 v1, v7, v9, v1
.LBB15_1464:
	s_or_b32 exec_lo, exec_lo, s12
	s_mov_b32 s11, 0
	s_branch .LBB15_1470
.LBB15_1465:
	s_mov_b32 s11, -1
                                        ; implicit-def: $vgpr1
	s_branch .LBB15_1476
.LBB15_1466:
	s_or_saveexec_b32 s13, s13
	v_mov_b32_e32 v1, 0x7f800001
	s_xor_b32 exec_lo, exec_lo, s13
	s_cbranch_execz .LBB15_1449
.LBB15_1467:
	v_cmp_ne_u16_e32 vcc_lo, 0, v7
	v_mov_b32_e32 v1, 0
	s_and_not1_b32 s12, s12, exec_lo
	s_and_b32 s14, vcc_lo, exec_lo
	s_delay_alu instid0(SALU_CYCLE_1)
	s_or_b32 s12, s12, s14
	s_or_b32 exec_lo, exec_lo, s13
	s_and_saveexec_b32 s13, s12
	s_cbranch_execnz .LBB15_1450
	s_branch .LBB15_1451
.LBB15_1468:
	s_mov_b32 s11, -1
                                        ; implicit-def: $vgpr1
	s_branch .LBB15_1473
.LBB15_1469:
	s_mov_b32 s11, -1
                                        ; implicit-def: $vgpr1
.LBB15_1470:
	s_delay_alu instid0(SALU_CYCLE_1)
	s_and_b32 vcc_lo, exec_lo, s11
	s_cbranch_vccz .LBB15_1472
; %bb.1471:
	global_load_u8 v1, v[10:11], off
	s_wait_loadcnt 0x0
	v_lshlrev_b32_e32 v1, 24, v1
	s_delay_alu instid0(VALU_DEP_1) | instskip(NEXT) | instid1(VALU_DEP_1)
	v_and_b32_e32 v7, 0x7f000000, v1
	v_clz_i32_u32_e32 v9, v7
	s_wait_xcnt 0x1
	v_add_nc_u32_e32 v13, 0x1000000, v7
	v_cmp_ne_u32_e32 vcc_lo, 0, v7
	s_delay_alu instid0(VALU_DEP_3) | instskip(NEXT) | instid1(VALU_DEP_1)
	v_min_u32_e32 v9, 32, v9
	v_sub_nc_u32_e64 v9, v9, 4 clamp
	s_delay_alu instid0(VALU_DEP_1) | instskip(NEXT) | instid1(VALU_DEP_1)
	v_dual_lshlrev_b32 v12, v9, v7 :: v_dual_lshlrev_b32 v9, 23, v9
	v_lshrrev_b32_e32 v12, 4, v12
	s_delay_alu instid0(VALU_DEP_1) | instskip(SKIP_1) | instid1(VALU_DEP_2)
	v_sub_nc_u32_e32 v9, v12, v9
	v_ashrrev_i32_e32 v12, 8, v13
	v_add_nc_u32_e32 v9, 0x3c000000, v9
	s_delay_alu instid0(VALU_DEP_1) | instskip(NEXT) | instid1(VALU_DEP_1)
	v_and_or_b32 v9, 0x7f800000, v12, v9
	v_cndmask_b32_e32 v7, 0, v9, vcc_lo
	s_delay_alu instid0(VALU_DEP_1)
	v_and_or_b32 v1, 0x80000000, v1, v7
.LBB15_1472:
	s_mov_b32 s11, 0
.LBB15_1473:
	s_delay_alu instid0(SALU_CYCLE_1)
	s_and_not1_b32 vcc_lo, exec_lo, s11
	s_cbranch_vccnz .LBB15_1475
; %bb.1474:
	global_load_u8 v1, v[10:11], off
	s_wait_loadcnt 0x0
	v_lshlrev_b32_e32 v7, 25, v1
	v_lshlrev_b16 v1, 8, v1
	s_wait_xcnt 0x1
	s_delay_alu instid0(VALU_DEP_1) | instskip(SKIP_1) | instid1(VALU_DEP_2)
	v_and_or_b32 v12, 0x7f00, v1, 0.5
	v_bfe_i32 v1, v1, 0, 16
	v_dual_add_f32 v12, -0.5, v12 :: v_dual_lshrrev_b32 v9, 4, v7
	v_cmp_gt_u32_e32 vcc_lo, 0x8000000, v7
	s_delay_alu instid0(VALU_DEP_2) | instskip(NEXT) | instid1(VALU_DEP_1)
	v_or_b32_e32 v9, 0x70000000, v9
	v_mul_f32_e32 v9, 0x7800000, v9
	s_delay_alu instid0(VALU_DEP_1) | instskip(NEXT) | instid1(VALU_DEP_1)
	v_cndmask_b32_e32 v7, v9, v12, vcc_lo
	v_and_or_b32 v1, 0x80000000, v1, v7
.LBB15_1475:
	s_mov_b32 s11, 0
	s_mov_b32 s12, -1
.LBB15_1476:
	s_and_not1_b32 vcc_lo, exec_lo, s11
	s_mov_b32 s11, 0
	s_cbranch_vccnz .LBB15_1487
; %bb.1477:
	s_cmp_gt_i32 s0, 14
	s_cbranch_scc0 .LBB15_1480
; %bb.1478:
	s_cmp_eq_u32 s0, 15
	s_cbranch_scc0 .LBB15_1483
; %bb.1479:
	global_load_u16 v1, v[10:11], off
	s_mov_b32 s10, 0
	s_mov_b32 s12, -1
	s_wait_loadcnt 0x0
	v_lshlrev_b32_e32 v1, 16, v1
	s_branch .LBB15_1485
.LBB15_1480:
	s_mov_b32 s11, -1
	s_branch .LBB15_1484
.LBB15_1481:
	s_or_saveexec_b32 s12, s12
	v_mov_b32_e32 v1, 0x7f800001
	s_xor_b32 exec_lo, exec_lo, s12
	s_cbranch_execz .LBB15_1462
.LBB15_1482:
	v_cmp_ne_u16_e32 vcc_lo, 0, v7
	v_mov_b32_e32 v1, 0
	s_and_not1_b32 s11, s11, exec_lo
	s_and_b32 s13, vcc_lo, exec_lo
	s_delay_alu instid0(SALU_CYCLE_1)
	s_or_b32 s11, s11, s13
	s_or_b32 exec_lo, exec_lo, s12
	s_and_saveexec_b32 s12, s11
	s_cbranch_execnz .LBB15_1463
	s_branch .LBB15_1464
.LBB15_1483:
	s_mov_b32 s10, -1
.LBB15_1484:
                                        ; implicit-def: $vgpr1
.LBB15_1485:
	s_and_b32 vcc_lo, exec_lo, s11
	s_mov_b32 s11, 0
	s_cbranch_vccz .LBB15_1487
; %bb.1486:
	s_cmp_lg_u32 s0, 11
	s_mov_b32 s11, -1
	s_cselect_b32 s10, -1, 0
.LBB15_1487:
	s_delay_alu instid0(SALU_CYCLE_1)
	s_and_b32 vcc_lo, exec_lo, s10
	s_cbranch_vccnz .LBB15_1550
; %bb.1488:
	s_and_not1_b32 vcc_lo, exec_lo, s11
	s_cbranch_vccnz .LBB15_1490
.LBB15_1489:
	global_load_u8 v1, v[10:11], off
	s_mov_b32 s12, -1
	s_wait_loadcnt 0x0
	v_cmp_ne_u16_e32 vcc_lo, 0, v1
	v_cndmask_b32_e64 v1, 0, 1.0, vcc_lo
.LBB15_1490:
	s_branch .LBB15_1417
.LBB15_1491:
	s_cmp_lt_i32 s0, 5
	s_cbranch_scc1 .LBB15_1496
; %bb.1492:
	s_cmp_lt_i32 s0, 8
	s_cbranch_scc1 .LBB15_1497
; %bb.1493:
	;; [unrolled: 3-line block ×3, first 2 shown]
	s_cmp_gt_i32 s0, 9
	s_cbranch_scc0 .LBB15_1499
; %bb.1495:
	global_load_b64 v[12:13], v[10:11], off
	s_mov_b32 s10, 0
	s_wait_loadcnt 0x0
	v_cvt_f32_f64_e32 v1, v[12:13]
	s_branch .LBB15_1500
.LBB15_1496:
	s_mov_b32 s10, -1
                                        ; implicit-def: $vgpr1
	s_branch .LBB15_1518
.LBB15_1497:
	s_mov_b32 s10, -1
                                        ; implicit-def: $vgpr1
	s_branch .LBB15_1506
.LBB15_1498:
	s_mov_b32 s10, -1
                                        ; implicit-def: $vgpr1
	s_branch .LBB15_1503
.LBB15_1499:
	s_mov_b32 s10, -1
                                        ; implicit-def: $vgpr1
.LBB15_1500:
	s_delay_alu instid0(SALU_CYCLE_1)
	s_and_not1_b32 vcc_lo, exec_lo, s10
	s_cbranch_vccnz .LBB15_1502
; %bb.1501:
	global_load_b32 v1, v[10:11], off
.LBB15_1502:
	s_mov_b32 s10, 0
.LBB15_1503:
	s_delay_alu instid0(SALU_CYCLE_1)
	s_and_not1_b32 vcc_lo, exec_lo, s10
	s_cbranch_vccnz .LBB15_1505
; %bb.1504:
	s_wait_loadcnt 0x0
	global_load_b32 v1, v[10:11], off
	s_wait_loadcnt 0x0
	v_cvt_f32_f16_e32 v1, v1
.LBB15_1505:
	s_mov_b32 s10, 0
.LBB15_1506:
	s_delay_alu instid0(SALU_CYCLE_1)
	s_and_not1_b32 vcc_lo, exec_lo, s10
	s_cbranch_vccnz .LBB15_1517
; %bb.1507:
	s_cmp_lt_i32 s0, 6
	s_cbranch_scc1 .LBB15_1510
; %bb.1508:
	s_cmp_gt_i32 s0, 6
	s_cbranch_scc0 .LBB15_1511
; %bb.1509:
	global_load_b64 v[12:13], v[10:11], off
	s_mov_b32 s10, 0
	s_wait_loadcnt 0x0
	v_cvt_f32_f64_e32 v1, v[12:13]
	s_branch .LBB15_1512
.LBB15_1510:
	s_mov_b32 s10, -1
                                        ; implicit-def: $vgpr1
	s_branch .LBB15_1515
.LBB15_1511:
	s_mov_b32 s10, -1
                                        ; implicit-def: $vgpr1
.LBB15_1512:
	s_delay_alu instid0(SALU_CYCLE_1)
	s_and_not1_b32 vcc_lo, exec_lo, s10
	s_cbranch_vccnz .LBB15_1514
; %bb.1513:
	s_wait_loadcnt 0x0
	global_load_b32 v1, v[10:11], off
.LBB15_1514:
	s_mov_b32 s10, 0
.LBB15_1515:
	s_delay_alu instid0(SALU_CYCLE_1)
	s_and_not1_b32 vcc_lo, exec_lo, s10
	s_cbranch_vccnz .LBB15_1517
; %bb.1516:
	s_wait_loadcnt 0x0
	global_load_u16 v1, v[10:11], off
	s_wait_loadcnt 0x0
	v_cvt_f32_f16_e32 v1, v1
.LBB15_1517:
	s_mov_b32 s10, 0
.LBB15_1518:
	s_delay_alu instid0(SALU_CYCLE_1)
	s_and_not1_b32 vcc_lo, exec_lo, s10
	s_cbranch_vccnz .LBB15_1538
; %bb.1519:
	s_cmp_lt_i32 s0, 2
	s_cbranch_scc1 .LBB15_1523
; %bb.1520:
	s_cmp_lt_i32 s0, 3
	s_cbranch_scc1 .LBB15_1524
; %bb.1521:
	s_cmp_gt_i32 s0, 3
	s_cbranch_scc0 .LBB15_1525
; %bb.1522:
	global_load_b64 v[12:13], v[10:11], off
	s_mov_b32 s10, 0
	s_wait_loadcnt 0x0
	v_xor_b32_e32 v1, v12, v13
	v_cls_i32_e32 v7, v13
	s_delay_alu instid0(VALU_DEP_2) | instskip(NEXT) | instid1(VALU_DEP_1)
	v_ashrrev_i32_e32 v1, 31, v1
	v_add_nc_u32_e32 v1, 32, v1
	s_delay_alu instid0(VALU_DEP_1) | instskip(NEXT) | instid1(VALU_DEP_1)
	v_add_min_u32_e64 v1, v7, -1, v1
	v_lshlrev_b64_e32 v[12:13], v1, v[12:13]
	v_sub_nc_u32_e32 v1, 32, v1
	s_delay_alu instid0(VALU_DEP_2) | instskip(NEXT) | instid1(VALU_DEP_1)
	v_min_u32_e32 v7, 1, v12
	v_or_b32_e32 v7, v13, v7
	s_delay_alu instid0(VALU_DEP_1) | instskip(NEXT) | instid1(VALU_DEP_1)
	v_cvt_f32_i32_e32 v7, v7
	v_ldexp_f32 v1, v7, v1
	s_branch .LBB15_1526
.LBB15_1523:
	s_mov_b32 s10, -1
                                        ; implicit-def: $vgpr1
	s_branch .LBB15_1532
.LBB15_1524:
	s_mov_b32 s10, -1
                                        ; implicit-def: $vgpr1
	s_branch .LBB15_1529
.LBB15_1525:
	s_mov_b32 s10, -1
                                        ; implicit-def: $vgpr1
.LBB15_1526:
	s_delay_alu instid0(SALU_CYCLE_1)
	s_and_not1_b32 vcc_lo, exec_lo, s10
	s_cbranch_vccnz .LBB15_1528
; %bb.1527:
	s_wait_loadcnt 0x0
	global_load_b32 v1, v[10:11], off
	s_wait_loadcnt 0x0
	v_cvt_f32_i32_e32 v1, v1
.LBB15_1528:
	s_mov_b32 s10, 0
.LBB15_1529:
	s_delay_alu instid0(SALU_CYCLE_1)
	s_and_not1_b32 vcc_lo, exec_lo, s10
	s_cbranch_vccnz .LBB15_1531
; %bb.1530:
	s_wait_loadcnt 0x0
	global_load_i16 v1, v[10:11], off
	s_wait_loadcnt 0x0
	v_cvt_f32_i32_e32 v1, v1
.LBB15_1531:
	s_mov_b32 s10, 0
.LBB15_1532:
	s_delay_alu instid0(SALU_CYCLE_1)
	s_and_not1_b32 vcc_lo, exec_lo, s10
	s_cbranch_vccnz .LBB15_1538
; %bb.1533:
	s_cmp_gt_i32 s0, 0
	s_mov_b32 s10, 0
	s_cbranch_scc0 .LBB15_1535
; %bb.1534:
	s_wait_loadcnt 0x0
	global_load_i8 v1, v[10:11], off
	s_wait_loadcnt 0x0
	v_cvt_f32_i32_e32 v1, v1
	s_branch .LBB15_1536
.LBB15_1535:
	s_mov_b32 s10, -1
                                        ; implicit-def: $vgpr1
.LBB15_1536:
	s_delay_alu instid0(SALU_CYCLE_1)
	s_and_not1_b32 vcc_lo, exec_lo, s10
	s_cbranch_vccnz .LBB15_1538
; %bb.1537:
	s_wait_loadcnt 0x0
	global_load_u8 v1, v[10:11], off
	s_wait_loadcnt 0x0
	v_cvt_f32_ubyte0_e32 v1, v1
.LBB15_1538:
.LBB15_1539:
	v_mov_b32_e32 v9, 0
	s_cmp_lt_i32 s0, 11
	s_delay_alu instid0(VALU_DEP_1)
	v_add_nc_u64_e32 v[8:9], s[6:7], v[8:9]
	s_cbranch_scc1 .LBB15_1546
; %bb.1540:
	s_cmp_gt_i32 s0, 25
	s_mov_b32 s7, 0
	s_cbranch_scc0 .LBB15_1547
; %bb.1541:
	s_cmp_gt_i32 s0, 28
	s_cbranch_scc0 .LBB15_1548
; %bb.1542:
	s_cmp_gt_i32 s0, 43
	;; [unrolled: 3-line block ×3, first 2 shown]
	s_cbranch_scc0 .LBB15_1551
; %bb.1544:
	s_cmp_eq_u32 s0, 46
	s_mov_b32 s11, 0
	s_cbranch_scc0 .LBB15_1552
; %bb.1545:
	global_load_b32 v7, v[8:9], off
	s_mov_b32 s6, 0
	s_mov_b32 s10, -1
	s_wait_loadcnt 0x0
	s_wait_xcnt 0x1
	v_lshlrev_b32_e32 v10, 16, v7
	s_branch .LBB15_1554
.LBB15_1546:
	s_mov_b32 s6, -1
	s_mov_b32 s10, 0
                                        ; implicit-def: $vgpr10
	s_branch .LBB15_1620
.LBB15_1547:
	s_mov_b32 s11, -1
	s_mov_b32 s10, 0
	s_mov_b32 s6, 0
                                        ; implicit-def: $vgpr10
	s_branch .LBB15_1583
.LBB15_1548:
	s_mov_b32 s11, -1
	s_mov_b32 s10, 0
	s_mov_b32 s6, 0
                                        ; implicit-def: $vgpr10
	s_branch .LBB15_1564
.LBB15_1549:
	s_mov_b32 s11, -1
	s_mov_b32 s10, 0
	s_mov_b32 s6, 0
                                        ; implicit-def: $vgpr10
	s_branch .LBB15_1559
.LBB15_1550:
	s_or_b32 s1, s1, exec_lo
	s_trap 2
	s_cbranch_execz .LBB15_1489
	s_branch .LBB15_1490
.LBB15_1551:
	s_mov_b32 s11, -1
	s_mov_b32 s10, 0
	s_mov_b32 s6, 0
	s_branch .LBB15_1553
.LBB15_1552:
	s_mov_b32 s6, -1
	s_mov_b32 s10, 0
.LBB15_1553:
                                        ; implicit-def: $vgpr10
.LBB15_1554:
	s_and_b32 vcc_lo, exec_lo, s11
	s_cbranch_vccz .LBB15_1558
; %bb.1555:
	s_cmp_eq_u32 s0, 44
	s_cbranch_scc0 .LBB15_1557
; %bb.1556:
	global_load_u8 v7, v[8:9], off
	s_mov_b32 s6, 0
	s_mov_b32 s10, -1
	s_wait_loadcnt 0x0
	s_wait_xcnt 0x1
	v_lshlrev_b32_e32 v10, 23, v7
	v_cmp_ne_u32_e32 vcc_lo, 0xff, v7
	s_delay_alu instid0(VALU_DEP_2) | instskip(SKIP_1) | instid1(VALU_DEP_2)
	v_cndmask_b32_e32 v10, 0x7f800001, v10, vcc_lo
	v_cmp_ne_u32_e32 vcc_lo, 0, v7
	v_cndmask_b32_e32 v10, 0x400000, v10, vcc_lo
	s_branch .LBB15_1558
.LBB15_1557:
	s_mov_b32 s6, -1
                                        ; implicit-def: $vgpr10
.LBB15_1558:
	s_mov_b32 s11, 0
.LBB15_1559:
	s_delay_alu instid0(SALU_CYCLE_1)
	s_and_b32 vcc_lo, exec_lo, s11
	s_cbranch_vccz .LBB15_1563
; %bb.1560:
	s_cmp_eq_u32 s0, 29
	s_cbranch_scc0 .LBB15_1562
; %bb.1561:
	global_load_b64 v[10:11], v[8:9], off
	s_mov_b32 s6, 0
	s_mov_b32 s10, -1
	s_mov_b32 s11, 0
	s_wait_loadcnt 0x0
	v_clz_i32_u32_e32 v7, v11
	s_delay_alu instid0(VALU_DEP_1) | instskip(NEXT) | instid1(VALU_DEP_1)
	v_min_u32_e32 v7, 32, v7
	v_lshlrev_b64_e32 v[10:11], v7, v[10:11]
	v_sub_nc_u32_e32 v7, 32, v7
	s_delay_alu instid0(VALU_DEP_2) | instskip(NEXT) | instid1(VALU_DEP_1)
	v_min_u32_e32 v10, 1, v10
	v_or_b32_e32 v10, v11, v10
	s_delay_alu instid0(VALU_DEP_1) | instskip(NEXT) | instid1(VALU_DEP_1)
	v_cvt_f32_u32_e32 v10, v10
	v_ldexp_f32 v10, v10, v7
	s_branch .LBB15_1564
.LBB15_1562:
	s_mov_b32 s6, -1
                                        ; implicit-def: $vgpr10
.LBB15_1563:
	s_mov_b32 s11, 0
.LBB15_1564:
	s_delay_alu instid0(SALU_CYCLE_1)
	s_and_b32 vcc_lo, exec_lo, s11
	s_cbranch_vccz .LBB15_1582
; %bb.1565:
	s_cmp_lt_i32 s0, 27
	s_cbranch_scc1 .LBB15_1568
; %bb.1566:
	s_cmp_gt_i32 s0, 27
	s_cbranch_scc0 .LBB15_1569
; %bb.1567:
	global_load_b32 v7, v[8:9], off
	s_mov_b32 s10, 0
	s_wait_loadcnt 0x0
	s_wait_xcnt 0x1
	v_cvt_f32_u32_e32 v10, v7
	s_branch .LBB15_1570
.LBB15_1568:
	s_mov_b32 s10, -1
                                        ; implicit-def: $vgpr10
	s_branch .LBB15_1573
.LBB15_1569:
	s_mov_b32 s10, -1
                                        ; implicit-def: $vgpr10
.LBB15_1570:
	s_delay_alu instid0(SALU_CYCLE_1)
	s_and_not1_b32 vcc_lo, exec_lo, s10
	s_cbranch_vccnz .LBB15_1572
; %bb.1571:
	global_load_u16 v7, v[8:9], off
	s_wait_loadcnt 0x0
	s_wait_xcnt 0x1
	v_cvt_f32_u32_e32 v10, v7
.LBB15_1572:
	s_mov_b32 s10, 0
.LBB15_1573:
	s_delay_alu instid0(SALU_CYCLE_1)
	s_and_not1_b32 vcc_lo, exec_lo, s10
	s_cbranch_vccnz .LBB15_1581
; %bb.1574:
	global_load_u8 v7, v[8:9], off
	s_mov_b32 s10, 0
	s_mov_b32 s11, exec_lo
	s_wait_loadcnt 0x0
	v_cmpx_lt_i16_e32 0x7f, v7
	s_xor_b32 s11, exec_lo, s11
	s_cbranch_execz .LBB15_1595
; %bb.1575:
	s_mov_b32 s10, -1
	s_mov_b32 s12, exec_lo
	v_cmpx_eq_u16_e32 0x80, v7
; %bb.1576:
	s_xor_b32 s10, exec_lo, -1
; %bb.1577:
	s_or_b32 exec_lo, exec_lo, s12
	s_delay_alu instid0(SALU_CYCLE_1)
	s_and_b32 s10, s10, exec_lo
	s_or_saveexec_b32 s11, s11
	v_mov_b32_e32 v10, 0x7f800001
	s_xor_b32 exec_lo, exec_lo, s11
	s_cbranch_execnz .LBB15_1596
.LBB15_1578:
	s_or_b32 exec_lo, exec_lo, s11
	s_and_saveexec_b32 s11, s10
	s_cbranch_execz .LBB15_1580
.LBB15_1579:
	v_and_b32_e32 v10, 0xffff, v7
	s_delay_alu instid0(VALU_DEP_1) | instskip(SKIP_1) | instid1(VALU_DEP_2)
	v_and_b32_e32 v11, 7, v10
	v_bfe_u32 v14, v10, 3, 4
	v_clz_i32_u32_e32 v12, v11
	s_delay_alu instid0(VALU_DEP_2) | instskip(NEXT) | instid1(VALU_DEP_2)
	v_cmp_eq_u32_e32 vcc_lo, 0, v14
	v_min_u32_e32 v12, 32, v12
	s_delay_alu instid0(VALU_DEP_1) | instskip(NEXT) | instid1(VALU_DEP_1)
	v_subrev_nc_u32_e32 v13, 28, v12
	v_dual_lshlrev_b32 v10, v13, v10 :: v_dual_sub_nc_u32 v12, 29, v12
	s_delay_alu instid0(VALU_DEP_1) | instskip(NEXT) | instid1(VALU_DEP_1)
	v_dual_lshlrev_b32 v7, 24, v7 :: v_dual_bitop2_b32 v10, 7, v10 bitop3:0x40
	v_dual_cndmask_b32 v12, v14, v12, vcc_lo :: v_dual_cndmask_b32 v10, v11, v10, vcc_lo
	s_delay_alu instid0(VALU_DEP_2) | instskip(NEXT) | instid1(VALU_DEP_2)
	v_and_b32_e32 v7, 0x80000000, v7
	v_lshl_add_u32 v11, v12, 23, 0x3b800000
	s_delay_alu instid0(VALU_DEP_3) | instskip(NEXT) | instid1(VALU_DEP_1)
	v_lshlrev_b32_e32 v10, 20, v10
	v_or3_b32 v10, v7, v11, v10
.LBB15_1580:
	s_or_b32 exec_lo, exec_lo, s11
.LBB15_1581:
	s_mov_b32 s10, -1
.LBB15_1582:
	s_mov_b32 s11, 0
.LBB15_1583:
	s_delay_alu instid0(SALU_CYCLE_1)
	s_and_b32 vcc_lo, exec_lo, s11
	s_cbranch_vccz .LBB15_1616
; %bb.1584:
	s_cmp_gt_i32 s0, 22
	s_cbranch_scc0 .LBB15_1594
; %bb.1585:
	s_cmp_lt_i32 s0, 24
	s_cbranch_scc1 .LBB15_1597
; %bb.1586:
	s_cmp_gt_i32 s0, 24
	s_cbranch_scc0 .LBB15_1598
; %bb.1587:
	global_load_u8 v7, v[8:9], off
	s_mov_b32 s10, exec_lo
	s_wait_loadcnt 0x0
	v_cmpx_lt_i16_e32 0x7f, v7
	s_xor_b32 s10, exec_lo, s10
	s_cbranch_execz .LBB15_1610
; %bb.1588:
	s_mov_b32 s7, -1
	s_mov_b32 s11, exec_lo
	v_cmpx_eq_u16_e32 0x80, v7
; %bb.1589:
	s_xor_b32 s7, exec_lo, -1
; %bb.1590:
	s_or_b32 exec_lo, exec_lo, s11
	s_delay_alu instid0(SALU_CYCLE_1)
	s_and_b32 s7, s7, exec_lo
	s_or_saveexec_b32 s10, s10
	v_mov_b32_e32 v10, 0x7f800001
	s_xor_b32 exec_lo, exec_lo, s10
	s_cbranch_execnz .LBB15_1611
.LBB15_1591:
	s_or_b32 exec_lo, exec_lo, s10
	s_and_saveexec_b32 s10, s7
	s_cbranch_execz .LBB15_1593
.LBB15_1592:
	v_and_b32_e32 v10, 0xffff, v7
	s_delay_alu instid0(VALU_DEP_1) | instskip(SKIP_1) | instid1(VALU_DEP_2)
	v_and_b32_e32 v11, 3, v10
	v_bfe_u32 v14, v10, 2, 5
	v_clz_i32_u32_e32 v12, v11
	s_delay_alu instid0(VALU_DEP_2) | instskip(NEXT) | instid1(VALU_DEP_2)
	v_cmp_eq_u32_e32 vcc_lo, 0, v14
	v_min_u32_e32 v12, 32, v12
	s_delay_alu instid0(VALU_DEP_1) | instskip(NEXT) | instid1(VALU_DEP_1)
	v_subrev_nc_u32_e32 v13, 29, v12
	v_dual_lshlrev_b32 v10, v13, v10 :: v_dual_sub_nc_u32 v12, 30, v12
	s_delay_alu instid0(VALU_DEP_1) | instskip(NEXT) | instid1(VALU_DEP_1)
	v_dual_lshlrev_b32 v7, 24, v7 :: v_dual_bitop2_b32 v10, 3, v10 bitop3:0x40
	v_dual_cndmask_b32 v12, v14, v12, vcc_lo :: v_dual_cndmask_b32 v10, v11, v10, vcc_lo
	s_delay_alu instid0(VALU_DEP_2) | instskip(NEXT) | instid1(VALU_DEP_2)
	v_and_b32_e32 v7, 0x80000000, v7
	v_lshl_add_u32 v11, v12, 23, 0x37800000
	s_delay_alu instid0(VALU_DEP_3) | instskip(NEXT) | instid1(VALU_DEP_1)
	v_lshlrev_b32_e32 v10, 21, v10
	v_or3_b32 v10, v7, v11, v10
.LBB15_1593:
	s_or_b32 exec_lo, exec_lo, s10
	s_mov_b32 s7, 0
	s_branch .LBB15_1599
.LBB15_1594:
	s_mov_b32 s7, -1
                                        ; implicit-def: $vgpr10
	s_branch .LBB15_1605
.LBB15_1595:
	s_or_saveexec_b32 s11, s11
	v_mov_b32_e32 v10, 0x7f800001
	s_xor_b32 exec_lo, exec_lo, s11
	s_cbranch_execz .LBB15_1578
.LBB15_1596:
	v_cmp_ne_u16_e32 vcc_lo, 0, v7
	v_mov_b32_e32 v10, 0
	s_and_not1_b32 s10, s10, exec_lo
	s_and_b32 s12, vcc_lo, exec_lo
	s_delay_alu instid0(SALU_CYCLE_1)
	s_or_b32 s10, s10, s12
	s_or_b32 exec_lo, exec_lo, s11
	s_and_saveexec_b32 s11, s10
	s_cbranch_execnz .LBB15_1579
	s_branch .LBB15_1580
.LBB15_1597:
	s_mov_b32 s7, -1
                                        ; implicit-def: $vgpr10
	s_branch .LBB15_1602
.LBB15_1598:
	s_mov_b32 s7, -1
                                        ; implicit-def: $vgpr10
.LBB15_1599:
	s_delay_alu instid0(SALU_CYCLE_1)
	s_and_b32 vcc_lo, exec_lo, s7
	s_cbranch_vccz .LBB15_1601
; %bb.1600:
	global_load_u8 v7, v[8:9], off
	s_wait_loadcnt 0x0
	v_lshlrev_b32_e32 v7, 24, v7
	s_wait_xcnt 0x1
	s_delay_alu instid0(VALU_DEP_1) | instskip(NEXT) | instid1(VALU_DEP_1)
	v_and_b32_e32 v10, 0x7f000000, v7
	v_clz_i32_u32_e32 v11, v10
	v_cmp_ne_u32_e32 vcc_lo, 0, v10
	v_add_nc_u32_e32 v13, 0x1000000, v10
	s_delay_alu instid0(VALU_DEP_3) | instskip(NEXT) | instid1(VALU_DEP_1)
	v_min_u32_e32 v11, 32, v11
	v_sub_nc_u32_e64 v11, v11, 4 clamp
	s_delay_alu instid0(VALU_DEP_1) | instskip(NEXT) | instid1(VALU_DEP_1)
	v_dual_lshlrev_b32 v12, v11, v10 :: v_dual_lshlrev_b32 v11, 23, v11
	v_lshrrev_b32_e32 v12, 4, v12
	s_delay_alu instid0(VALU_DEP_1) | instskip(NEXT) | instid1(VALU_DEP_1)
	v_dual_sub_nc_u32 v11, v12, v11 :: v_dual_ashrrev_i32 v12, 8, v13
	v_add_nc_u32_e32 v11, 0x3c000000, v11
	s_delay_alu instid0(VALU_DEP_1) | instskip(NEXT) | instid1(VALU_DEP_1)
	v_and_or_b32 v11, 0x7f800000, v12, v11
	v_cndmask_b32_e32 v10, 0, v11, vcc_lo
	s_delay_alu instid0(VALU_DEP_1)
	v_and_or_b32 v10, 0x80000000, v7, v10
.LBB15_1601:
	s_mov_b32 s7, 0
.LBB15_1602:
	s_delay_alu instid0(SALU_CYCLE_1)
	s_and_not1_b32 vcc_lo, exec_lo, s7
	s_cbranch_vccnz .LBB15_1604
; %bb.1603:
	global_load_u8 v7, v[8:9], off
	s_wait_loadcnt 0x0
	s_wait_xcnt 0x1
	v_lshlrev_b32_e32 v10, 25, v7
	v_lshlrev_b16 v7, 8, v7
	s_delay_alu instid0(VALU_DEP_1) | instskip(SKIP_1) | instid1(VALU_DEP_2)
	v_and_or_b32 v12, 0x7f00, v7, 0.5
	v_bfe_i32 v7, v7, 0, 16
	v_dual_add_f32 v12, -0.5, v12 :: v_dual_lshrrev_b32 v11, 4, v10
	v_cmp_gt_u32_e32 vcc_lo, 0x8000000, v10
	s_delay_alu instid0(VALU_DEP_2) | instskip(NEXT) | instid1(VALU_DEP_1)
	v_or_b32_e32 v11, 0x70000000, v11
	v_mul_f32_e32 v11, 0x7800000, v11
	s_delay_alu instid0(VALU_DEP_1) | instskip(NEXT) | instid1(VALU_DEP_1)
	v_cndmask_b32_e32 v10, v11, v12, vcc_lo
	v_and_or_b32 v10, 0x80000000, v7, v10
.LBB15_1604:
	s_mov_b32 s7, 0
	s_mov_b32 s10, -1
.LBB15_1605:
	s_and_not1_b32 vcc_lo, exec_lo, s7
	s_mov_b32 s7, 0
	s_cbranch_vccnz .LBB15_1616
; %bb.1606:
	s_cmp_gt_i32 s0, 14
	s_cbranch_scc0 .LBB15_1609
; %bb.1607:
	s_cmp_eq_u32 s0, 15
	s_cbranch_scc0 .LBB15_1612
; %bb.1608:
	global_load_u16 v7, v[8:9], off
	s_mov_b32 s6, 0
	s_mov_b32 s10, -1
	s_wait_loadcnt 0x0
	s_wait_xcnt 0x1
	v_lshlrev_b32_e32 v10, 16, v7
	s_branch .LBB15_1614
.LBB15_1609:
	s_mov_b32 s7, -1
	s_branch .LBB15_1613
.LBB15_1610:
	s_or_saveexec_b32 s10, s10
	v_mov_b32_e32 v10, 0x7f800001
	s_xor_b32 exec_lo, exec_lo, s10
	s_cbranch_execz .LBB15_1591
.LBB15_1611:
	v_cmp_ne_u16_e32 vcc_lo, 0, v7
	v_mov_b32_e32 v10, 0
	s_and_not1_b32 s7, s7, exec_lo
	s_and_b32 s11, vcc_lo, exec_lo
	s_delay_alu instid0(SALU_CYCLE_1)
	s_or_b32 s7, s7, s11
	s_or_b32 exec_lo, exec_lo, s10
	s_and_saveexec_b32 s10, s7
	s_cbranch_execnz .LBB15_1592
	s_branch .LBB15_1593
.LBB15_1612:
	s_mov_b32 s6, -1
.LBB15_1613:
                                        ; implicit-def: $vgpr10
.LBB15_1614:
	s_and_b32 vcc_lo, exec_lo, s7
	s_mov_b32 s7, 0
	s_cbranch_vccz .LBB15_1616
; %bb.1615:
	s_cmp_lg_u32 s0, 11
	s_mov_b32 s7, -1
	s_cselect_b32 s6, -1, 0
.LBB15_1616:
	s_delay_alu instid0(SALU_CYCLE_1)
	s_and_b32 vcc_lo, exec_lo, s6
	s_cbranch_vccnz .LBB15_2145
; %bb.1617:
	s_and_not1_b32 vcc_lo, exec_lo, s7
	s_cbranch_vccnz .LBB15_1619
.LBB15_1618:
	global_load_u8 v7, v[8:9], off
	s_mov_b32 s10, -1
	s_wait_loadcnt 0x0
	v_cmp_ne_u16_e32 vcc_lo, 0, v7
	s_wait_xcnt 0x1
	v_cndmask_b32_e64 v10, 0, 1.0, vcc_lo
.LBB15_1619:
	s_mov_b32 s6, 0
.LBB15_1620:
	s_delay_alu instid0(SALU_CYCLE_1)
	s_and_b32 vcc_lo, exec_lo, s6
	s_cbranch_vccz .LBB15_1669
; %bb.1621:
	s_cmp_lt_i32 s0, 5
	s_cbranch_scc1 .LBB15_1626
; %bb.1622:
	s_cmp_lt_i32 s0, 8
	s_cbranch_scc1 .LBB15_1627
	;; [unrolled: 3-line block ×3, first 2 shown]
; %bb.1624:
	s_cmp_gt_i32 s0, 9
	s_cbranch_scc0 .LBB15_1629
; %bb.1625:
	global_load_b64 v[10:11], v[8:9], off
	s_mov_b32 s6, 0
	s_wait_loadcnt 0x0
	v_cvt_f32_f64_e32 v10, v[10:11]
	s_branch .LBB15_1630
.LBB15_1626:
	s_mov_b32 s6, -1
                                        ; implicit-def: $vgpr10
	s_branch .LBB15_1648
.LBB15_1627:
	s_mov_b32 s6, -1
                                        ; implicit-def: $vgpr10
	s_branch .LBB15_1636
.LBB15_1628:
	s_mov_b32 s6, -1
                                        ; implicit-def: $vgpr10
	s_branch .LBB15_1633
.LBB15_1629:
	s_mov_b32 s6, -1
                                        ; implicit-def: $vgpr10
.LBB15_1630:
	s_delay_alu instid0(SALU_CYCLE_1)
	s_and_not1_b32 vcc_lo, exec_lo, s6
	s_cbranch_vccnz .LBB15_1632
; %bb.1631:
	global_load_b32 v10, v[8:9], off
.LBB15_1632:
	s_mov_b32 s6, 0
.LBB15_1633:
	s_delay_alu instid0(SALU_CYCLE_1)
	s_and_not1_b32 vcc_lo, exec_lo, s6
	s_cbranch_vccnz .LBB15_1635
; %bb.1634:
	global_load_b32 v7, v[8:9], off
	s_wait_loadcnt 0x0
	s_wait_xcnt 0x1
	v_cvt_f32_f16_e32 v10, v7
.LBB15_1635:
	s_mov_b32 s6, 0
.LBB15_1636:
	s_delay_alu instid0(SALU_CYCLE_1)
	s_and_not1_b32 vcc_lo, exec_lo, s6
	s_cbranch_vccnz .LBB15_1647
; %bb.1637:
	s_cmp_lt_i32 s0, 6
	s_cbranch_scc1 .LBB15_1640
; %bb.1638:
	s_cmp_gt_i32 s0, 6
	s_cbranch_scc0 .LBB15_1641
; %bb.1639:
	s_wait_loadcnt 0x0
	global_load_b64 v[10:11], v[8:9], off
	s_mov_b32 s6, 0
	s_wait_loadcnt 0x0
	v_cvt_f32_f64_e32 v10, v[10:11]
	s_branch .LBB15_1642
.LBB15_1640:
	s_mov_b32 s6, -1
                                        ; implicit-def: $vgpr10
	s_branch .LBB15_1645
.LBB15_1641:
	s_mov_b32 s6, -1
                                        ; implicit-def: $vgpr10
.LBB15_1642:
	s_delay_alu instid0(SALU_CYCLE_1)
	s_and_not1_b32 vcc_lo, exec_lo, s6
	s_cbranch_vccnz .LBB15_1644
; %bb.1643:
	s_wait_loadcnt 0x0
	global_load_b32 v10, v[8:9], off
.LBB15_1644:
	s_mov_b32 s6, 0
.LBB15_1645:
	s_delay_alu instid0(SALU_CYCLE_1)
	s_and_not1_b32 vcc_lo, exec_lo, s6
	s_cbranch_vccnz .LBB15_1647
; %bb.1646:
	global_load_u16 v7, v[8:9], off
	s_wait_loadcnt 0x0
	s_wait_xcnt 0x1
	v_cvt_f32_f16_e32 v10, v7
.LBB15_1647:
	s_mov_b32 s6, 0
.LBB15_1648:
	s_delay_alu instid0(SALU_CYCLE_1)
	s_and_not1_b32 vcc_lo, exec_lo, s6
	s_cbranch_vccnz .LBB15_1668
; %bb.1649:
	s_cmp_lt_i32 s0, 2
	s_cbranch_scc1 .LBB15_1653
; %bb.1650:
	s_cmp_lt_i32 s0, 3
	s_cbranch_scc1 .LBB15_1654
; %bb.1651:
	s_cmp_gt_i32 s0, 3
	s_cbranch_scc0 .LBB15_1655
; %bb.1652:
	s_wait_loadcnt 0x0
	global_load_b64 v[10:11], v[8:9], off
	s_mov_b32 s6, 0
	s_wait_loadcnt 0x0
	v_xor_b32_e32 v7, v10, v11
	v_cls_i32_e32 v12, v11
	s_delay_alu instid0(VALU_DEP_2) | instskip(NEXT) | instid1(VALU_DEP_1)
	v_ashrrev_i32_e32 v7, 31, v7
	v_add_nc_u32_e32 v7, 32, v7
	s_delay_alu instid0(VALU_DEP_1) | instskip(NEXT) | instid1(VALU_DEP_1)
	v_add_min_u32_e64 v7, v12, -1, v7
	v_lshlrev_b64_e32 v[10:11], v7, v[10:11]
	v_sub_nc_u32_e32 v7, 32, v7
	s_delay_alu instid0(VALU_DEP_2) | instskip(NEXT) | instid1(VALU_DEP_1)
	v_min_u32_e32 v10, 1, v10
	v_or_b32_e32 v10, v11, v10
	s_delay_alu instid0(VALU_DEP_1) | instskip(NEXT) | instid1(VALU_DEP_1)
	v_cvt_f32_i32_e32 v10, v10
	v_ldexp_f32 v10, v10, v7
	s_branch .LBB15_1656
.LBB15_1653:
	s_mov_b32 s6, -1
                                        ; implicit-def: $vgpr10
	s_branch .LBB15_1662
.LBB15_1654:
	s_mov_b32 s6, -1
                                        ; implicit-def: $vgpr10
	s_branch .LBB15_1659
.LBB15_1655:
	s_mov_b32 s6, -1
                                        ; implicit-def: $vgpr10
.LBB15_1656:
	s_delay_alu instid0(SALU_CYCLE_1)
	s_and_not1_b32 vcc_lo, exec_lo, s6
	s_cbranch_vccnz .LBB15_1658
; %bb.1657:
	global_load_b32 v7, v[8:9], off
	s_wait_loadcnt 0x0
	s_wait_xcnt 0x1
	v_cvt_f32_i32_e32 v10, v7
.LBB15_1658:
	s_mov_b32 s6, 0
.LBB15_1659:
	s_delay_alu instid0(SALU_CYCLE_1)
	s_and_not1_b32 vcc_lo, exec_lo, s6
	s_cbranch_vccnz .LBB15_1661
; %bb.1660:
	global_load_i16 v7, v[8:9], off
	s_wait_loadcnt 0x0
	s_wait_xcnt 0x1
	v_cvt_f32_i32_e32 v10, v7
.LBB15_1661:
	s_mov_b32 s6, 0
.LBB15_1662:
	s_delay_alu instid0(SALU_CYCLE_1)
	s_and_not1_b32 vcc_lo, exec_lo, s6
	s_cbranch_vccnz .LBB15_1668
; %bb.1663:
	s_cmp_gt_i32 s0, 0
	s_mov_b32 s0, 0
	s_cbranch_scc0 .LBB15_1665
; %bb.1664:
	global_load_i8 v7, v[8:9], off
	s_wait_loadcnt 0x0
	s_wait_xcnt 0x1
	v_cvt_f32_i32_e32 v10, v7
	s_branch .LBB15_1666
.LBB15_1665:
	s_mov_b32 s0, -1
                                        ; implicit-def: $vgpr10
.LBB15_1666:
	s_delay_alu instid0(SALU_CYCLE_1)
	s_and_not1_b32 vcc_lo, exec_lo, s0
	s_cbranch_vccnz .LBB15_1668
; %bb.1667:
	global_load_u8 v7, v[8:9], off
	s_wait_loadcnt 0x0
	s_wait_xcnt 0x1
	v_cvt_f32_ubyte0_e32 v10, v7
.LBB15_1668:
	s_mov_b32 s10, -1
.LBB15_1669:
	s_delay_alu instid0(SALU_CYCLE_1)
	s_and_not1_b32 vcc_lo, exec_lo, s10
	s_cbranch_vccnz .LBB15_2100
; %bb.1670:
	s_load_b64 s[2:3], s[2:3], 0x158
	s_mov_b32 s10, 0
	s_wait_loadcnt 0x0
	s_wait_kmcnt 0x0
	v_cmp_nge_f32_e64 s0, v5, -s2
	v_cmp_nge_f32_e32 vcc_lo, s2, v5
	s_and_b32 s6, s3, 0xff
	s_or_b32 vcc_lo, s0, vcc_lo
	v_dual_mov_b32 v7, 0 :: v_dual_cndmask_b32 v8, 0, v5
	s_cmp_lt_i32 s6, 11
	s_mov_b32 s0, -1
	s_delay_alu instid0(VALU_DEP_1)
	v_add_nc_u64_e32 v[6:7], s[4:5], v[6:7]
	s_cbranch_scc1 .LBB15_1749
; %bb.1671:
	s_and_b32 s3, 0xffff, s6
	s_mov_b32 s11, -1
	s_mov_b32 s7, 0
	s_cmp_gt_i32 s3, 25
	s_mov_b32 s0, 0
	s_cbranch_scc0 .LBB15_1704
; %bb.1672:
	s_cmp_gt_i32 s3, 28
	s_cbranch_scc0 .LBB15_1687
; %bb.1673:
	s_cmp_gt_i32 s3, 43
	;; [unrolled: 3-line block ×3, first 2 shown]
	s_cbranch_scc0 .LBB15_1677
; %bb.1675:
	s_mov_b32 s0, -1
	s_mov_b32 s11, 0
	s_cmp_eq_u32 s3, 46
	s_cbranch_scc0 .LBB15_1677
; %bb.1676:
	v_bfe_u32 v5, v8, 16, 1
	v_cmp_o_f32_e32 vcc_lo, v8, v8
	s_mov_b32 s0, 0
	s_mov_b32 s10, -1
	s_delay_alu instid0(VALU_DEP_2) | instskip(NEXT) | instid1(VALU_DEP_1)
	v_add3_u32 v5, v8, v5, 0x7fff
	v_lshrrev_b32_e32 v5, 16, v5
	s_delay_alu instid0(VALU_DEP_1)
	v_cndmask_b32_e32 v5, 0x7fc0, v5, vcc_lo
	global_store_b32 v[6:7], v5, off
.LBB15_1677:
	s_and_b32 vcc_lo, exec_lo, s11
	s_cbranch_vccz .LBB15_1682
; %bb.1678:
	s_cmp_eq_u32 s3, 44
	s_mov_b32 s0, -1
	s_cbranch_scc0 .LBB15_1682
; %bb.1679:
	v_bfe_u32 v9, v8, 23, 8
	s_wait_xcnt 0x0
	v_mov_b32_e32 v5, 0xff
	s_mov_b32 s10, exec_lo
	s_delay_alu instid0(VALU_DEP_2)
	v_cmpx_ne_u32_e32 0xff, v9
	s_cbranch_execz .LBB15_1681
; %bb.1680:
	v_and_b32_e32 v5, 0x400000, v8
	v_and_or_b32 v9, 0x3fffff, v8, v9
	s_delay_alu instid0(VALU_DEP_2) | instskip(NEXT) | instid1(VALU_DEP_2)
	v_cmp_ne_u32_e32 vcc_lo, 0, v5
	v_cmp_ne_u32_e64 s0, 0, v9
	v_lshrrev_b32_e32 v5, 23, v8
	s_and_b32 s0, vcc_lo, s0
	s_delay_alu instid0(SALU_CYCLE_1) | instskip(NEXT) | instid1(VALU_DEP_1)
	v_cndmask_b32_e64 v9, 0, 1, s0
	v_add_nc_u32_e32 v5, v5, v9
.LBB15_1681:
	s_or_b32 exec_lo, exec_lo, s10
	s_mov_b32 s0, 0
	s_mov_b32 s10, -1
	global_store_b8 v[6:7], v5, off
.LBB15_1682:
	s_mov_b32 s11, 0
.LBB15_1683:
	s_delay_alu instid0(SALU_CYCLE_1)
	s_and_b32 vcc_lo, exec_lo, s11
	s_cbranch_vccz .LBB15_1686
; %bb.1684:
	s_cmp_eq_u32 s3, 29
	s_mov_b32 s0, -1
	s_cbranch_scc0 .LBB15_1686
; %bb.1685:
	s_wait_xcnt 0x0
	v_trunc_f32_e32 v5, v8
	s_mov_b32 s0, 0
	s_mov_b32 s10, -1
	s_delay_alu instid0(VALU_DEP_1) | instskip(NEXT) | instid1(VALU_DEP_1)
	v_mul_f32_e32 v9, 0x2f800000, v5
	v_floor_f32_e32 v9, v9
	s_delay_alu instid0(VALU_DEP_1) | instskip(SKIP_1) | instid1(VALU_DEP_2)
	v_fmamk_f32 v5, v9, 0xcf800000, v5
	v_cvt_u32_f32_e32 v13, v9
	v_cvt_u32_f32_e32 v12, v5
	global_store_b64 v[6:7], v[12:13], off
.LBB15_1686:
	s_mov_b32 s11, 0
.LBB15_1687:
	s_delay_alu instid0(SALU_CYCLE_1)
	s_and_b32 vcc_lo, exec_lo, s11
	s_cbranch_vccz .LBB15_1703
; %bb.1688:
	s_cmp_lt_i32 s3, 27
	s_mov_b32 s10, -1
	s_cbranch_scc1 .LBB15_1694
; %bb.1689:
	s_wait_xcnt 0x0
	v_cvt_u32_f32_e32 v5, v8
	s_cmp_gt_i32 s3, 27
	s_cbranch_scc0 .LBB15_1691
; %bb.1690:
	s_mov_b32 s10, 0
	global_store_b32 v[6:7], v5, off
.LBB15_1691:
	s_and_not1_b32 vcc_lo, exec_lo, s10
	s_cbranch_vccnz .LBB15_1693
; %bb.1692:
	global_store_b16 v[6:7], v5, off
.LBB15_1693:
	s_mov_b32 s10, 0
.LBB15_1694:
	s_delay_alu instid0(SALU_CYCLE_1)
	s_and_not1_b32 vcc_lo, exec_lo, s10
	s_cbranch_vccnz .LBB15_1702
; %bb.1695:
	s_wait_xcnt 0x0
	v_and_b32_e32 v5, 0x7fffffff, v8
	v_mov_b32_e32 v9, 0x80
	s_mov_b32 s10, exec_lo
	s_delay_alu instid0(VALU_DEP_2)
	v_cmpx_gt_u32_e32 0x43800000, v5
	s_cbranch_execz .LBB15_1701
; %bb.1696:
	v_cmp_lt_u32_e32 vcc_lo, 0x3bffffff, v5
	s_mov_b32 s11, 0
                                        ; implicit-def: $vgpr5
	s_and_saveexec_b32 s12, vcc_lo
	s_delay_alu instid0(SALU_CYCLE_1)
	s_xor_b32 s12, exec_lo, s12
	s_cbranch_execz .LBB15_2146
; %bb.1697:
	v_bfe_u32 v5, v8, 20, 1
	s_mov_b32 s11, exec_lo
	s_delay_alu instid0(VALU_DEP_1) | instskip(NEXT) | instid1(VALU_DEP_1)
	v_add3_u32 v5, v8, v5, 0x487ffff
	v_lshrrev_b32_e32 v5, 20, v5
	s_and_not1_saveexec_b32 s12, s12
	s_cbranch_execnz .LBB15_2147
.LBB15_1698:
	s_or_b32 exec_lo, exec_lo, s12
	v_mov_b32_e32 v9, 0
	s_and_saveexec_b32 s12, s11
.LBB15_1699:
	v_lshrrev_b32_e32 v9, 24, v8
	s_delay_alu instid0(VALU_DEP_1)
	v_and_or_b32 v9, 0x80, v9, v5
.LBB15_1700:
	s_or_b32 exec_lo, exec_lo, s12
.LBB15_1701:
	s_delay_alu instid0(SALU_CYCLE_1)
	s_or_b32 exec_lo, exec_lo, s10
	global_store_b8 v[6:7], v9, off
.LBB15_1702:
	s_mov_b32 s10, -1
.LBB15_1703:
	s_mov_b32 s11, 0
.LBB15_1704:
	s_delay_alu instid0(SALU_CYCLE_1)
	s_and_b32 vcc_lo, exec_lo, s11
	s_cbranch_vccz .LBB15_1744
; %bb.1705:
	s_cmp_gt_i32 s3, 22
	s_mov_b32 s7, -1
	s_cbranch_scc0 .LBB15_1737
; %bb.1706:
	s_cmp_lt_i32 s3, 24
	s_cbranch_scc1 .LBB15_1726
; %bb.1707:
	s_cmp_gt_i32 s3, 24
	s_cbranch_scc0 .LBB15_1715
; %bb.1708:
	s_wait_xcnt 0x0
	v_and_b32_e32 v5, 0x7fffffff, v8
	v_mov_b32_e32 v9, 0x80
	s_mov_b32 s7, exec_lo
	s_delay_alu instid0(VALU_DEP_2)
	v_cmpx_gt_u32_e32 0x47800000, v5
	s_cbranch_execz .LBB15_1714
; %bb.1709:
	v_cmp_lt_u32_e32 vcc_lo, 0x37ffffff, v5
	s_mov_b32 s10, 0
                                        ; implicit-def: $vgpr5
	s_and_saveexec_b32 s11, vcc_lo
	s_delay_alu instid0(SALU_CYCLE_1)
	s_xor_b32 s11, exec_lo, s11
	s_cbranch_execz .LBB15_2149
; %bb.1710:
	v_bfe_u32 v5, v8, 21, 1
	s_mov_b32 s10, exec_lo
	s_delay_alu instid0(VALU_DEP_1) | instskip(NEXT) | instid1(VALU_DEP_1)
	v_add3_u32 v5, v8, v5, 0x88fffff
	v_lshrrev_b32_e32 v5, 21, v5
	s_and_not1_saveexec_b32 s11, s11
	s_cbranch_execnz .LBB15_2150
.LBB15_1711:
	s_or_b32 exec_lo, exec_lo, s11
	v_mov_b32_e32 v9, 0
	s_and_saveexec_b32 s11, s10
.LBB15_1712:
	v_lshrrev_b32_e32 v9, 24, v8
	s_delay_alu instid0(VALU_DEP_1)
	v_and_or_b32 v9, 0x80, v9, v5
.LBB15_1713:
	s_or_b32 exec_lo, exec_lo, s11
.LBB15_1714:
	s_delay_alu instid0(SALU_CYCLE_1)
	s_or_b32 exec_lo, exec_lo, s7
	s_mov_b32 s7, 0
	global_store_b8 v[6:7], v9, off
.LBB15_1715:
	s_and_b32 vcc_lo, exec_lo, s7
	s_cbranch_vccz .LBB15_1725
; %bb.1716:
	s_wait_xcnt 0x0
	v_and_b32_e32 v9, 0x7fffffff, v8
	s_mov_b32 s7, exec_lo
                                        ; implicit-def: $vgpr5
	s_delay_alu instid0(VALU_DEP_1)
	v_cmpx_gt_u32_e32 0x43f00000, v9
	s_xor_b32 s7, exec_lo, s7
	s_cbranch_execz .LBB15_1722
; %bb.1717:
	s_mov_b32 s10, exec_lo
                                        ; implicit-def: $vgpr5
	v_cmpx_lt_u32_e32 0x3c7fffff, v9
	s_xor_b32 s10, exec_lo, s10
; %bb.1718:
	v_bfe_u32 v5, v8, 20, 1
	s_delay_alu instid0(VALU_DEP_1) | instskip(NEXT) | instid1(VALU_DEP_1)
	v_add3_u32 v5, v8, v5, 0x407ffff
	v_and_b32_e32 v9, 0xff00000, v5
	v_lshrrev_b32_e32 v5, 20, v5
	s_delay_alu instid0(VALU_DEP_2) | instskip(NEXT) | instid1(VALU_DEP_2)
	v_cmp_ne_u32_e32 vcc_lo, 0x7f00000, v9
	v_cndmask_b32_e32 v5, 0x7e, v5, vcc_lo
; %bb.1719:
	s_and_not1_saveexec_b32 s10, s10
; %bb.1720:
	v_add_f32_e64 v5, 0x46800000, |v8|
; %bb.1721:
	s_or_b32 exec_lo, exec_lo, s10
                                        ; implicit-def: $vgpr9
.LBB15_1722:
	s_and_not1_saveexec_b32 s7, s7
; %bb.1723:
	v_mov_b32_e32 v5, 0x7f
	v_cmp_lt_u32_e32 vcc_lo, 0x7f800000, v9
	s_delay_alu instid0(VALU_DEP_2)
	v_cndmask_b32_e32 v5, 0x7e, v5, vcc_lo
; %bb.1724:
	s_or_b32 exec_lo, exec_lo, s7
	v_lshrrev_b32_e32 v9, 24, v8
	s_delay_alu instid0(VALU_DEP_1)
	v_and_or_b32 v5, 0x80, v9, v5
	global_store_b8 v[6:7], v5, off
.LBB15_1725:
	s_mov_b32 s7, 0
.LBB15_1726:
	s_delay_alu instid0(SALU_CYCLE_1)
	s_and_not1_b32 vcc_lo, exec_lo, s7
	s_cbranch_vccnz .LBB15_1736
; %bb.1727:
	s_wait_xcnt 0x0
	v_and_b32_e32 v9, 0x7fffffff, v8
	s_mov_b32 s7, exec_lo
                                        ; implicit-def: $vgpr5
	s_delay_alu instid0(VALU_DEP_1)
	v_cmpx_gt_u32_e32 0x47800000, v9
	s_xor_b32 s7, exec_lo, s7
	s_cbranch_execz .LBB15_1733
; %bb.1728:
	s_mov_b32 s10, exec_lo
                                        ; implicit-def: $vgpr5
	v_cmpx_lt_u32_e32 0x387fffff, v9
	s_xor_b32 s10, exec_lo, s10
; %bb.1729:
	v_bfe_u32 v5, v8, 21, 1
	s_delay_alu instid0(VALU_DEP_1) | instskip(NEXT) | instid1(VALU_DEP_1)
	v_add3_u32 v5, v8, v5, 0x80fffff
	v_lshrrev_b32_e32 v5, 21, v5
; %bb.1730:
	s_and_not1_saveexec_b32 s10, s10
; %bb.1731:
	v_add_f32_e64 v5, 0x43000000, |v8|
; %bb.1732:
	s_or_b32 exec_lo, exec_lo, s10
                                        ; implicit-def: $vgpr9
.LBB15_1733:
	s_and_not1_saveexec_b32 s7, s7
; %bb.1734:
	v_mov_b32_e32 v5, 0x7f
	v_cmp_lt_u32_e32 vcc_lo, 0x7f800000, v9
	s_delay_alu instid0(VALU_DEP_2)
	v_cndmask_b32_e32 v5, 0x7c, v5, vcc_lo
; %bb.1735:
	s_or_b32 exec_lo, exec_lo, s7
	v_lshrrev_b32_e32 v9, 24, v8
	s_delay_alu instid0(VALU_DEP_1)
	v_and_or_b32 v5, 0x80, v9, v5
	global_store_b8 v[6:7], v5, off
.LBB15_1736:
	s_mov_b32 s7, 0
	s_mov_b32 s10, -1
.LBB15_1737:
	s_and_not1_b32 vcc_lo, exec_lo, s7
	s_mov_b32 s7, 0
	s_cbranch_vccnz .LBB15_1744
; %bb.1738:
	s_cmp_gt_i32 s3, 14
	s_mov_b32 s7, -1
	s_cbranch_scc0 .LBB15_1742
; %bb.1739:
	s_cmp_eq_u32 s3, 15
	s_mov_b32 s0, -1
	s_cbranch_scc0 .LBB15_1741
; %bb.1740:
	s_wait_xcnt 0x0
	v_bfe_u32 v5, v8, 16, 1
	v_cmp_o_f32_e32 vcc_lo, v8, v8
	s_mov_b32 s0, 0
	s_mov_b32 s10, -1
	s_delay_alu instid0(VALU_DEP_2) | instskip(NEXT) | instid1(VALU_DEP_1)
	v_add3_u32 v5, v8, v5, 0x7fff
	v_lshrrev_b32_e32 v5, 16, v5
	s_delay_alu instid0(VALU_DEP_1)
	v_cndmask_b32_e32 v5, 0x7fc0, v5, vcc_lo
	global_store_b16 v[6:7], v5, off
.LBB15_1741:
	s_mov_b32 s7, 0
.LBB15_1742:
	s_delay_alu instid0(SALU_CYCLE_1)
	s_and_b32 vcc_lo, exec_lo, s7
	s_mov_b32 s7, 0
	s_cbranch_vccz .LBB15_1744
; %bb.1743:
	s_cmp_lg_u32 s3, 11
	s_mov_b32 s7, -1
	s_cselect_b32 s0, -1, 0
.LBB15_1744:
	s_delay_alu instid0(SALU_CYCLE_1)
	s_and_b32 vcc_lo, exec_lo, s0
	s_cbranch_vccnz .LBB15_2148
; %bb.1745:
	s_and_not1_b32 vcc_lo, exec_lo, s7
	s_cbranch_vccnz .LBB15_1747
.LBB15_1746:
	v_cmp_neq_f32_e32 vcc_lo, 0, v8
	s_mov_b32 s10, -1
	s_wait_xcnt 0x0
	v_cndmask_b32_e64 v5, 0, 1, vcc_lo
	global_store_b8 v[6:7], v5, off
.LBB15_1747:
.LBB15_1748:
	s_and_not1_b32 vcc_lo, exec_lo, s10
	s_cbranch_vccz .LBB15_1788
	s_branch .LBB15_2100
.LBB15_1749:
	s_and_b32 vcc_lo, exec_lo, s0
	s_cbranch_vccz .LBB15_1748
; %bb.1750:
	s_and_b32 s0, 0xffff, s6
	s_mov_b32 s3, -1
	s_cmp_lt_i32 s0, 5
	s_cbranch_scc1 .LBB15_1771
; %bb.1751:
	s_cmp_lt_i32 s0, 8
	s_cbranch_scc1 .LBB15_1761
; %bb.1752:
	;; [unrolled: 3-line block ×3, first 2 shown]
	s_cmp_gt_i32 s0, 9
	s_cbranch_scc0 .LBB15_1755
; %bb.1754:
	s_wait_xcnt 0x0
	v_cvt_f64_f32_e32 v[12:13], v8
	v_mov_b32_e32 v14, 0
	s_mov_b32 s3, 0
	s_delay_alu instid0(VALU_DEP_1)
	v_mov_b32_e32 v15, v14
	global_store_b128 v[6:7], v[12:15], off
.LBB15_1755:
	s_and_not1_b32 vcc_lo, exec_lo, s3
	s_cbranch_vccnz .LBB15_1757
; %bb.1756:
	s_wait_xcnt 0x0
	v_mov_b32_e32 v9, 0
	global_store_b64 v[6:7], v[8:9], off
.LBB15_1757:
	s_mov_b32 s3, 0
.LBB15_1758:
	s_delay_alu instid0(SALU_CYCLE_1)
	s_and_not1_b32 vcc_lo, exec_lo, s3
	s_cbranch_vccnz .LBB15_1760
; %bb.1759:
	s_wait_xcnt 0x0
	v_cvt_f16_f32_e32 v5, v8
	s_delay_alu instid0(VALU_DEP_1)
	v_and_b32_e32 v5, 0xffff, v5
	global_store_b32 v[6:7], v5, off
.LBB15_1760:
	s_mov_b32 s3, 0
.LBB15_1761:
	s_delay_alu instid0(SALU_CYCLE_1)
	s_and_not1_b32 vcc_lo, exec_lo, s3
	s_cbranch_vccnz .LBB15_1770
; %bb.1762:
	s_cmp_lt_i32 s0, 6
	s_mov_b32 s3, -1
	s_cbranch_scc1 .LBB15_1768
; %bb.1763:
	s_cmp_gt_i32 s0, 6
	s_cbranch_scc0 .LBB15_1765
; %bb.1764:
	s_wait_xcnt 0x0
	v_cvt_f64_f32_e32 v[12:13], v8
	s_mov_b32 s3, 0
	global_store_b64 v[6:7], v[12:13], off
.LBB15_1765:
	s_and_not1_b32 vcc_lo, exec_lo, s3
	s_cbranch_vccnz .LBB15_1767
; %bb.1766:
	global_store_b32 v[6:7], v8, off
.LBB15_1767:
	s_mov_b32 s3, 0
.LBB15_1768:
	s_delay_alu instid0(SALU_CYCLE_1)
	s_and_not1_b32 vcc_lo, exec_lo, s3
	s_cbranch_vccnz .LBB15_1770
; %bb.1769:
	s_wait_xcnt 0x0
	v_cvt_f16_f32_e32 v5, v8
	global_store_b16 v[6:7], v5, off
.LBB15_1770:
	s_mov_b32 s3, 0
.LBB15_1771:
	s_delay_alu instid0(SALU_CYCLE_1)
	s_and_not1_b32 vcc_lo, exec_lo, s3
	s_cbranch_vccnz .LBB15_1787
; %bb.1772:
	s_cmp_lt_i32 s0, 2
	s_mov_b32 s3, -1
	s_cbranch_scc1 .LBB15_1782
; %bb.1773:
	s_cmp_lt_i32 s0, 3
	s_cbranch_scc1 .LBB15_1779
; %bb.1774:
	s_cmp_gt_i32 s0, 3
	s_cbranch_scc0 .LBB15_1776
; %bb.1775:
	s_wait_xcnt 0x0
	v_trunc_f32_e32 v5, v8
	s_mov_b32 s3, 0
	s_delay_alu instid0(VALU_DEP_1) | instskip(SKIP_1) | instid1(VALU_DEP_2)
	v_mul_f32_e64 v9, 0x2f800000, |v5|
	v_ashrrev_i32_e32 v12, 31, v5
	v_floor_f32_e32 v9, v9
	s_delay_alu instid0(VALU_DEP_1) | instskip(SKIP_1) | instid1(VALU_DEP_4)
	v_fma_f32 v11, 0xcf800000, v9, |v5|
	v_cvt_u32_f32_e32 v5, v9
	v_mov_b32_e32 v13, v12
	s_delay_alu instid0(VALU_DEP_3) | instskip(NEXT) | instid1(VALU_DEP_3)
	v_cvt_u32_f32_e32 v9, v11
	v_xor_b32_e32 v15, v5, v12
	s_delay_alu instid0(VALU_DEP_2) | instskip(NEXT) | instid1(VALU_DEP_1)
	v_xor_b32_e32 v14, v9, v12
	v_sub_nc_u64_e32 v[12:13], v[14:15], v[12:13]
	global_store_b64 v[6:7], v[12:13], off
.LBB15_1776:
	s_and_not1_b32 vcc_lo, exec_lo, s3
	s_cbranch_vccnz .LBB15_1778
; %bb.1777:
	s_wait_xcnt 0x0
	v_cvt_i32_f32_e32 v5, v8
	global_store_b32 v[6:7], v5, off
.LBB15_1778:
	s_mov_b32 s3, 0
.LBB15_1779:
	s_delay_alu instid0(SALU_CYCLE_1)
	s_and_not1_b32 vcc_lo, exec_lo, s3
	s_cbranch_vccnz .LBB15_1781
; %bb.1780:
	s_wait_xcnt 0x0
	v_cvt_i32_f32_e32 v5, v8
	global_store_b16 v[6:7], v5, off
.LBB15_1781:
	s_mov_b32 s3, 0
.LBB15_1782:
	s_delay_alu instid0(SALU_CYCLE_1)
	s_and_not1_b32 vcc_lo, exec_lo, s3
	s_cbranch_vccnz .LBB15_1787
; %bb.1783:
	s_cmp_gt_i32 s0, 0
	s_mov_b32 s0, -1
	s_cbranch_scc0 .LBB15_1785
; %bb.1784:
	s_wait_xcnt 0x0
	v_cvt_i32_f32_e32 v5, v8
	s_mov_b32 s0, 0
	global_store_b8 v[6:7], v5, off
.LBB15_1785:
	s_and_not1_b32 vcc_lo, exec_lo, s0
	s_cbranch_vccnz .LBB15_1787
; %bb.1786:
	s_wait_xcnt 0x0
	v_trunc_f32_e32 v5, v8
	s_delay_alu instid0(VALU_DEP_1) | instskip(NEXT) | instid1(VALU_DEP_1)
	v_mul_f32_e64 v8, 0x2f800000, |v5|
	v_floor_f32_e32 v8, v8
	s_delay_alu instid0(VALU_DEP_1) | instskip(SKIP_1) | instid1(VALU_DEP_2)
	v_fma_f32 v8, 0xcf800000, v8, |v5|
	v_ashrrev_i32_e32 v5, 31, v5
	v_cvt_u32_f32_e32 v8, v8
	s_delay_alu instid0(VALU_DEP_1) | instskip(NEXT) | instid1(VALU_DEP_1)
	v_xor_b32_e32 v8, v8, v5
	v_sub_nc_u32_e32 v5, v8, v5
	global_store_b8 v[6:7], v5, off
.LBB15_1787:
.LBB15_1788:
	v_cmp_nge_f32_e64 s0, v3, -s2
	v_cmp_nge_f32_e32 vcc_lo, s2, v3
	s_and_b32 s3, 0xffff, s6
	s_mov_b32 s10, 0
	s_or_b32 vcc_lo, s0, vcc_lo
	s_wait_xcnt 0x0
	v_dual_mov_b32 v5, 0 :: v_dual_cndmask_b32 v6, 0, v3
	s_cmp_lt_i32 s3, 11
	s_mov_b32 s0, -1
	s_delay_alu instid0(VALU_DEP_1)
	v_add_nc_u64_e32 v[4:5], s[4:5], v[4:5]
	s_cbranch_scc1 .LBB15_1867
; %bb.1789:
	s_mov_b32 s11, -1
	s_mov_b32 s7, 0
	s_cmp_gt_i32 s3, 25
	s_mov_b32 s0, 0
	s_cbranch_scc0 .LBB15_1822
; %bb.1790:
	s_cmp_gt_i32 s3, 28
	s_cbranch_scc0 .LBB15_1805
; %bb.1791:
	s_cmp_gt_i32 s3, 43
	;; [unrolled: 3-line block ×3, first 2 shown]
	s_cbranch_scc0 .LBB15_1795
; %bb.1793:
	s_mov_b32 s0, -1
	s_mov_b32 s11, 0
	s_cmp_eq_u32 s3, 46
	s_cbranch_scc0 .LBB15_1795
; %bb.1794:
	v_bfe_u32 v3, v6, 16, 1
	v_cmp_o_f32_e32 vcc_lo, v6, v6
	s_mov_b32 s0, 0
	s_mov_b32 s10, -1
	s_delay_alu instid0(VALU_DEP_2) | instskip(NEXT) | instid1(VALU_DEP_1)
	v_add3_u32 v3, v6, v3, 0x7fff
	v_lshrrev_b32_e32 v3, 16, v3
	s_delay_alu instid0(VALU_DEP_1)
	v_cndmask_b32_e32 v3, 0x7fc0, v3, vcc_lo
	global_store_b32 v[4:5], v3, off
.LBB15_1795:
	s_and_b32 vcc_lo, exec_lo, s11
	s_cbranch_vccz .LBB15_1800
; %bb.1796:
	s_cmp_eq_u32 s3, 44
	s_mov_b32 s0, -1
	s_cbranch_scc0 .LBB15_1800
; %bb.1797:
	v_bfe_u32 v7, v6, 23, 8
	s_wait_xcnt 0x0
	v_mov_b32_e32 v3, 0xff
	s_mov_b32 s10, exec_lo
	s_delay_alu instid0(VALU_DEP_2)
	v_cmpx_ne_u32_e32 0xff, v7
	s_cbranch_execz .LBB15_1799
; %bb.1798:
	v_and_b32_e32 v3, 0x400000, v6
	v_and_or_b32 v7, 0x3fffff, v6, v7
	s_delay_alu instid0(VALU_DEP_2) | instskip(NEXT) | instid1(VALU_DEP_2)
	v_cmp_ne_u32_e32 vcc_lo, 0, v3
	v_cmp_ne_u32_e64 s0, 0, v7
	v_lshrrev_b32_e32 v3, 23, v6
	s_and_b32 s0, vcc_lo, s0
	s_delay_alu instid0(SALU_CYCLE_1) | instskip(NEXT) | instid1(VALU_DEP_1)
	v_cndmask_b32_e64 v7, 0, 1, s0
	v_add_nc_u32_e32 v3, v3, v7
.LBB15_1799:
	s_or_b32 exec_lo, exec_lo, s10
	s_mov_b32 s0, 0
	s_mov_b32 s10, -1
	global_store_b8 v[4:5], v3, off
.LBB15_1800:
	s_mov_b32 s11, 0
.LBB15_1801:
	s_delay_alu instid0(SALU_CYCLE_1)
	s_and_b32 vcc_lo, exec_lo, s11
	s_cbranch_vccz .LBB15_1804
; %bb.1802:
	s_cmp_eq_u32 s3, 29
	s_mov_b32 s0, -1
	s_cbranch_scc0 .LBB15_1804
; %bb.1803:
	s_wait_xcnt 0x0
	v_trunc_f32_e32 v3, v6
	s_mov_b32 s0, 0
	s_mov_b32 s10, -1
	s_delay_alu instid0(VALU_DEP_1) | instskip(NEXT) | instid1(VALU_DEP_1)
	v_mul_f32_e32 v7, 0x2f800000, v3
	v_floor_f32_e32 v7, v7
	s_delay_alu instid0(VALU_DEP_1) | instskip(SKIP_1) | instid1(VALU_DEP_2)
	v_fmamk_f32 v3, v7, 0xcf800000, v3
	v_cvt_u32_f32_e32 v9, v7
	v_cvt_u32_f32_e32 v8, v3
	global_store_b64 v[4:5], v[8:9], off
.LBB15_1804:
	s_mov_b32 s11, 0
.LBB15_1805:
	s_delay_alu instid0(SALU_CYCLE_1)
	s_and_b32 vcc_lo, exec_lo, s11
	s_cbranch_vccz .LBB15_1821
; %bb.1806:
	s_cmp_lt_i32 s3, 27
	s_mov_b32 s10, -1
	s_cbranch_scc1 .LBB15_1812
; %bb.1807:
	s_cmp_gt_i32 s3, 27
	s_cbranch_scc0 .LBB15_1809
; %bb.1808:
	s_wait_xcnt 0x0
	v_cvt_u32_f32_e32 v3, v6
	s_mov_b32 s10, 0
	global_store_b32 v[4:5], v3, off
.LBB15_1809:
	s_and_not1_b32 vcc_lo, exec_lo, s10
	s_cbranch_vccnz .LBB15_1811
; %bb.1810:
	s_wait_xcnt 0x0
	v_cvt_u32_f32_e32 v3, v6
	global_store_b16 v[4:5], v3, off
.LBB15_1811:
	s_mov_b32 s10, 0
.LBB15_1812:
	s_delay_alu instid0(SALU_CYCLE_1)
	s_and_not1_b32 vcc_lo, exec_lo, s10
	s_cbranch_vccnz .LBB15_1820
; %bb.1813:
	s_wait_xcnt 0x0
	v_and_b32_e32 v3, 0x7fffffff, v6
	v_mov_b32_e32 v7, 0x80
	s_mov_b32 s10, exec_lo
	s_delay_alu instid0(VALU_DEP_2)
	v_cmpx_gt_u32_e32 0x43800000, v3
	s_cbranch_execz .LBB15_1819
; %bb.1814:
	v_cmp_lt_u32_e32 vcc_lo, 0x3bffffff, v3
	s_mov_b32 s11, 0
                                        ; implicit-def: $vgpr3
	s_and_saveexec_b32 s12, vcc_lo
	s_delay_alu instid0(SALU_CYCLE_1)
	s_xor_b32 s12, exec_lo, s12
	s_cbranch_execz .LBB15_2151
; %bb.1815:
	v_bfe_u32 v3, v6, 20, 1
	s_mov_b32 s11, exec_lo
	s_delay_alu instid0(VALU_DEP_1) | instskip(NEXT) | instid1(VALU_DEP_1)
	v_add3_u32 v3, v6, v3, 0x487ffff
	v_lshrrev_b32_e32 v3, 20, v3
	s_and_not1_saveexec_b32 s12, s12
	s_cbranch_execnz .LBB15_2152
.LBB15_1816:
	s_or_b32 exec_lo, exec_lo, s12
	v_mov_b32_e32 v7, 0
	s_and_saveexec_b32 s12, s11
.LBB15_1817:
	v_lshrrev_b32_e32 v7, 24, v6
	s_delay_alu instid0(VALU_DEP_1)
	v_and_or_b32 v7, 0x80, v7, v3
.LBB15_1818:
	s_or_b32 exec_lo, exec_lo, s12
.LBB15_1819:
	s_delay_alu instid0(SALU_CYCLE_1)
	s_or_b32 exec_lo, exec_lo, s10
	global_store_b8 v[4:5], v7, off
.LBB15_1820:
	s_mov_b32 s10, -1
.LBB15_1821:
	s_mov_b32 s11, 0
.LBB15_1822:
	s_delay_alu instid0(SALU_CYCLE_1)
	s_and_b32 vcc_lo, exec_lo, s11
	s_cbranch_vccz .LBB15_1862
; %bb.1823:
	s_cmp_gt_i32 s3, 22
	s_mov_b32 s7, -1
	s_cbranch_scc0 .LBB15_1855
; %bb.1824:
	s_cmp_lt_i32 s3, 24
	s_cbranch_scc1 .LBB15_1844
; %bb.1825:
	s_cmp_gt_i32 s3, 24
	s_cbranch_scc0 .LBB15_1833
; %bb.1826:
	s_wait_xcnt 0x0
	v_and_b32_e32 v3, 0x7fffffff, v6
	v_mov_b32_e32 v7, 0x80
	s_mov_b32 s7, exec_lo
	s_delay_alu instid0(VALU_DEP_2)
	v_cmpx_gt_u32_e32 0x47800000, v3
	s_cbranch_execz .LBB15_1832
; %bb.1827:
	v_cmp_lt_u32_e32 vcc_lo, 0x37ffffff, v3
	s_mov_b32 s10, 0
                                        ; implicit-def: $vgpr3
	s_and_saveexec_b32 s11, vcc_lo
	s_delay_alu instid0(SALU_CYCLE_1)
	s_xor_b32 s11, exec_lo, s11
	s_cbranch_execz .LBB15_2154
; %bb.1828:
	v_bfe_u32 v3, v6, 21, 1
	s_mov_b32 s10, exec_lo
	s_delay_alu instid0(VALU_DEP_1) | instskip(NEXT) | instid1(VALU_DEP_1)
	v_add3_u32 v3, v6, v3, 0x88fffff
	v_lshrrev_b32_e32 v3, 21, v3
	s_and_not1_saveexec_b32 s11, s11
	s_cbranch_execnz .LBB15_2155
.LBB15_1829:
	s_or_b32 exec_lo, exec_lo, s11
	v_mov_b32_e32 v7, 0
	s_and_saveexec_b32 s11, s10
.LBB15_1830:
	v_lshrrev_b32_e32 v7, 24, v6
	s_delay_alu instid0(VALU_DEP_1)
	v_and_or_b32 v7, 0x80, v7, v3
.LBB15_1831:
	s_or_b32 exec_lo, exec_lo, s11
.LBB15_1832:
	s_delay_alu instid0(SALU_CYCLE_1)
	s_or_b32 exec_lo, exec_lo, s7
	s_mov_b32 s7, 0
	global_store_b8 v[4:5], v7, off
.LBB15_1833:
	s_and_b32 vcc_lo, exec_lo, s7
	s_cbranch_vccz .LBB15_1843
; %bb.1834:
	s_wait_xcnt 0x0
	v_and_b32_e32 v7, 0x7fffffff, v6
	s_mov_b32 s7, exec_lo
                                        ; implicit-def: $vgpr3
	s_delay_alu instid0(VALU_DEP_1)
	v_cmpx_gt_u32_e32 0x43f00000, v7
	s_xor_b32 s7, exec_lo, s7
	s_cbranch_execz .LBB15_1840
; %bb.1835:
	s_mov_b32 s10, exec_lo
                                        ; implicit-def: $vgpr3
	v_cmpx_lt_u32_e32 0x3c7fffff, v7
	s_xor_b32 s10, exec_lo, s10
; %bb.1836:
	v_bfe_u32 v3, v6, 20, 1
	s_delay_alu instid0(VALU_DEP_1) | instskip(NEXT) | instid1(VALU_DEP_1)
	v_add3_u32 v3, v6, v3, 0x407ffff
	v_and_b32_e32 v7, 0xff00000, v3
	v_lshrrev_b32_e32 v3, 20, v3
	s_delay_alu instid0(VALU_DEP_2) | instskip(NEXT) | instid1(VALU_DEP_2)
	v_cmp_ne_u32_e32 vcc_lo, 0x7f00000, v7
	v_cndmask_b32_e32 v3, 0x7e, v3, vcc_lo
; %bb.1837:
	s_and_not1_saveexec_b32 s10, s10
; %bb.1838:
	v_add_f32_e64 v3, 0x46800000, |v6|
; %bb.1839:
	s_or_b32 exec_lo, exec_lo, s10
                                        ; implicit-def: $vgpr7
.LBB15_1840:
	s_and_not1_saveexec_b32 s7, s7
; %bb.1841:
	v_mov_b32_e32 v3, 0x7f
	v_cmp_lt_u32_e32 vcc_lo, 0x7f800000, v7
	s_delay_alu instid0(VALU_DEP_2)
	v_cndmask_b32_e32 v3, 0x7e, v3, vcc_lo
; %bb.1842:
	s_or_b32 exec_lo, exec_lo, s7
	v_lshrrev_b32_e32 v7, 24, v6
	s_delay_alu instid0(VALU_DEP_1)
	v_and_or_b32 v3, 0x80, v7, v3
	global_store_b8 v[4:5], v3, off
.LBB15_1843:
	s_mov_b32 s7, 0
.LBB15_1844:
	s_delay_alu instid0(SALU_CYCLE_1)
	s_and_not1_b32 vcc_lo, exec_lo, s7
	s_cbranch_vccnz .LBB15_1854
; %bb.1845:
	s_wait_xcnt 0x0
	v_and_b32_e32 v7, 0x7fffffff, v6
	s_mov_b32 s7, exec_lo
                                        ; implicit-def: $vgpr3
	s_delay_alu instid0(VALU_DEP_1)
	v_cmpx_gt_u32_e32 0x47800000, v7
	s_xor_b32 s7, exec_lo, s7
	s_cbranch_execz .LBB15_1851
; %bb.1846:
	s_mov_b32 s10, exec_lo
                                        ; implicit-def: $vgpr3
	v_cmpx_lt_u32_e32 0x387fffff, v7
	s_xor_b32 s10, exec_lo, s10
; %bb.1847:
	v_bfe_u32 v3, v6, 21, 1
	s_delay_alu instid0(VALU_DEP_1) | instskip(NEXT) | instid1(VALU_DEP_1)
	v_add3_u32 v3, v6, v3, 0x80fffff
	v_lshrrev_b32_e32 v3, 21, v3
; %bb.1848:
	s_and_not1_saveexec_b32 s10, s10
; %bb.1849:
	v_add_f32_e64 v3, 0x43000000, |v6|
; %bb.1850:
	s_or_b32 exec_lo, exec_lo, s10
                                        ; implicit-def: $vgpr7
.LBB15_1851:
	s_and_not1_saveexec_b32 s7, s7
; %bb.1852:
	v_mov_b32_e32 v3, 0x7f
	v_cmp_lt_u32_e32 vcc_lo, 0x7f800000, v7
	s_delay_alu instid0(VALU_DEP_2)
	v_cndmask_b32_e32 v3, 0x7c, v3, vcc_lo
; %bb.1853:
	s_or_b32 exec_lo, exec_lo, s7
	v_lshrrev_b32_e32 v7, 24, v6
	s_delay_alu instid0(VALU_DEP_1)
	v_and_or_b32 v3, 0x80, v7, v3
	global_store_b8 v[4:5], v3, off
.LBB15_1854:
	s_mov_b32 s7, 0
	s_mov_b32 s10, -1
.LBB15_1855:
	s_and_not1_b32 vcc_lo, exec_lo, s7
	s_mov_b32 s7, 0
	s_cbranch_vccnz .LBB15_1862
; %bb.1856:
	s_cmp_gt_i32 s3, 14
	s_mov_b32 s7, -1
	s_cbranch_scc0 .LBB15_1860
; %bb.1857:
	s_cmp_eq_u32 s3, 15
	s_mov_b32 s0, -1
	s_cbranch_scc0 .LBB15_1859
; %bb.1858:
	s_wait_xcnt 0x0
	v_bfe_u32 v3, v6, 16, 1
	v_cmp_o_f32_e32 vcc_lo, v6, v6
	s_mov_b32 s0, 0
	s_mov_b32 s10, -1
	s_delay_alu instid0(VALU_DEP_2) | instskip(NEXT) | instid1(VALU_DEP_1)
	v_add3_u32 v3, v6, v3, 0x7fff
	v_lshrrev_b32_e32 v3, 16, v3
	s_delay_alu instid0(VALU_DEP_1)
	v_cndmask_b32_e32 v3, 0x7fc0, v3, vcc_lo
	global_store_b16 v[4:5], v3, off
.LBB15_1859:
	s_mov_b32 s7, 0
.LBB15_1860:
	s_delay_alu instid0(SALU_CYCLE_1)
	s_and_b32 vcc_lo, exec_lo, s7
	s_mov_b32 s7, 0
	s_cbranch_vccz .LBB15_1862
; %bb.1861:
	s_cmp_lg_u32 s3, 11
	s_mov_b32 s7, -1
	s_cselect_b32 s0, -1, 0
.LBB15_1862:
	s_delay_alu instid0(SALU_CYCLE_1)
	s_and_b32 vcc_lo, exec_lo, s0
	s_cbranch_vccnz .LBB15_2153
; %bb.1863:
	s_and_not1_b32 vcc_lo, exec_lo, s7
	s_cbranch_vccnz .LBB15_1865
.LBB15_1864:
	v_cmp_neq_f32_e32 vcc_lo, 0, v6
	s_mov_b32 s10, -1
	s_wait_xcnt 0x0
	v_cndmask_b32_e64 v3, 0, 1, vcc_lo
	global_store_b8 v[4:5], v3, off
.LBB15_1865:
.LBB15_1866:
	s_and_not1_b32 vcc_lo, exec_lo, s10
	s_cbranch_vccz .LBB15_1906
	s_branch .LBB15_2100
.LBB15_1867:
	s_and_b32 vcc_lo, exec_lo, s0
	s_cbranch_vccz .LBB15_1866
; %bb.1868:
	s_cmp_lt_i32 s3, 5
	s_mov_b32 s0, -1
	s_cbranch_scc1 .LBB15_1889
; %bb.1869:
	s_cmp_lt_i32 s3, 8
	s_cbranch_scc1 .LBB15_1879
; %bb.1870:
	s_cmp_lt_i32 s3, 9
	s_cbranch_scc1 .LBB15_1876
; %bb.1871:
	s_cmp_gt_i32 s3, 9
	s_cbranch_scc0 .LBB15_1873
; %bb.1872:
	v_cvt_f64_f32_e32 v[12:13], v6
	v_mov_b32_e32 v14, 0
	s_mov_b32 s0, 0
	s_delay_alu instid0(VALU_DEP_1)
	v_mov_b32_e32 v15, v14
	global_store_b128 v[4:5], v[12:15], off
.LBB15_1873:
	s_and_not1_b32 vcc_lo, exec_lo, s0
	s_cbranch_vccnz .LBB15_1875
; %bb.1874:
	s_wait_xcnt 0x0
	v_mov_b32_e32 v7, 0
	global_store_b64 v[4:5], v[6:7], off
.LBB15_1875:
	s_mov_b32 s0, 0
.LBB15_1876:
	s_delay_alu instid0(SALU_CYCLE_1)
	s_and_not1_b32 vcc_lo, exec_lo, s0
	s_cbranch_vccnz .LBB15_1878
; %bb.1877:
	s_wait_xcnt 0x0
	v_cvt_f16_f32_e32 v3, v6
	s_delay_alu instid0(VALU_DEP_1)
	v_and_b32_e32 v3, 0xffff, v3
	global_store_b32 v[4:5], v3, off
.LBB15_1878:
	s_mov_b32 s0, 0
.LBB15_1879:
	s_delay_alu instid0(SALU_CYCLE_1)
	s_and_not1_b32 vcc_lo, exec_lo, s0
	s_cbranch_vccnz .LBB15_1888
; %bb.1880:
	s_cmp_lt_i32 s3, 6
	s_mov_b32 s0, -1
	s_cbranch_scc1 .LBB15_1886
; %bb.1881:
	s_cmp_gt_i32 s3, 6
	s_cbranch_scc0 .LBB15_1883
; %bb.1882:
	s_wait_xcnt 0x0
	v_cvt_f64_f32_e32 v[8:9], v6
	s_mov_b32 s0, 0
	global_store_b64 v[4:5], v[8:9], off
.LBB15_1883:
	s_and_not1_b32 vcc_lo, exec_lo, s0
	s_cbranch_vccnz .LBB15_1885
; %bb.1884:
	global_store_b32 v[4:5], v6, off
.LBB15_1885:
	s_mov_b32 s0, 0
.LBB15_1886:
	s_delay_alu instid0(SALU_CYCLE_1)
	s_and_not1_b32 vcc_lo, exec_lo, s0
	s_cbranch_vccnz .LBB15_1888
; %bb.1887:
	s_wait_xcnt 0x0
	v_cvt_f16_f32_e32 v3, v6
	global_store_b16 v[4:5], v3, off
.LBB15_1888:
	s_mov_b32 s0, 0
.LBB15_1889:
	s_delay_alu instid0(SALU_CYCLE_1)
	s_and_not1_b32 vcc_lo, exec_lo, s0
	s_cbranch_vccnz .LBB15_1905
; %bb.1890:
	s_cmp_lt_i32 s3, 2
	s_mov_b32 s0, -1
	s_cbranch_scc1 .LBB15_1900
; %bb.1891:
	s_cmp_lt_i32 s3, 3
	s_cbranch_scc1 .LBB15_1897
; %bb.1892:
	s_cmp_gt_i32 s3, 3
	s_cbranch_scc0 .LBB15_1894
; %bb.1893:
	s_wait_xcnt 0x0
	v_trunc_f32_e32 v3, v6
	s_mov_b32 s0, 0
	s_delay_alu instid0(VALU_DEP_1) | instskip(SKIP_1) | instid1(VALU_DEP_2)
	v_mul_f32_e64 v7, 0x2f800000, |v3|
	v_ashrrev_i32_e32 v8, 31, v3
	v_floor_f32_e32 v7, v7
	s_delay_alu instid0(VALU_DEP_1) | instskip(SKIP_1) | instid1(VALU_DEP_2)
	v_fma_f32 v9, 0xcf800000, v7, |v3|
	v_cvt_u32_f32_e32 v3, v7
	v_cvt_u32_f32_e32 v7, v9
	s_delay_alu instid0(VALU_DEP_2) | instskip(NEXT) | instid1(VALU_DEP_2)
	v_dual_mov_b32 v9, v8 :: v_dual_bitop2_b32 v13, v3, v8 bitop3:0x14
	v_xor_b32_e32 v12, v7, v8
	s_delay_alu instid0(VALU_DEP_1)
	v_sub_nc_u64_e32 v[8:9], v[12:13], v[8:9]
	global_store_b64 v[4:5], v[8:9], off
.LBB15_1894:
	s_and_not1_b32 vcc_lo, exec_lo, s0
	s_cbranch_vccnz .LBB15_1896
; %bb.1895:
	s_wait_xcnt 0x0
	v_cvt_i32_f32_e32 v3, v6
	global_store_b32 v[4:5], v3, off
.LBB15_1896:
	s_mov_b32 s0, 0
.LBB15_1897:
	s_delay_alu instid0(SALU_CYCLE_1)
	s_and_not1_b32 vcc_lo, exec_lo, s0
	s_cbranch_vccnz .LBB15_1899
; %bb.1898:
	s_wait_xcnt 0x0
	v_cvt_i32_f32_e32 v3, v6
	global_store_b16 v[4:5], v3, off
.LBB15_1899:
	s_mov_b32 s0, 0
.LBB15_1900:
	s_delay_alu instid0(SALU_CYCLE_1)
	s_and_not1_b32 vcc_lo, exec_lo, s0
	s_cbranch_vccnz .LBB15_1905
; %bb.1901:
	s_cmp_gt_i32 s3, 0
	s_mov_b32 s0, -1
	s_cbranch_scc0 .LBB15_1903
; %bb.1902:
	s_wait_xcnt 0x0
	v_cvt_i32_f32_e32 v3, v6
	s_mov_b32 s0, 0
	global_store_b8 v[4:5], v3, off
.LBB15_1903:
	s_and_not1_b32 vcc_lo, exec_lo, s0
	s_cbranch_vccnz .LBB15_1905
; %bb.1904:
	s_wait_xcnt 0x0
	v_trunc_f32_e32 v3, v6
	s_delay_alu instid0(VALU_DEP_1) | instskip(NEXT) | instid1(VALU_DEP_1)
	v_mul_f32_e64 v6, 0x2f800000, |v3|
	v_floor_f32_e32 v6, v6
	s_delay_alu instid0(VALU_DEP_1) | instskip(SKIP_1) | instid1(VALU_DEP_2)
	v_fma_f32 v6, 0xcf800000, v6, |v3|
	v_ashrrev_i32_e32 v3, 31, v3
	v_cvt_u32_f32_e32 v6, v6
	s_delay_alu instid0(VALU_DEP_1) | instskip(NEXT) | instid1(VALU_DEP_1)
	v_xor_b32_e32 v6, v6, v3
	v_sub_nc_u32_e32 v3, v6, v3
	global_store_b8 v[4:5], v3, off
.LBB15_1905:
.LBB15_1906:
	v_cmp_nge_f32_e64 s0, v1, -s2
	v_cmp_nge_f32_e32 vcc_lo, s2, v1
	s_mov_b32 s10, 0
	s_or_b32 vcc_lo, s0, vcc_lo
	s_wait_xcnt 0x0
	v_dual_mov_b32 v3, 0 :: v_dual_cndmask_b32 v4, 0, v1
	s_cmp_lt_i32 s3, 11
	s_mov_b32 s0, -1
	s_delay_alu instid0(VALU_DEP_1)
	v_add_nc_u64_e32 v[2:3], s[4:5], v[2:3]
	s_cbranch_scc1 .LBB15_2061
; %bb.1907:
	s_mov_b32 s11, -1
	s_mov_b32 s7, 0
	s_cmp_gt_i32 s3, 25
	s_mov_b32 s0, 0
	s_cbranch_scc0 .LBB15_1940
; %bb.1908:
	s_cmp_gt_i32 s3, 28
	s_cbranch_scc0 .LBB15_1923
; %bb.1909:
	s_cmp_gt_i32 s3, 43
	;; [unrolled: 3-line block ×3, first 2 shown]
	s_cbranch_scc0 .LBB15_1913
; %bb.1911:
	s_mov_b32 s0, -1
	s_mov_b32 s11, 0
	s_cmp_eq_u32 s3, 46
	s_cbranch_scc0 .LBB15_1913
; %bb.1912:
	v_bfe_u32 v1, v4, 16, 1
	v_cmp_o_f32_e32 vcc_lo, v4, v4
	s_mov_b32 s0, 0
	s_mov_b32 s10, -1
	s_delay_alu instid0(VALU_DEP_2) | instskip(NEXT) | instid1(VALU_DEP_1)
	v_add3_u32 v1, v4, v1, 0x7fff
	v_lshrrev_b32_e32 v1, 16, v1
	s_delay_alu instid0(VALU_DEP_1)
	v_cndmask_b32_e32 v1, 0x7fc0, v1, vcc_lo
	global_store_b32 v[2:3], v1, off
.LBB15_1913:
	s_and_b32 vcc_lo, exec_lo, s11
	s_cbranch_vccz .LBB15_1918
; %bb.1914:
	s_cmp_eq_u32 s3, 44
	s_mov_b32 s0, -1
	s_cbranch_scc0 .LBB15_1918
; %bb.1915:
	v_bfe_u32 v5, v4, 23, 8
	s_wait_xcnt 0x0
	v_mov_b32_e32 v1, 0xff
	s_mov_b32 s10, exec_lo
	s_delay_alu instid0(VALU_DEP_2)
	v_cmpx_ne_u32_e32 0xff, v5
	s_cbranch_execz .LBB15_1917
; %bb.1916:
	v_and_b32_e32 v1, 0x400000, v4
	v_and_or_b32 v5, 0x3fffff, v4, v5
	s_delay_alu instid0(VALU_DEP_2) | instskip(NEXT) | instid1(VALU_DEP_2)
	v_cmp_ne_u32_e32 vcc_lo, 0, v1
	v_cmp_ne_u32_e64 s0, 0, v5
	v_lshrrev_b32_e32 v1, 23, v4
	s_and_b32 s0, vcc_lo, s0
	s_delay_alu instid0(SALU_CYCLE_1) | instskip(NEXT) | instid1(VALU_DEP_1)
	v_cndmask_b32_e64 v5, 0, 1, s0
	v_add_nc_u32_e32 v1, v1, v5
.LBB15_1917:
	s_or_b32 exec_lo, exec_lo, s10
	s_mov_b32 s0, 0
	s_mov_b32 s10, -1
	global_store_b8 v[2:3], v1, off
.LBB15_1918:
	s_mov_b32 s11, 0
.LBB15_1919:
	s_delay_alu instid0(SALU_CYCLE_1)
	s_and_b32 vcc_lo, exec_lo, s11
	s_cbranch_vccz .LBB15_1922
; %bb.1920:
	s_cmp_eq_u32 s3, 29
	s_mov_b32 s0, -1
	s_cbranch_scc0 .LBB15_1922
; %bb.1921:
	s_wait_xcnt 0x0
	v_trunc_f32_e32 v1, v4
	s_mov_b32 s0, 0
	s_mov_b32 s10, -1
	s_delay_alu instid0(VALU_DEP_1) | instskip(NEXT) | instid1(VALU_DEP_1)
	v_mul_f32_e32 v5, 0x2f800000, v1
	v_floor_f32_e32 v5, v5
	s_delay_alu instid0(VALU_DEP_1) | instskip(SKIP_1) | instid1(VALU_DEP_2)
	v_fmamk_f32 v1, v5, 0xcf800000, v1
	v_cvt_u32_f32_e32 v7, v5
	v_cvt_u32_f32_e32 v6, v1
	global_store_b64 v[2:3], v[6:7], off
.LBB15_1922:
	s_mov_b32 s11, 0
.LBB15_1923:
	s_delay_alu instid0(SALU_CYCLE_1)
	s_and_b32 vcc_lo, exec_lo, s11
	s_cbranch_vccz .LBB15_1939
; %bb.1924:
	s_cmp_lt_i32 s3, 27
	s_mov_b32 s10, -1
	s_cbranch_scc1 .LBB15_1930
; %bb.1925:
	s_wait_xcnt 0x0
	v_cvt_u32_f32_e32 v1, v4
	s_cmp_gt_i32 s3, 27
	s_cbranch_scc0 .LBB15_1927
; %bb.1926:
	s_mov_b32 s10, 0
	global_store_b32 v[2:3], v1, off
.LBB15_1927:
	s_and_not1_b32 vcc_lo, exec_lo, s10
	s_cbranch_vccnz .LBB15_1929
; %bb.1928:
	global_store_b16 v[2:3], v1, off
.LBB15_1929:
	s_mov_b32 s10, 0
.LBB15_1930:
	s_delay_alu instid0(SALU_CYCLE_1)
	s_and_not1_b32 vcc_lo, exec_lo, s10
	s_cbranch_vccnz .LBB15_1938
; %bb.1931:
	s_wait_xcnt 0x0
	v_and_b32_e32 v1, 0x7fffffff, v4
	v_mov_b32_e32 v5, 0x80
	s_mov_b32 s10, exec_lo
	s_delay_alu instid0(VALU_DEP_2)
	v_cmpx_gt_u32_e32 0x43800000, v1
	s_cbranch_execz .LBB15_1937
; %bb.1932:
	v_cmp_lt_u32_e32 vcc_lo, 0x3bffffff, v1
	s_mov_b32 s11, 0
                                        ; implicit-def: $vgpr1
	s_and_saveexec_b32 s12, vcc_lo
	s_delay_alu instid0(SALU_CYCLE_1)
	s_xor_b32 s12, exec_lo, s12
	s_cbranch_execz .LBB15_2156
; %bb.1933:
	v_bfe_u32 v1, v4, 20, 1
	s_mov_b32 s11, exec_lo
	s_delay_alu instid0(VALU_DEP_1) | instskip(NEXT) | instid1(VALU_DEP_1)
	v_add3_u32 v1, v4, v1, 0x487ffff
	v_lshrrev_b32_e32 v1, 20, v1
	s_and_not1_saveexec_b32 s12, s12
	s_cbranch_execnz .LBB15_2157
.LBB15_1934:
	s_or_b32 exec_lo, exec_lo, s12
	v_mov_b32_e32 v5, 0
	s_and_saveexec_b32 s12, s11
.LBB15_1935:
	v_lshrrev_b32_e32 v5, 24, v4
	s_delay_alu instid0(VALU_DEP_1)
	v_and_or_b32 v5, 0x80, v5, v1
.LBB15_1936:
	s_or_b32 exec_lo, exec_lo, s12
.LBB15_1937:
	s_delay_alu instid0(SALU_CYCLE_1)
	s_or_b32 exec_lo, exec_lo, s10
	global_store_b8 v[2:3], v5, off
.LBB15_1938:
	s_mov_b32 s10, -1
.LBB15_1939:
	s_mov_b32 s11, 0
.LBB15_1940:
	s_delay_alu instid0(SALU_CYCLE_1)
	s_and_b32 vcc_lo, exec_lo, s11
	s_cbranch_vccz .LBB15_1980
; %bb.1941:
	s_cmp_gt_i32 s3, 22
	s_mov_b32 s7, -1
	s_cbranch_scc0 .LBB15_1973
; %bb.1942:
	s_cmp_lt_i32 s3, 24
	s_cbranch_scc1 .LBB15_1962
; %bb.1943:
	s_cmp_gt_i32 s3, 24
	s_cbranch_scc0 .LBB15_1951
; %bb.1944:
	s_wait_xcnt 0x0
	v_and_b32_e32 v1, 0x7fffffff, v4
	v_mov_b32_e32 v5, 0x80
	s_mov_b32 s7, exec_lo
	s_delay_alu instid0(VALU_DEP_2)
	v_cmpx_gt_u32_e32 0x47800000, v1
	s_cbranch_execz .LBB15_1950
; %bb.1945:
	v_cmp_lt_u32_e32 vcc_lo, 0x37ffffff, v1
	s_mov_b32 s10, 0
                                        ; implicit-def: $vgpr1
	s_and_saveexec_b32 s11, vcc_lo
	s_delay_alu instid0(SALU_CYCLE_1)
	s_xor_b32 s11, exec_lo, s11
	s_cbranch_execz .LBB15_2159
; %bb.1946:
	v_bfe_u32 v1, v4, 21, 1
	s_mov_b32 s10, exec_lo
	s_delay_alu instid0(VALU_DEP_1) | instskip(NEXT) | instid1(VALU_DEP_1)
	v_add3_u32 v1, v4, v1, 0x88fffff
	v_lshrrev_b32_e32 v1, 21, v1
	s_and_not1_saveexec_b32 s11, s11
	s_cbranch_execnz .LBB15_2160
.LBB15_1947:
	s_or_b32 exec_lo, exec_lo, s11
	v_mov_b32_e32 v5, 0
	s_and_saveexec_b32 s11, s10
.LBB15_1948:
	v_lshrrev_b32_e32 v5, 24, v4
	s_delay_alu instid0(VALU_DEP_1)
	v_and_or_b32 v5, 0x80, v5, v1
.LBB15_1949:
	s_or_b32 exec_lo, exec_lo, s11
.LBB15_1950:
	s_delay_alu instid0(SALU_CYCLE_1)
	s_or_b32 exec_lo, exec_lo, s7
	s_mov_b32 s7, 0
	global_store_b8 v[2:3], v5, off
.LBB15_1951:
	s_and_b32 vcc_lo, exec_lo, s7
	s_cbranch_vccz .LBB15_1961
; %bb.1952:
	s_wait_xcnt 0x0
	v_and_b32_e32 v5, 0x7fffffff, v4
	s_mov_b32 s7, exec_lo
                                        ; implicit-def: $vgpr1
	s_delay_alu instid0(VALU_DEP_1)
	v_cmpx_gt_u32_e32 0x43f00000, v5
	s_xor_b32 s7, exec_lo, s7
	s_cbranch_execz .LBB15_1958
; %bb.1953:
	s_mov_b32 s10, exec_lo
                                        ; implicit-def: $vgpr1
	v_cmpx_lt_u32_e32 0x3c7fffff, v5
	s_xor_b32 s10, exec_lo, s10
; %bb.1954:
	v_bfe_u32 v1, v4, 20, 1
	s_delay_alu instid0(VALU_DEP_1) | instskip(NEXT) | instid1(VALU_DEP_1)
	v_add3_u32 v1, v4, v1, 0x407ffff
	v_and_b32_e32 v5, 0xff00000, v1
	v_lshrrev_b32_e32 v1, 20, v1
	s_delay_alu instid0(VALU_DEP_2) | instskip(NEXT) | instid1(VALU_DEP_2)
	v_cmp_ne_u32_e32 vcc_lo, 0x7f00000, v5
	v_cndmask_b32_e32 v1, 0x7e, v1, vcc_lo
; %bb.1955:
	s_and_not1_saveexec_b32 s10, s10
; %bb.1956:
	v_add_f32_e64 v1, 0x46800000, |v4|
; %bb.1957:
	s_or_b32 exec_lo, exec_lo, s10
                                        ; implicit-def: $vgpr5
.LBB15_1958:
	s_and_not1_saveexec_b32 s7, s7
; %bb.1959:
	v_mov_b32_e32 v1, 0x7f
	v_cmp_lt_u32_e32 vcc_lo, 0x7f800000, v5
	s_delay_alu instid0(VALU_DEP_2)
	v_cndmask_b32_e32 v1, 0x7e, v1, vcc_lo
; %bb.1960:
	s_or_b32 exec_lo, exec_lo, s7
	v_lshrrev_b32_e32 v5, 24, v4
	s_delay_alu instid0(VALU_DEP_1)
	v_and_or_b32 v1, 0x80, v5, v1
	global_store_b8 v[2:3], v1, off
.LBB15_1961:
	s_mov_b32 s7, 0
.LBB15_1962:
	s_delay_alu instid0(SALU_CYCLE_1)
	s_and_not1_b32 vcc_lo, exec_lo, s7
	s_cbranch_vccnz .LBB15_1972
; %bb.1963:
	s_wait_xcnt 0x0
	v_and_b32_e32 v5, 0x7fffffff, v4
	s_mov_b32 s7, exec_lo
                                        ; implicit-def: $vgpr1
	s_delay_alu instid0(VALU_DEP_1)
	v_cmpx_gt_u32_e32 0x47800000, v5
	s_xor_b32 s7, exec_lo, s7
	s_cbranch_execz .LBB15_1969
; %bb.1964:
	s_mov_b32 s10, exec_lo
                                        ; implicit-def: $vgpr1
	v_cmpx_lt_u32_e32 0x387fffff, v5
	s_xor_b32 s10, exec_lo, s10
; %bb.1965:
	v_bfe_u32 v1, v4, 21, 1
	s_delay_alu instid0(VALU_DEP_1) | instskip(NEXT) | instid1(VALU_DEP_1)
	v_add3_u32 v1, v4, v1, 0x80fffff
	v_lshrrev_b32_e32 v1, 21, v1
; %bb.1966:
	s_and_not1_saveexec_b32 s10, s10
; %bb.1967:
	v_add_f32_e64 v1, 0x43000000, |v4|
; %bb.1968:
	s_or_b32 exec_lo, exec_lo, s10
                                        ; implicit-def: $vgpr5
.LBB15_1969:
	s_and_not1_saveexec_b32 s7, s7
; %bb.1970:
	v_mov_b32_e32 v1, 0x7f
	v_cmp_lt_u32_e32 vcc_lo, 0x7f800000, v5
	s_delay_alu instid0(VALU_DEP_2)
	v_cndmask_b32_e32 v1, 0x7c, v1, vcc_lo
; %bb.1971:
	s_or_b32 exec_lo, exec_lo, s7
	v_lshrrev_b32_e32 v5, 24, v4
	s_delay_alu instid0(VALU_DEP_1)
	v_and_or_b32 v1, 0x80, v5, v1
	global_store_b8 v[2:3], v1, off
.LBB15_1972:
	s_mov_b32 s7, 0
	s_mov_b32 s10, -1
.LBB15_1973:
	s_and_not1_b32 vcc_lo, exec_lo, s7
	s_mov_b32 s7, 0
	s_cbranch_vccnz .LBB15_1980
; %bb.1974:
	s_cmp_gt_i32 s3, 14
	s_mov_b32 s7, -1
	s_cbranch_scc0 .LBB15_1978
; %bb.1975:
	s_cmp_eq_u32 s3, 15
	s_mov_b32 s0, -1
	s_cbranch_scc0 .LBB15_1977
; %bb.1976:
	s_wait_xcnt 0x0
	v_bfe_u32 v1, v4, 16, 1
	v_cmp_o_f32_e32 vcc_lo, v4, v4
	s_mov_b32 s0, 0
	s_mov_b32 s10, -1
	s_delay_alu instid0(VALU_DEP_2) | instskip(NEXT) | instid1(VALU_DEP_1)
	v_add3_u32 v1, v4, v1, 0x7fff
	v_lshrrev_b32_e32 v1, 16, v1
	s_delay_alu instid0(VALU_DEP_1)
	v_cndmask_b32_e32 v1, 0x7fc0, v1, vcc_lo
	global_store_b16 v[2:3], v1, off
.LBB15_1977:
	s_mov_b32 s7, 0
.LBB15_1978:
	s_delay_alu instid0(SALU_CYCLE_1)
	s_and_b32 vcc_lo, exec_lo, s7
	s_mov_b32 s7, 0
	s_cbranch_vccz .LBB15_1980
; %bb.1979:
	s_cmp_lg_u32 s3, 11
	s_mov_b32 s7, -1
	s_cselect_b32 s0, -1, 0
.LBB15_1980:
	s_delay_alu instid0(SALU_CYCLE_1)
	s_and_b32 vcc_lo, exec_lo, s0
	s_cbranch_vccnz .LBB15_2158
; %bb.1981:
	s_and_not1_b32 vcc_lo, exec_lo, s7
	s_cbranch_vccnz .LBB15_1983
.LBB15_1982:
	v_cmp_neq_f32_e32 vcc_lo, 0, v4
	s_mov_b32 s10, -1
	s_wait_xcnt 0x0
	v_cndmask_b32_e64 v1, 0, 1, vcc_lo
	global_store_b8 v[2:3], v1, off
.LBB15_1983:
.LBB15_1984:
	s_and_not1_b32 vcc_lo, exec_lo, s10
	s_cbranch_vccnz .LBB15_2100
.LBB15_1985:
	v_cmp_nge_f32_e64 s0, v10, -s2
	v_cmp_nge_f32_e32 vcc_lo, s2, v10
	s_mov_b32 s2, 0
	s_or_b32 vcc_lo, s0, vcc_lo
	s_wait_xcnt 0x0
	v_dual_mov_b32 v1, 0 :: v_dual_cndmask_b32 v4, 0, v10
	s_cmp_lt_i32 s3, 11
	s_mov_b32 s0, -1
	s_delay_alu instid0(VALU_DEP_1)
	v_add_nc_u64_e32 v[2:3], s[4:5], v[0:1]
	s_cbranch_scc1 .LBB15_2101
; %bb.1986:
	s_mov_b32 s4, -1
	s_cmp_gt_i32 s3, 25
	s_mov_b32 s0, 0
	s_cbranch_scc0 .LBB15_2019
; %bb.1987:
	s_cmp_gt_i32 s3, 28
	s_cbranch_scc0 .LBB15_2003
; %bb.1988:
	s_cmp_gt_i32 s3, 43
	;; [unrolled: 3-line block ×3, first 2 shown]
	s_cbranch_scc0 .LBB15_1993
; %bb.1990:
	s_cmp_eq_u32 s3, 46
	s_mov_b32 s0, -1
	s_cbranch_scc0 .LBB15_1992
; %bb.1991:
	v_bfe_u32 v0, v4, 16, 1
	v_cmp_o_f32_e32 vcc_lo, v4, v4
	s_mov_b32 s0, 0
	s_delay_alu instid0(VALU_DEP_2) | instskip(NEXT) | instid1(VALU_DEP_1)
	v_add3_u32 v0, v4, v0, 0x7fff
	v_lshrrev_b32_e32 v0, 16, v0
	s_delay_alu instid0(VALU_DEP_1)
	v_cndmask_b32_e32 v0, 0x7fc0, v0, vcc_lo
	global_store_b32 v[2:3], v0, off
.LBB15_1992:
	s_mov_b32 s4, 0
.LBB15_1993:
	s_delay_alu instid0(SALU_CYCLE_1)
	s_and_b32 vcc_lo, exec_lo, s4
	s_cbranch_vccz .LBB15_1998
; %bb.1994:
	s_cmp_eq_u32 s3, 44
	s_mov_b32 s0, -1
	s_cbranch_scc0 .LBB15_1998
; %bb.1995:
	v_bfe_u32 v1, v4, 23, 8
	s_wait_xcnt 0x0
	v_mov_b32_e32 v0, 0xff
	s_mov_b32 s4, exec_lo
	s_delay_alu instid0(VALU_DEP_2)
	v_cmpx_ne_u32_e32 0xff, v1
	s_cbranch_execz .LBB15_1997
; %bb.1996:
	v_and_b32_e32 v0, 0x400000, v4
	v_and_or_b32 v1, 0x3fffff, v4, v1
	s_delay_alu instid0(VALU_DEP_2) | instskip(NEXT) | instid1(VALU_DEP_2)
	v_cmp_ne_u32_e32 vcc_lo, 0, v0
	v_cmp_ne_u32_e64 s0, 0, v1
	v_lshrrev_b32_e32 v0, 23, v4
	s_and_b32 s0, vcc_lo, s0
	s_delay_alu instid0(SALU_CYCLE_1) | instskip(NEXT) | instid1(VALU_DEP_1)
	v_cndmask_b32_e64 v1, 0, 1, s0
	v_add_nc_u32_e32 v0, v0, v1
.LBB15_1997:
	s_or_b32 exec_lo, exec_lo, s4
	s_mov_b32 s0, 0
	global_store_b8 v[2:3], v0, off
.LBB15_1998:
	s_mov_b32 s4, 0
.LBB15_1999:
	s_delay_alu instid0(SALU_CYCLE_1)
	s_and_b32 vcc_lo, exec_lo, s4
	s_cbranch_vccz .LBB15_2002
; %bb.2000:
	s_cmp_eq_u32 s3, 29
	s_mov_b32 s0, -1
	s_cbranch_scc0 .LBB15_2002
; %bb.2001:
	s_wait_xcnt 0x0
	v_trunc_f32_e32 v0, v4
	s_mov_b32 s0, 0
	s_delay_alu instid0(VALU_DEP_1) | instskip(NEXT) | instid1(VALU_DEP_1)
	v_mul_f32_e32 v1, 0x2f800000, v0
	v_floor_f32_e32 v1, v1
	s_delay_alu instid0(VALU_DEP_1) | instskip(SKIP_1) | instid1(VALU_DEP_2)
	v_fmamk_f32 v0, v1, 0xcf800000, v0
	v_cvt_u32_f32_e32 v1, v1
	v_cvt_u32_f32_e32 v0, v0
	global_store_b64 v[2:3], v[0:1], off
.LBB15_2002:
	s_mov_b32 s4, 0
.LBB15_2003:
	s_delay_alu instid0(SALU_CYCLE_1)
	s_and_b32 vcc_lo, exec_lo, s4
	s_cbranch_vccz .LBB15_2018
; %bb.2004:
	s_cmp_lt_i32 s3, 27
	s_mov_b32 s4, -1
	s_cbranch_scc1 .LBB15_2010
; %bb.2005:
	s_cmp_gt_i32 s3, 27
	s_cbranch_scc0 .LBB15_2007
; %bb.2006:
	s_wait_xcnt 0x0
	v_cvt_u32_f32_e32 v0, v4
	s_mov_b32 s4, 0
	global_store_b32 v[2:3], v0, off
.LBB15_2007:
	s_and_not1_b32 vcc_lo, exec_lo, s4
	s_cbranch_vccnz .LBB15_2009
; %bb.2008:
	s_wait_xcnt 0x0
	v_cvt_u32_f32_e32 v0, v4
	global_store_b16 v[2:3], v0, off
.LBB15_2009:
	s_mov_b32 s4, 0
.LBB15_2010:
	s_delay_alu instid0(SALU_CYCLE_1)
	s_and_not1_b32 vcc_lo, exec_lo, s4
	s_cbranch_vccnz .LBB15_2018
; %bb.2011:
	s_wait_xcnt 0x0
	v_and_b32_e32 v0, 0x7fffffff, v4
	v_mov_b32_e32 v1, 0x80
	s_mov_b32 s4, exec_lo
	s_delay_alu instid0(VALU_DEP_2)
	v_cmpx_gt_u32_e32 0x43800000, v0
	s_cbranch_execz .LBB15_2017
; %bb.2012:
	v_cmp_lt_u32_e32 vcc_lo, 0x3bffffff, v0
	s_mov_b32 s5, 0
                                        ; implicit-def: $vgpr0
	s_and_saveexec_b32 s7, vcc_lo
	s_delay_alu instid0(SALU_CYCLE_1)
	s_xor_b32 s7, exec_lo, s7
	s_cbranch_execz .LBB15_2161
; %bb.2013:
	v_bfe_u32 v0, v4, 20, 1
	s_mov_b32 s5, exec_lo
	s_delay_alu instid0(VALU_DEP_1) | instskip(NEXT) | instid1(VALU_DEP_1)
	v_add3_u32 v0, v4, v0, 0x487ffff
	v_lshrrev_b32_e32 v0, 20, v0
	s_and_not1_saveexec_b32 s7, s7
	s_cbranch_execnz .LBB15_2162
.LBB15_2014:
	s_or_b32 exec_lo, exec_lo, s7
	v_mov_b32_e32 v1, 0
	s_and_saveexec_b32 s7, s5
.LBB15_2015:
	v_lshrrev_b32_e32 v1, 24, v4
	s_delay_alu instid0(VALU_DEP_1)
	v_and_or_b32 v1, 0x80, v1, v0
.LBB15_2016:
	s_or_b32 exec_lo, exec_lo, s7
.LBB15_2017:
	s_delay_alu instid0(SALU_CYCLE_1)
	s_or_b32 exec_lo, exec_lo, s4
	global_store_b8 v[2:3], v1, off
.LBB15_2018:
	s_mov_b32 s4, 0
.LBB15_2019:
	s_delay_alu instid0(SALU_CYCLE_1)
	s_and_b32 vcc_lo, exec_lo, s4
	s_cbranch_vccz .LBB15_2059
; %bb.2020:
	s_cmp_gt_i32 s3, 22
	s_mov_b32 s2, -1
	s_cbranch_scc0 .LBB15_2052
; %bb.2021:
	s_cmp_lt_i32 s3, 24
	s_cbranch_scc1 .LBB15_2041
; %bb.2022:
	s_cmp_gt_i32 s3, 24
	s_cbranch_scc0 .LBB15_2030
; %bb.2023:
	s_wait_xcnt 0x0
	v_and_b32_e32 v0, 0x7fffffff, v4
	v_mov_b32_e32 v1, 0x80
	s_mov_b32 s2, exec_lo
	s_delay_alu instid0(VALU_DEP_2)
	v_cmpx_gt_u32_e32 0x47800000, v0
	s_cbranch_execz .LBB15_2029
; %bb.2024:
	v_cmp_lt_u32_e32 vcc_lo, 0x37ffffff, v0
	s_mov_b32 s4, 0
                                        ; implicit-def: $vgpr0
	s_and_saveexec_b32 s5, vcc_lo
	s_delay_alu instid0(SALU_CYCLE_1)
	s_xor_b32 s5, exec_lo, s5
	s_cbranch_execz .LBB15_2164
; %bb.2025:
	v_bfe_u32 v0, v4, 21, 1
	s_mov_b32 s4, exec_lo
	s_delay_alu instid0(VALU_DEP_1) | instskip(NEXT) | instid1(VALU_DEP_1)
	v_add3_u32 v0, v4, v0, 0x88fffff
	v_lshrrev_b32_e32 v0, 21, v0
	s_and_not1_saveexec_b32 s5, s5
	s_cbranch_execnz .LBB15_2165
.LBB15_2026:
	s_or_b32 exec_lo, exec_lo, s5
	v_mov_b32_e32 v1, 0
	s_and_saveexec_b32 s5, s4
.LBB15_2027:
	v_lshrrev_b32_e32 v1, 24, v4
	s_delay_alu instid0(VALU_DEP_1)
	v_and_or_b32 v1, 0x80, v1, v0
.LBB15_2028:
	s_or_b32 exec_lo, exec_lo, s5
.LBB15_2029:
	s_delay_alu instid0(SALU_CYCLE_1)
	s_or_b32 exec_lo, exec_lo, s2
	s_mov_b32 s2, 0
	global_store_b8 v[2:3], v1, off
.LBB15_2030:
	s_and_b32 vcc_lo, exec_lo, s2
	s_cbranch_vccz .LBB15_2040
; %bb.2031:
	s_wait_xcnt 0x0
	v_and_b32_e32 v1, 0x7fffffff, v4
	s_mov_b32 s2, exec_lo
                                        ; implicit-def: $vgpr0
	s_delay_alu instid0(VALU_DEP_1)
	v_cmpx_gt_u32_e32 0x43f00000, v1
	s_xor_b32 s2, exec_lo, s2
	s_cbranch_execz .LBB15_2037
; %bb.2032:
	s_mov_b32 s4, exec_lo
                                        ; implicit-def: $vgpr0
	v_cmpx_lt_u32_e32 0x3c7fffff, v1
	s_xor_b32 s4, exec_lo, s4
; %bb.2033:
	v_bfe_u32 v0, v4, 20, 1
	s_delay_alu instid0(VALU_DEP_1) | instskip(NEXT) | instid1(VALU_DEP_1)
	v_add3_u32 v0, v4, v0, 0x407ffff
	v_and_b32_e32 v1, 0xff00000, v0
	v_lshrrev_b32_e32 v0, 20, v0
	s_delay_alu instid0(VALU_DEP_2) | instskip(NEXT) | instid1(VALU_DEP_2)
	v_cmp_ne_u32_e32 vcc_lo, 0x7f00000, v1
	v_cndmask_b32_e32 v0, 0x7e, v0, vcc_lo
; %bb.2034:
	s_and_not1_saveexec_b32 s4, s4
; %bb.2035:
	v_add_f32_e64 v0, 0x46800000, |v4|
; %bb.2036:
	s_or_b32 exec_lo, exec_lo, s4
                                        ; implicit-def: $vgpr1
.LBB15_2037:
	s_and_not1_saveexec_b32 s2, s2
; %bb.2038:
	v_mov_b32_e32 v0, 0x7f
	v_cmp_lt_u32_e32 vcc_lo, 0x7f800000, v1
	s_delay_alu instid0(VALU_DEP_2)
	v_cndmask_b32_e32 v0, 0x7e, v0, vcc_lo
; %bb.2039:
	s_or_b32 exec_lo, exec_lo, s2
	v_lshrrev_b32_e32 v1, 24, v4
	s_delay_alu instid0(VALU_DEP_1)
	v_and_or_b32 v0, 0x80, v1, v0
	global_store_b8 v[2:3], v0, off
.LBB15_2040:
	s_mov_b32 s2, 0
.LBB15_2041:
	s_delay_alu instid0(SALU_CYCLE_1)
	s_and_not1_b32 vcc_lo, exec_lo, s2
	s_cbranch_vccnz .LBB15_2051
; %bb.2042:
	s_wait_xcnt 0x0
	v_and_b32_e32 v1, 0x7fffffff, v4
	s_mov_b32 s2, exec_lo
                                        ; implicit-def: $vgpr0
	s_delay_alu instid0(VALU_DEP_1)
	v_cmpx_gt_u32_e32 0x47800000, v1
	s_xor_b32 s2, exec_lo, s2
	s_cbranch_execz .LBB15_2048
; %bb.2043:
	s_mov_b32 s4, exec_lo
                                        ; implicit-def: $vgpr0
	v_cmpx_lt_u32_e32 0x387fffff, v1
	s_xor_b32 s4, exec_lo, s4
; %bb.2044:
	v_bfe_u32 v0, v4, 21, 1
	s_delay_alu instid0(VALU_DEP_1) | instskip(NEXT) | instid1(VALU_DEP_1)
	v_add3_u32 v0, v4, v0, 0x80fffff
	v_lshrrev_b32_e32 v0, 21, v0
; %bb.2045:
	s_and_not1_saveexec_b32 s4, s4
; %bb.2046:
	v_add_f32_e64 v0, 0x43000000, |v4|
; %bb.2047:
	s_or_b32 exec_lo, exec_lo, s4
                                        ; implicit-def: $vgpr1
.LBB15_2048:
	s_and_not1_saveexec_b32 s2, s2
; %bb.2049:
	v_mov_b32_e32 v0, 0x7f
	v_cmp_lt_u32_e32 vcc_lo, 0x7f800000, v1
	s_delay_alu instid0(VALU_DEP_2)
	v_cndmask_b32_e32 v0, 0x7c, v0, vcc_lo
; %bb.2050:
	s_or_b32 exec_lo, exec_lo, s2
	v_lshrrev_b32_e32 v1, 24, v4
	s_delay_alu instid0(VALU_DEP_1)
	v_and_or_b32 v0, 0x80, v1, v0
	global_store_b8 v[2:3], v0, off
.LBB15_2051:
	s_mov_b32 s2, 0
.LBB15_2052:
	s_delay_alu instid0(SALU_CYCLE_1)
	s_and_not1_b32 vcc_lo, exec_lo, s2
	s_mov_b32 s2, 0
	s_cbranch_vccnz .LBB15_2059
; %bb.2053:
	s_cmp_gt_i32 s3, 14
	s_mov_b32 s2, -1
	s_cbranch_scc0 .LBB15_2057
; %bb.2054:
	s_cmp_eq_u32 s3, 15
	s_mov_b32 s0, -1
	s_cbranch_scc0 .LBB15_2056
; %bb.2055:
	s_wait_xcnt 0x0
	v_bfe_u32 v0, v4, 16, 1
	v_cmp_o_f32_e32 vcc_lo, v4, v4
	s_mov_b32 s0, 0
	s_delay_alu instid0(VALU_DEP_2) | instskip(NEXT) | instid1(VALU_DEP_1)
	v_add3_u32 v0, v4, v0, 0x7fff
	v_lshrrev_b32_e32 v0, 16, v0
	s_delay_alu instid0(VALU_DEP_1)
	v_cndmask_b32_e32 v0, 0x7fc0, v0, vcc_lo
	global_store_b16 v[2:3], v0, off
.LBB15_2056:
	s_mov_b32 s2, 0
.LBB15_2057:
	s_delay_alu instid0(SALU_CYCLE_1)
	s_and_b32 vcc_lo, exec_lo, s2
	s_mov_b32 s2, 0
	s_cbranch_vccz .LBB15_2059
; %bb.2058:
	s_cmp_lg_u32 s3, 11
	s_mov_b32 s2, -1
	s_cselect_b32 s0, -1, 0
.LBB15_2059:
	s_delay_alu instid0(SALU_CYCLE_1)
	s_and_b32 vcc_lo, exec_lo, s0
	s_cbranch_vccnz .LBB15_2163
.LBB15_2060:
	s_mov_b32 s0, 0
	s_branch .LBB15_2101
.LBB15_2061:
	s_and_b32 vcc_lo, exec_lo, s0
	s_cbranch_vccz .LBB15_1984
; %bb.2062:
	s_cmp_lt_i32 s3, 5
	s_mov_b32 s0, -1
	s_cbranch_scc1 .LBB15_2083
; %bb.2063:
	s_cmp_lt_i32 s3, 8
	s_cbranch_scc1 .LBB15_2073
; %bb.2064:
	s_cmp_lt_i32 s3, 9
	s_cbranch_scc1 .LBB15_2070
; %bb.2065:
	s_cmp_gt_i32 s3, 9
	s_cbranch_scc0 .LBB15_2067
; %bb.2066:
	s_wait_xcnt 0x0
	v_cvt_f64_f32_e32 v[6:7], v4
	v_mov_b32_e32 v8, 0
	s_mov_b32 s0, 0
	s_delay_alu instid0(VALU_DEP_1)
	v_mov_b32_e32 v9, v8
	global_store_b128 v[2:3], v[6:9], off
.LBB15_2067:
	s_and_not1_b32 vcc_lo, exec_lo, s0
	s_cbranch_vccnz .LBB15_2069
; %bb.2068:
	s_wait_xcnt 0x0
	v_mov_b32_e32 v5, 0
	global_store_b64 v[2:3], v[4:5], off
.LBB15_2069:
	s_mov_b32 s0, 0
.LBB15_2070:
	s_delay_alu instid0(SALU_CYCLE_1)
	s_and_not1_b32 vcc_lo, exec_lo, s0
	s_cbranch_vccnz .LBB15_2072
; %bb.2071:
	s_wait_xcnt 0x0
	v_cvt_f16_f32_e32 v1, v4
	s_delay_alu instid0(VALU_DEP_1)
	v_and_b32_e32 v1, 0xffff, v1
	global_store_b32 v[2:3], v1, off
.LBB15_2072:
	s_mov_b32 s0, 0
.LBB15_2073:
	s_delay_alu instid0(SALU_CYCLE_1)
	s_and_not1_b32 vcc_lo, exec_lo, s0
	s_cbranch_vccnz .LBB15_2082
; %bb.2074:
	s_cmp_lt_i32 s3, 6
	s_mov_b32 s0, -1
	s_cbranch_scc1 .LBB15_2080
; %bb.2075:
	s_cmp_gt_i32 s3, 6
	s_cbranch_scc0 .LBB15_2077
; %bb.2076:
	s_wait_xcnt 0x0
	v_cvt_f64_f32_e32 v[6:7], v4
	s_mov_b32 s0, 0
	global_store_b64 v[2:3], v[6:7], off
.LBB15_2077:
	s_and_not1_b32 vcc_lo, exec_lo, s0
	s_cbranch_vccnz .LBB15_2079
; %bb.2078:
	global_store_b32 v[2:3], v4, off
.LBB15_2079:
	s_mov_b32 s0, 0
.LBB15_2080:
	s_delay_alu instid0(SALU_CYCLE_1)
	s_and_not1_b32 vcc_lo, exec_lo, s0
	s_cbranch_vccnz .LBB15_2082
; %bb.2081:
	s_wait_xcnt 0x0
	v_cvt_f16_f32_e32 v1, v4
	global_store_b16 v[2:3], v1, off
.LBB15_2082:
	s_mov_b32 s0, 0
.LBB15_2083:
	s_delay_alu instid0(SALU_CYCLE_1)
	s_and_not1_b32 vcc_lo, exec_lo, s0
	s_cbranch_vccnz .LBB15_2099
; %bb.2084:
	s_cmp_lt_i32 s3, 2
	s_mov_b32 s0, -1
	s_cbranch_scc1 .LBB15_2094
; %bb.2085:
	s_cmp_lt_i32 s3, 3
	s_cbranch_scc1 .LBB15_2091
; %bb.2086:
	s_cmp_gt_i32 s3, 3
	s_cbranch_scc0 .LBB15_2088
; %bb.2087:
	s_wait_xcnt 0x0
	v_trunc_f32_e32 v1, v4
	s_mov_b32 s0, 0
	s_delay_alu instid0(VALU_DEP_1) | instskip(SKIP_1) | instid1(VALU_DEP_2)
	v_mul_f32_e64 v5, 0x2f800000, |v1|
	v_ashrrev_i32_e32 v6, 31, v1
	v_floor_f32_e32 v5, v5
	s_delay_alu instid0(VALU_DEP_1) | instskip(SKIP_1) | instid1(VALU_DEP_2)
	v_fma_f32 v7, 0xcf800000, v5, |v1|
	v_cvt_u32_f32_e32 v1, v5
	v_cvt_u32_f32_e32 v5, v7
	s_delay_alu instid0(VALU_DEP_2) | instskip(NEXT) | instid1(VALU_DEP_2)
	v_dual_mov_b32 v7, v6 :: v_dual_bitop2_b32 v9, v1, v6 bitop3:0x14
	v_xor_b32_e32 v8, v5, v6
	s_delay_alu instid0(VALU_DEP_1)
	v_sub_nc_u64_e32 v[6:7], v[8:9], v[6:7]
	global_store_b64 v[2:3], v[6:7], off
.LBB15_2088:
	s_and_not1_b32 vcc_lo, exec_lo, s0
	s_cbranch_vccnz .LBB15_2090
; %bb.2089:
	s_wait_xcnt 0x0
	v_cvt_i32_f32_e32 v1, v4
	global_store_b32 v[2:3], v1, off
.LBB15_2090:
	s_mov_b32 s0, 0
.LBB15_2091:
	s_delay_alu instid0(SALU_CYCLE_1)
	s_and_not1_b32 vcc_lo, exec_lo, s0
	s_cbranch_vccnz .LBB15_2093
; %bb.2092:
	s_wait_xcnt 0x0
	v_cvt_i32_f32_e32 v1, v4
	global_store_b16 v[2:3], v1, off
.LBB15_2093:
	s_mov_b32 s0, 0
.LBB15_2094:
	s_delay_alu instid0(SALU_CYCLE_1)
	s_and_not1_b32 vcc_lo, exec_lo, s0
	s_cbranch_vccnz .LBB15_2099
; %bb.2095:
	s_cmp_gt_i32 s3, 0
	s_mov_b32 s0, -1
	s_cbranch_scc0 .LBB15_2097
; %bb.2096:
	s_wait_xcnt 0x0
	v_cvt_i32_f32_e32 v1, v4
	s_mov_b32 s0, 0
	global_store_b8 v[2:3], v1, off
.LBB15_2097:
	s_and_not1_b32 vcc_lo, exec_lo, s0
	s_cbranch_vccnz .LBB15_2099
; %bb.2098:
	s_wait_xcnt 0x0
	v_trunc_f32_e32 v1, v4
	s_delay_alu instid0(VALU_DEP_1) | instskip(NEXT) | instid1(VALU_DEP_1)
	v_mul_f32_e64 v4, 0x2f800000, |v1|
	v_floor_f32_e32 v4, v4
	s_delay_alu instid0(VALU_DEP_1) | instskip(SKIP_1) | instid1(VALU_DEP_2)
	v_fma_f32 v4, 0xcf800000, v4, |v1|
	v_ashrrev_i32_e32 v1, 31, v1
	v_cvt_u32_f32_e32 v4, v4
	s_delay_alu instid0(VALU_DEP_1) | instskip(NEXT) | instid1(VALU_DEP_1)
	v_xor_b32_e32 v4, v4, v1
	v_sub_nc_u32_e32 v1, v4, v1
	global_store_b8 v[2:3], v1, off
.LBB15_2099:
	s_branch .LBB15_1985
.LBB15_2100:
	s_mov_b32 s0, 0
	s_mov_b32 s2, 0
                                        ; implicit-def: $vgpr2_vgpr3
                                        ; implicit-def: $sgpr6
                                        ; implicit-def: $vgpr4
.LBB15_2101:
	s_and_not1_b32 s3, s8, exec_lo
	s_and_b32 s1, s1, exec_lo
	s_and_b32 s0, s0, exec_lo
	;; [unrolled: 1-line block ×3, first 2 shown]
	s_or_b32 s8, s3, s1
.LBB15_2102:
	s_wait_xcnt 0x0
	s_or_b32 exec_lo, exec_lo, s9
	s_and_saveexec_b32 s1, s8
	s_cbranch_execz .LBB15_2105
; %bb.2103:
	; divergent unreachable
	s_or_b32 exec_lo, exec_lo, s1
	s_and_saveexec_b32 s1, s33
	s_delay_alu instid0(SALU_CYCLE_1)
	s_xor_b32 s1, exec_lo, s1
	s_cbranch_execnz .LBB15_2106
.LBB15_2104:
	s_or_b32 exec_lo, exec_lo, s1
	s_and_saveexec_b32 s1, s0
	s_cbranch_execnz .LBB15_2107
	s_branch .LBB15_2144
.LBB15_2105:
	s_or_b32 exec_lo, exec_lo, s1
	s_and_saveexec_b32 s1, s33
	s_delay_alu instid0(SALU_CYCLE_1)
	s_xor_b32 s1, exec_lo, s1
	s_cbranch_execz .LBB15_2104
.LBB15_2106:
	v_cmp_neq_f32_e32 vcc_lo, 0, v4
	v_cndmask_b32_e64 v0, 0, 1, vcc_lo
	s_wait_loadcnt 0x0
	global_store_b8 v[2:3], v0, off
	s_wait_xcnt 0x0
	s_or_b32 exec_lo, exec_lo, s1
	s_and_saveexec_b32 s1, s0
	s_cbranch_execz .LBB15_2144
.LBB15_2107:
	s_sext_i32_i16 s1, s6
	s_mov_b32 s0, -1
	s_cmp_lt_i32 s1, 5
	s_cbranch_scc1 .LBB15_2128
; %bb.2108:
	s_cmp_lt_i32 s1, 8
	s_cbranch_scc1 .LBB15_2118
; %bb.2109:
	s_cmp_lt_i32 s1, 9
	s_cbranch_scc1 .LBB15_2115
; %bb.2110:
	s_cmp_gt_i32 s1, 9
	s_cbranch_scc0 .LBB15_2112
; %bb.2111:
	s_wait_loadcnt 0x0
	v_cvt_f64_f32_e32 v[6:7], v4
	v_mov_b32_e32 v8, 0
	s_mov_b32 s0, 0
	s_delay_alu instid0(VALU_DEP_1)
	v_mov_b32_e32 v9, v8
	global_store_b128 v[2:3], v[6:9], off
.LBB15_2112:
	s_and_not1_b32 vcc_lo, exec_lo, s0
	s_cbranch_vccnz .LBB15_2114
; %bb.2113:
	s_wait_loadcnt 0x0
	v_mov_b32_e32 v5, 0
	global_store_b64 v[2:3], v[4:5], off
.LBB15_2114:
	s_mov_b32 s0, 0
.LBB15_2115:
	s_delay_alu instid0(SALU_CYCLE_1)
	s_and_not1_b32 vcc_lo, exec_lo, s0
	s_cbranch_vccnz .LBB15_2117
; %bb.2116:
	v_cvt_f16_f32_e32 v0, v4
	s_delay_alu instid0(VALU_DEP_1)
	v_and_b32_e32 v0, 0xffff, v0
	s_wait_loadcnt 0x0
	global_store_b32 v[2:3], v0, off
.LBB15_2117:
	s_mov_b32 s0, 0
.LBB15_2118:
	s_delay_alu instid0(SALU_CYCLE_1)
	s_and_not1_b32 vcc_lo, exec_lo, s0
	s_cbranch_vccnz .LBB15_2127
; %bb.2119:
	s_sext_i32_i16 s1, s6
	s_mov_b32 s0, -1
	s_cmp_lt_i32 s1, 6
	s_cbranch_scc1 .LBB15_2125
; %bb.2120:
	s_cmp_gt_i32 s1, 6
	s_cbranch_scc0 .LBB15_2122
; %bb.2121:
	s_wait_loadcnt 0x0
	v_cvt_f64_f32_e32 v[0:1], v4
	s_mov_b32 s0, 0
	global_store_b64 v[2:3], v[0:1], off
.LBB15_2122:
	s_and_not1_b32 vcc_lo, exec_lo, s0
	s_cbranch_vccnz .LBB15_2124
; %bb.2123:
	s_wait_loadcnt 0x0
	global_store_b32 v[2:3], v4, off
.LBB15_2124:
	s_mov_b32 s0, 0
.LBB15_2125:
	s_delay_alu instid0(SALU_CYCLE_1)
	s_and_not1_b32 vcc_lo, exec_lo, s0
	s_cbranch_vccnz .LBB15_2127
; %bb.2126:
	s_wait_xcnt 0x0
	v_cvt_f16_f32_e32 v0, v4
	s_wait_loadcnt 0x0
	global_store_b16 v[2:3], v0, off
.LBB15_2127:
	s_mov_b32 s0, 0
.LBB15_2128:
	s_delay_alu instid0(SALU_CYCLE_1)
	s_and_not1_b32 vcc_lo, exec_lo, s0
	s_cbranch_vccnz .LBB15_2144
; %bb.2129:
	s_sext_i32_i16 s1, s6
	s_mov_b32 s0, -1
	s_cmp_lt_i32 s1, 2
	s_cbranch_scc1 .LBB15_2139
; %bb.2130:
	s_cmp_lt_i32 s1, 3
	s_cbranch_scc1 .LBB15_2136
; %bb.2131:
	s_cmp_gt_i32 s1, 3
	s_cbranch_scc0 .LBB15_2133
; %bb.2132:
	s_wait_xcnt 0x0
	v_trunc_f32_e32 v0, v4
	s_mov_b32 s0, 0
	s_wait_loadcnt 0x0
	s_delay_alu instid0(VALU_DEP_1) | instskip(NEXT) | instid1(VALU_DEP_1)
	v_mul_f32_e64 v1, 0x2f800000, |v0|
	v_floor_f32_e32 v1, v1
	s_delay_alu instid0(VALU_DEP_1) | instskip(SKIP_2) | instid1(VALU_DEP_3)
	v_fma_f32 v5, 0xcf800000, v1, |v0|
	v_ashrrev_i32_e32 v0, 31, v0
	v_cvt_u32_f32_e32 v6, v1
	v_cvt_u32_f32_e32 v5, v5
	s_delay_alu instid0(VALU_DEP_2) | instskip(NEXT) | instid1(VALU_DEP_2)
	v_dual_mov_b32 v1, v0 :: v_dual_bitop2_b32 v7, v6, v0 bitop3:0x14
	v_xor_b32_e32 v6, v5, v0
	s_delay_alu instid0(VALU_DEP_1)
	v_sub_nc_u64_e32 v[0:1], v[6:7], v[0:1]
	global_store_b64 v[2:3], v[0:1], off
.LBB15_2133:
	s_and_not1_b32 vcc_lo, exec_lo, s0
	s_cbranch_vccnz .LBB15_2135
; %bb.2134:
	s_wait_xcnt 0x0
	v_cvt_i32_f32_e32 v0, v4
	s_wait_loadcnt 0x0
	global_store_b32 v[2:3], v0, off
.LBB15_2135:
	s_mov_b32 s0, 0
.LBB15_2136:
	s_delay_alu instid0(SALU_CYCLE_1)
	s_and_not1_b32 vcc_lo, exec_lo, s0
	s_cbranch_vccnz .LBB15_2138
; %bb.2137:
	s_wait_xcnt 0x0
	v_cvt_i32_f32_e32 v0, v4
	s_wait_loadcnt 0x0
	global_store_b16 v[2:3], v0, off
.LBB15_2138:
	s_mov_b32 s0, 0
.LBB15_2139:
	s_delay_alu instid0(SALU_CYCLE_1)
	s_and_not1_b32 vcc_lo, exec_lo, s0
	s_cbranch_vccnz .LBB15_2144
; %bb.2140:
	s_sext_i32_i16 s0, s6
	s_delay_alu instid0(SALU_CYCLE_1)
	s_cmp_gt_i32 s0, 0
	s_mov_b32 s0, -1
	s_cbranch_scc0 .LBB15_2142
; %bb.2141:
	s_wait_xcnt 0x0
	v_cvt_i32_f32_e32 v0, v4
	s_mov_b32 s0, 0
	s_wait_loadcnt 0x0
	global_store_b8 v[2:3], v0, off
.LBB15_2142:
	s_and_not1_b32 vcc_lo, exec_lo, s0
	s_cbranch_vccnz .LBB15_2144
; %bb.2143:
	s_wait_xcnt 0x0
	v_trunc_f32_e32 v0, v4
	s_wait_loadcnt 0x0
	s_delay_alu instid0(VALU_DEP_1) | instskip(NEXT) | instid1(VALU_DEP_1)
	v_mul_f32_e64 v1, 0x2f800000, |v0|
	v_floor_f32_e32 v1, v1
	s_delay_alu instid0(VALU_DEP_1) | instskip(SKIP_1) | instid1(VALU_DEP_2)
	v_fma_f32 v1, 0xcf800000, v1, |v0|
	v_ashrrev_i32_e32 v0, 31, v0
	v_cvt_u32_f32_e32 v1, v1
	s_delay_alu instid0(VALU_DEP_1) | instskip(NEXT) | instid1(VALU_DEP_1)
	v_xor_b32_e32 v1, v1, v0
	v_sub_nc_u32_e32 v0, v1, v0
	global_store_b8 v[2:3], v0, off
	s_endpgm
.LBB15_2144:
	s_endpgm
.LBB15_2145:
	s_or_b32 s1, s1, exec_lo
	s_trap 2
	s_cbranch_execz .LBB15_1618
	s_branch .LBB15_1619
.LBB15_2146:
	s_and_not1_saveexec_b32 s12, s12
	s_cbranch_execz .LBB15_1698
.LBB15_2147:
	v_add_f32_e64 v5, 0x46000000, |v8|
	s_and_not1_b32 s11, s11, exec_lo
	s_delay_alu instid0(VALU_DEP_1) | instskip(NEXT) | instid1(VALU_DEP_1)
	v_and_b32_e32 v5, 0xff, v5
	v_cmp_ne_u32_e32 vcc_lo, 0, v5
	s_and_b32 s13, vcc_lo, exec_lo
	s_delay_alu instid0(SALU_CYCLE_1)
	s_or_b32 s11, s11, s13
	s_or_b32 exec_lo, exec_lo, s12
	v_mov_b32_e32 v9, 0
	s_and_saveexec_b32 s12, s11
	s_cbranch_execnz .LBB15_1699
	s_branch .LBB15_1700
.LBB15_2148:
	s_or_b32 s1, s1, exec_lo
	s_trap 2
	s_cbranch_execz .LBB15_1746
	s_branch .LBB15_1747
.LBB15_2149:
	s_and_not1_saveexec_b32 s11, s11
	s_cbranch_execz .LBB15_1711
.LBB15_2150:
	v_add_f32_e64 v5, 0x42800000, |v8|
	s_and_not1_b32 s10, s10, exec_lo
	s_delay_alu instid0(VALU_DEP_1) | instskip(NEXT) | instid1(VALU_DEP_1)
	v_and_b32_e32 v5, 0xff, v5
	v_cmp_ne_u32_e32 vcc_lo, 0, v5
	s_and_b32 s12, vcc_lo, exec_lo
	s_delay_alu instid0(SALU_CYCLE_1)
	s_or_b32 s10, s10, s12
	s_or_b32 exec_lo, exec_lo, s11
	v_mov_b32_e32 v9, 0
	s_and_saveexec_b32 s11, s10
	s_cbranch_execnz .LBB15_1712
	s_branch .LBB15_1713
.LBB15_2151:
	s_and_not1_saveexec_b32 s12, s12
	s_cbranch_execz .LBB15_1816
.LBB15_2152:
	v_add_f32_e64 v3, 0x46000000, |v6|
	s_and_not1_b32 s11, s11, exec_lo
	s_delay_alu instid0(VALU_DEP_1) | instskip(NEXT) | instid1(VALU_DEP_1)
	v_and_b32_e32 v3, 0xff, v3
	v_cmp_ne_u32_e32 vcc_lo, 0, v3
	s_and_b32 s13, vcc_lo, exec_lo
	s_delay_alu instid0(SALU_CYCLE_1)
	s_or_b32 s11, s11, s13
	s_or_b32 exec_lo, exec_lo, s12
	v_mov_b32_e32 v7, 0
	s_and_saveexec_b32 s12, s11
	s_cbranch_execnz .LBB15_1817
	s_branch .LBB15_1818
.LBB15_2153:
	s_or_b32 s1, s1, exec_lo
	s_trap 2
	s_cbranch_execz .LBB15_1864
	s_branch .LBB15_1865
.LBB15_2154:
	s_and_not1_saveexec_b32 s11, s11
	s_cbranch_execz .LBB15_1829
.LBB15_2155:
	v_add_f32_e64 v3, 0x42800000, |v6|
	s_and_not1_b32 s10, s10, exec_lo
	s_delay_alu instid0(VALU_DEP_1) | instskip(NEXT) | instid1(VALU_DEP_1)
	v_and_b32_e32 v3, 0xff, v3
	v_cmp_ne_u32_e32 vcc_lo, 0, v3
	s_and_b32 s12, vcc_lo, exec_lo
	s_delay_alu instid0(SALU_CYCLE_1)
	s_or_b32 s10, s10, s12
	s_or_b32 exec_lo, exec_lo, s11
	v_mov_b32_e32 v7, 0
	s_and_saveexec_b32 s11, s10
	s_cbranch_execnz .LBB15_1830
	s_branch .LBB15_1831
.LBB15_2156:
	s_and_not1_saveexec_b32 s12, s12
	s_cbranch_execz .LBB15_1934
.LBB15_2157:
	v_add_f32_e64 v1, 0x46000000, |v4|
	s_and_not1_b32 s11, s11, exec_lo
	s_delay_alu instid0(VALU_DEP_1) | instskip(NEXT) | instid1(VALU_DEP_1)
	v_and_b32_e32 v1, 0xff, v1
	v_cmp_ne_u32_e32 vcc_lo, 0, v1
	s_and_b32 s13, vcc_lo, exec_lo
	s_delay_alu instid0(SALU_CYCLE_1)
	s_or_b32 s11, s11, s13
	s_or_b32 exec_lo, exec_lo, s12
	v_mov_b32_e32 v5, 0
	s_and_saveexec_b32 s12, s11
	s_cbranch_execnz .LBB15_1935
	s_branch .LBB15_1936
.LBB15_2158:
	s_or_b32 s1, s1, exec_lo
	s_trap 2
	s_cbranch_execz .LBB15_1982
	s_branch .LBB15_1983
.LBB15_2159:
	s_and_not1_saveexec_b32 s11, s11
	s_cbranch_execz .LBB15_1947
.LBB15_2160:
	v_add_f32_e64 v1, 0x42800000, |v4|
	s_and_not1_b32 s10, s10, exec_lo
	s_delay_alu instid0(VALU_DEP_1) | instskip(NEXT) | instid1(VALU_DEP_1)
	v_and_b32_e32 v1, 0xff, v1
	v_cmp_ne_u32_e32 vcc_lo, 0, v1
	s_and_b32 s12, vcc_lo, exec_lo
	s_delay_alu instid0(SALU_CYCLE_1)
	s_or_b32 s10, s10, s12
	s_or_b32 exec_lo, exec_lo, s11
	v_mov_b32_e32 v5, 0
	s_and_saveexec_b32 s11, s10
	s_cbranch_execnz .LBB15_1948
	s_branch .LBB15_1949
.LBB15_2161:
	s_and_not1_saveexec_b32 s7, s7
	s_cbranch_execz .LBB15_2014
.LBB15_2162:
	v_add_f32_e64 v0, 0x46000000, |v4|
	s_and_not1_b32 s5, s5, exec_lo
	s_delay_alu instid0(VALU_DEP_1) | instskip(NEXT) | instid1(VALU_DEP_1)
	v_and_b32_e32 v0, 0xff, v0
	v_cmp_ne_u32_e32 vcc_lo, 0, v0
	s_and_b32 s10, vcc_lo, exec_lo
	s_delay_alu instid0(SALU_CYCLE_1)
	s_or_b32 s5, s5, s10
	s_or_b32 exec_lo, exec_lo, s7
	v_mov_b32_e32 v1, 0
	s_and_saveexec_b32 s7, s5
	s_cbranch_execnz .LBB15_2015
	s_branch .LBB15_2016
.LBB15_2163:
	s_mov_b32 s2, 0
	s_or_b32 s1, s1, exec_lo
	s_trap 2
	s_branch .LBB15_2060
.LBB15_2164:
	s_and_not1_saveexec_b32 s5, s5
	s_cbranch_execz .LBB15_2026
.LBB15_2165:
	v_add_f32_e64 v0, 0x42800000, |v4|
	s_and_not1_b32 s4, s4, exec_lo
	s_delay_alu instid0(VALU_DEP_1) | instskip(NEXT) | instid1(VALU_DEP_1)
	v_and_b32_e32 v0, 0xff, v0
	v_cmp_ne_u32_e32 vcc_lo, 0, v0
	s_and_b32 s7, vcc_lo, exec_lo
	s_delay_alu instid0(SALU_CYCLE_1)
	s_or_b32 s4, s4, s7
	s_or_b32 exec_lo, exec_lo, s5
	v_mov_b32_e32 v1, 0
	s_and_saveexec_b32 s5, s4
	s_cbranch_execnz .LBB15_2027
	s_branch .LBB15_2028
	.section	.rodata,"a",@progbits
	.p2align	6, 0x0
	.amdhsa_kernel _ZN2at6native32elementwise_kernel_manual_unrollILi128ELi4EZNS0_15gpu_kernel_implIZZZNS0_12_GLOBAL__N_117hardshrink_kernelERNS_18TensorIteratorBaseERKN3c106ScalarEENKUlvE_clEvENKUlvE0_clEvEUlfE_EEvS5_RKT_EUlibE0_EEviT1_
		.amdhsa_group_segment_fixed_size 0
		.amdhsa_private_segment_fixed_size 0
		.amdhsa_kernarg_size 360
		.amdhsa_user_sgpr_count 2
		.amdhsa_user_sgpr_dispatch_ptr 0
		.amdhsa_user_sgpr_queue_ptr 0
		.amdhsa_user_sgpr_kernarg_segment_ptr 1
		.amdhsa_user_sgpr_dispatch_id 0
		.amdhsa_user_sgpr_kernarg_preload_length 0
		.amdhsa_user_sgpr_kernarg_preload_offset 0
		.amdhsa_user_sgpr_private_segment_size 0
		.amdhsa_wavefront_size32 1
		.amdhsa_uses_dynamic_stack 0
		.amdhsa_enable_private_segment 0
		.amdhsa_system_sgpr_workgroup_id_x 1
		.amdhsa_system_sgpr_workgroup_id_y 0
		.amdhsa_system_sgpr_workgroup_id_z 0
		.amdhsa_system_sgpr_workgroup_info 0
		.amdhsa_system_vgpr_workitem_id 0
		.amdhsa_next_free_vgpr 18
		.amdhsa_next_free_sgpr 68
		.amdhsa_named_barrier_count 0
		.amdhsa_reserve_vcc 1
		.amdhsa_float_round_mode_32 0
		.amdhsa_float_round_mode_16_64 0
		.amdhsa_float_denorm_mode_32 3
		.amdhsa_float_denorm_mode_16_64 3
		.amdhsa_fp16_overflow 0
		.amdhsa_memory_ordered 1
		.amdhsa_forward_progress 1
		.amdhsa_inst_pref_size 255
		.amdhsa_round_robin_scheduling 0
		.amdhsa_exception_fp_ieee_invalid_op 0
		.amdhsa_exception_fp_denorm_src 0
		.amdhsa_exception_fp_ieee_div_zero 0
		.amdhsa_exception_fp_ieee_overflow 0
		.amdhsa_exception_fp_ieee_underflow 0
		.amdhsa_exception_fp_ieee_inexact 0
		.amdhsa_exception_int_div_zero 0
	.end_amdhsa_kernel
	.section	.text._ZN2at6native32elementwise_kernel_manual_unrollILi128ELi4EZNS0_15gpu_kernel_implIZZZNS0_12_GLOBAL__N_117hardshrink_kernelERNS_18TensorIteratorBaseERKN3c106ScalarEENKUlvE_clEvENKUlvE0_clEvEUlfE_EEvS5_RKT_EUlibE0_EEviT1_,"axG",@progbits,_ZN2at6native32elementwise_kernel_manual_unrollILi128ELi4EZNS0_15gpu_kernel_implIZZZNS0_12_GLOBAL__N_117hardshrink_kernelERNS_18TensorIteratorBaseERKN3c106ScalarEENKUlvE_clEvENKUlvE0_clEvEUlfE_EEvS5_RKT_EUlibE0_EEviT1_,comdat
.Lfunc_end15:
	.size	_ZN2at6native32elementwise_kernel_manual_unrollILi128ELi4EZNS0_15gpu_kernel_implIZZZNS0_12_GLOBAL__N_117hardshrink_kernelERNS_18TensorIteratorBaseERKN3c106ScalarEENKUlvE_clEvENKUlvE0_clEvEUlfE_EEvS5_RKT_EUlibE0_EEviT1_, .Lfunc_end15-_ZN2at6native32elementwise_kernel_manual_unrollILi128ELi4EZNS0_15gpu_kernel_implIZZZNS0_12_GLOBAL__N_117hardshrink_kernelERNS_18TensorIteratorBaseERKN3c106ScalarEENKUlvE_clEvENKUlvE0_clEvEUlfE_EEvS5_RKT_EUlibE0_EEviT1_
                                        ; -- End function
	.set _ZN2at6native32elementwise_kernel_manual_unrollILi128ELi4EZNS0_15gpu_kernel_implIZZZNS0_12_GLOBAL__N_117hardshrink_kernelERNS_18TensorIteratorBaseERKN3c106ScalarEENKUlvE_clEvENKUlvE0_clEvEUlfE_EEvS5_RKT_EUlibE0_EEviT1_.num_vgpr, 18
	.set _ZN2at6native32elementwise_kernel_manual_unrollILi128ELi4EZNS0_15gpu_kernel_implIZZZNS0_12_GLOBAL__N_117hardshrink_kernelERNS_18TensorIteratorBaseERKN3c106ScalarEENKUlvE_clEvENKUlvE0_clEvEUlfE_EEvS5_RKT_EUlibE0_EEviT1_.num_agpr, 0
	.set _ZN2at6native32elementwise_kernel_manual_unrollILi128ELi4EZNS0_15gpu_kernel_implIZZZNS0_12_GLOBAL__N_117hardshrink_kernelERNS_18TensorIteratorBaseERKN3c106ScalarEENKUlvE_clEvENKUlvE0_clEvEUlfE_EEvS5_RKT_EUlibE0_EEviT1_.numbered_sgpr, 68
	.set _ZN2at6native32elementwise_kernel_manual_unrollILi128ELi4EZNS0_15gpu_kernel_implIZZZNS0_12_GLOBAL__N_117hardshrink_kernelERNS_18TensorIteratorBaseERKN3c106ScalarEENKUlvE_clEvENKUlvE0_clEvEUlfE_EEvS5_RKT_EUlibE0_EEviT1_.num_named_barrier, 0
	.set _ZN2at6native32elementwise_kernel_manual_unrollILi128ELi4EZNS0_15gpu_kernel_implIZZZNS0_12_GLOBAL__N_117hardshrink_kernelERNS_18TensorIteratorBaseERKN3c106ScalarEENKUlvE_clEvENKUlvE0_clEvEUlfE_EEvS5_RKT_EUlibE0_EEviT1_.private_seg_size, 0
	.set _ZN2at6native32elementwise_kernel_manual_unrollILi128ELi4EZNS0_15gpu_kernel_implIZZZNS0_12_GLOBAL__N_117hardshrink_kernelERNS_18TensorIteratorBaseERKN3c106ScalarEENKUlvE_clEvENKUlvE0_clEvEUlfE_EEvS5_RKT_EUlibE0_EEviT1_.uses_vcc, 1
	.set _ZN2at6native32elementwise_kernel_manual_unrollILi128ELi4EZNS0_15gpu_kernel_implIZZZNS0_12_GLOBAL__N_117hardshrink_kernelERNS_18TensorIteratorBaseERKN3c106ScalarEENKUlvE_clEvENKUlvE0_clEvEUlfE_EEvS5_RKT_EUlibE0_EEviT1_.uses_flat_scratch, 0
	.set _ZN2at6native32elementwise_kernel_manual_unrollILi128ELi4EZNS0_15gpu_kernel_implIZZZNS0_12_GLOBAL__N_117hardshrink_kernelERNS_18TensorIteratorBaseERKN3c106ScalarEENKUlvE_clEvENKUlvE0_clEvEUlfE_EEvS5_RKT_EUlibE0_EEviT1_.has_dyn_sized_stack, 0
	.set _ZN2at6native32elementwise_kernel_manual_unrollILi128ELi4EZNS0_15gpu_kernel_implIZZZNS0_12_GLOBAL__N_117hardshrink_kernelERNS_18TensorIteratorBaseERKN3c106ScalarEENKUlvE_clEvENKUlvE0_clEvEUlfE_EEvS5_RKT_EUlibE0_EEviT1_.has_recursion, 0
	.set _ZN2at6native32elementwise_kernel_manual_unrollILi128ELi4EZNS0_15gpu_kernel_implIZZZNS0_12_GLOBAL__N_117hardshrink_kernelERNS_18TensorIteratorBaseERKN3c106ScalarEENKUlvE_clEvENKUlvE0_clEvEUlfE_EEvS5_RKT_EUlibE0_EEviT1_.has_indirect_call, 0
	.section	.AMDGPU.csdata,"",@progbits
; Kernel info:
; codeLenInByte = 43084
; TotalNumSgprs: 70
; NumVgprs: 18
; ScratchSize: 0
; MemoryBound: 1
; FloatMode: 240
; IeeeMode: 1
; LDSByteSize: 0 bytes/workgroup (compile time only)
; SGPRBlocks: 0
; VGPRBlocks: 1
; NumSGPRsForWavesPerEU: 70
; NumVGPRsForWavesPerEU: 18
; NamedBarCnt: 0
; Occupancy: 16
; WaveLimiterHint : 1
; COMPUTE_PGM_RSRC2:SCRATCH_EN: 0
; COMPUTE_PGM_RSRC2:USER_SGPR: 2
; COMPUTE_PGM_RSRC2:TRAP_HANDLER: 0
; COMPUTE_PGM_RSRC2:TGID_X_EN: 1
; COMPUTE_PGM_RSRC2:TGID_Y_EN: 0
; COMPUTE_PGM_RSRC2:TGID_Z_EN: 0
; COMPUTE_PGM_RSRC2:TIDIG_COMP_CNT: 0
	.section	.text._ZN2at6native29vectorized_elementwise_kernelILi16EZZZNS0_12_GLOBAL__N_117hardshrink_kernelERNS_18TensorIteratorBaseERKN3c106ScalarEENKUlvE_clEvENKUlvE1_clEvEUlNS5_4HalfEE_St5arrayIPcLm2EEEEviT0_T1_,"axG",@progbits,_ZN2at6native29vectorized_elementwise_kernelILi16EZZZNS0_12_GLOBAL__N_117hardshrink_kernelERNS_18TensorIteratorBaseERKN3c106ScalarEENKUlvE_clEvENKUlvE1_clEvEUlNS5_4HalfEE_St5arrayIPcLm2EEEEviT0_T1_,comdat
	.globl	_ZN2at6native29vectorized_elementwise_kernelILi16EZZZNS0_12_GLOBAL__N_117hardshrink_kernelERNS_18TensorIteratorBaseERKN3c106ScalarEENKUlvE_clEvENKUlvE1_clEvEUlNS5_4HalfEE_St5arrayIPcLm2EEEEviT0_T1_ ; -- Begin function _ZN2at6native29vectorized_elementwise_kernelILi16EZZZNS0_12_GLOBAL__N_117hardshrink_kernelERNS_18TensorIteratorBaseERKN3c106ScalarEENKUlvE_clEvENKUlvE1_clEvEUlNS5_4HalfEE_St5arrayIPcLm2EEEEviT0_T1_
	.p2align	8
	.type	_ZN2at6native29vectorized_elementwise_kernelILi16EZZZNS0_12_GLOBAL__N_117hardshrink_kernelERNS_18TensorIteratorBaseERKN3c106ScalarEENKUlvE_clEvENKUlvE1_clEvEUlNS5_4HalfEE_St5arrayIPcLm2EEEEviT0_T1_,@function
_ZN2at6native29vectorized_elementwise_kernelILi16EZZZNS0_12_GLOBAL__N_117hardshrink_kernelERNS_18TensorIteratorBaseERKN3c106ScalarEENKUlvE_clEvENKUlvE1_clEvEUlNS5_4HalfEE_St5arrayIPcLm2EEEEviT0_T1_: ; @_ZN2at6native29vectorized_elementwise_kernelILi16EZZZNS0_12_GLOBAL__N_117hardshrink_kernelERNS_18TensorIteratorBaseERKN3c106ScalarEENKUlvE_clEvENKUlvE1_clEvEUlNS5_4HalfEE_St5arrayIPcLm2EEEEviT0_T1_
; %bb.0:
	s_clause 0x1
	s_load_b64 s[8:9], s[0:1], 0x0
	s_load_b128 s[4:7], s[0:1], 0x8
	s_wait_xcnt 0x0
	s_bfe_u32 s0, ttmp6, 0x4000c
	s_and_b32 s1, ttmp6, 15
	s_add_co_i32 s0, s0, 1
	s_getreg_b32 s2, hwreg(HW_REG_IB_STS2, 6, 4)
	s_mul_i32 s0, ttmp9, s0
	s_delay_alu instid0(SALU_CYCLE_1) | instskip(SKIP_2) | instid1(SALU_CYCLE_1)
	s_add_co_i32 s1, s1, s0
	s_cmp_eq_u32 s2, 0
	s_cselect_b32 s0, ttmp9, s1
	s_lshl_b32 s10, s0, 11
	s_mov_b32 s0, -1
	s_wait_kmcnt 0x0
	s_sub_co_i32 s8, s8, s10
	s_delay_alu instid0(SALU_CYCLE_1)
	s_cmp_gt_i32 s8, 0x7ff
	s_cbranch_scc0 .LBB16_2
; %bb.1:
	s_ashr_i32 s11, s10, 31
	s_delay_alu instid0(SALU_CYCLE_1) | instskip(NEXT) | instid1(SALU_CYCLE_1)
	s_lshl_b64 s[12:13], s[10:11], 1
	s_add_nc_u64 s[0:1], s[6:7], s[12:13]
	global_load_b128 v[2:5], v0, s[0:1] scale_offset
	s_wait_loadcnt 0x0
	v_cmp_nle_f16_e64 s11, -s9, v2
	v_cmp_nge_f16_e32 vcc_lo, s9, v2
	v_dual_lshrrev_b32 v1, 16, v2 :: v_dual_lshrrev_b32 v6, 16, v3
	v_cmp_nle_f16_e64 s14, -s9, v3
	v_cmp_nge_f16_e64 s0, s9, v3
	v_cmp_nle_f16_e64 s15, -s9, v4
	v_cmp_nge_f16_e64 s1, s9, v4
	v_dual_lshrrev_b32 v7, 16, v4 :: v_dual_lshrrev_b32 v8, 16, v5
	v_cmp_nle_f16_e64 s16, -s9, v5
	v_cmp_nge_f16_e64 s2, s9, v5
	s_or_b32 vcc_lo, s11, vcc_lo
	v_cmp_nle_f16_e64 s11, -s9, v6
	s_or_b32 s0, s14, s0
	s_delay_alu instid0(SALU_CYCLE_1) | instskip(SKIP_4) | instid1(SALU_CYCLE_1)
	v_dual_cndmask_b32 v2, 0, v2, vcc_lo :: v_dual_cndmask_b32 v3, 0, v3, s0
	v_cmp_nge_f16_e32 vcc_lo, s9, v6
	s_or_b32 s1, s15, s1
	v_cmp_nle_f16_e64 s15, -s9, v8
	s_or_b32 s2, s16, s2
	v_dual_cndmask_b32 v4, 0, v4, s1 :: v_dual_cndmask_b32 v5, 0, v5, s2
	v_cmp_nge_f16_e64 s1, s9, v8
	v_cmp_nle_f16_e64 s14, -s9, v7
	v_cmp_nge_f16_e64 s0, s9, v7
	s_or_b32 vcc_lo, s11, vcc_lo
	v_cmp_nle_f16_e64 s17, -s9, v1
	v_cmp_nge_f16_e64 s3, s9, v1
	v_cndmask_b32_e32 v6, 0, v6, vcc_lo
	s_or_b32 vcc_lo, s15, s1
	v_cndmask_b32_e32 v8, 0, v8, vcc_lo
	s_or_b32 vcc_lo, s14, s0
	s_delay_alu instid0(VALU_DEP_2)
	v_perm_b32 v3, v6, v3, 0x5040100
	v_cndmask_b32_e32 v7, 0, v7, vcc_lo
	s_or_b32 vcc_lo, s17, s3
	v_perm_b32 v5, v8, v5, 0x5040100
	v_cndmask_b32_e32 v1, 0, v1, vcc_lo
	s_add_nc_u64 s[2:3], s[4:5], s[12:13]
	v_perm_b32 v4, v7, v4, 0x5040100
	s_mov_b32 s0, 0
	s_delay_alu instid0(VALU_DEP_2)
	v_perm_b32 v2, v1, v2, 0x5040100
	global_store_b128 v0, v[2:5], s[2:3] scale_offset
.LBB16_2:
	s_and_not1_b32 vcc_lo, exec_lo, s0
	s_cbranch_vccnz .LBB16_27
; %bb.3:
	v_cmp_gt_i32_e32 vcc_lo, s8, v0
	s_wait_xcnt 0x0
	v_dual_mov_b32 v1, 0 :: v_dual_bitop2_b32 v5, s10, v0 bitop3:0x54
	v_or_b32_e32 v6, 0x100, v0
	v_dual_mov_b32 v7, 0 :: v_dual_mov_b32 v11, v0
	s_and_saveexec_b32 s0, vcc_lo
	s_cbranch_execz .LBB16_5
; %bb.4:
	global_load_u16 v7, v5, s[6:7] scale_offset
	v_or_b32_e32 v11, 0x100, v0
.LBB16_5:
	s_wait_xcnt 0x0
	s_or_b32 exec_lo, exec_lo, s0
	s_delay_alu instid0(SALU_CYCLE_1) | instskip(NEXT) | instid1(VALU_DEP_1)
	s_mov_b32 s1, exec_lo
	v_cmpx_gt_i32_e64 s8, v11
	s_cbranch_execz .LBB16_7
; %bb.6:
	v_add_nc_u32_e32 v1, s10, v11
	v_add_nc_u32_e32 v11, 0x100, v11
	global_load_u16 v1, v1, s[6:7] scale_offset
.LBB16_7:
	s_wait_xcnt 0x0
	s_or_b32 exec_lo, exec_lo, s1
	v_dual_mov_b32 v2, 0 :: v_dual_mov_b32 v8, 0
	s_mov_b32 s1, exec_lo
	v_cmpx_gt_i32_e64 s8, v11
	s_cbranch_execz .LBB16_9
; %bb.8:
	v_add_nc_u32_e32 v3, s10, v11
	v_add_nc_u32_e32 v11, 0x100, v11
	global_load_u16 v8, v3, s[6:7] scale_offset
.LBB16_9:
	s_wait_xcnt 0x0
	s_or_b32 exec_lo, exec_lo, s1
	s_delay_alu instid0(SALU_CYCLE_1)
	s_mov_b32 s1, exec_lo
	v_cmpx_gt_i32_e64 s8, v11
	s_cbranch_execz .LBB16_11
; %bb.10:
	v_add_nc_u32_e32 v2, s10, v11
	v_add_nc_u32_e32 v11, 0x100, v11
	global_load_u16 v2, v2, s[6:7] scale_offset
.LBB16_11:
	s_wait_xcnt 0x0
	s_or_b32 exec_lo, exec_lo, s1
	v_dual_mov_b32 v3, 0 :: v_dual_mov_b32 v9, 0
	s_mov_b32 s1, exec_lo
	v_cmpx_gt_i32_e64 s8, v11
	s_cbranch_execz .LBB16_13
; %bb.12:
	v_add_nc_u32_e32 v4, s10, v11
	v_add_nc_u32_e32 v11, 0x100, v11
	global_load_u16 v9, v4, s[6:7] scale_offset
.LBB16_13:
	s_wait_xcnt 0x0
	s_or_b32 exec_lo, exec_lo, s1
	s_delay_alu instid0(SALU_CYCLE_1)
	s_mov_b32 s1, exec_lo
	v_cmpx_gt_i32_e64 s8, v11
	s_cbranch_execz .LBB16_15
; %bb.14:
	v_add_nc_u32_e32 v3, s10, v11
	v_add_nc_u32_e32 v11, 0x100, v11
	global_load_u16 v3, v3, s[6:7] scale_offset
.LBB16_15:
	s_wait_xcnt 0x0
	s_or_b32 exec_lo, exec_lo, s1
	v_dual_mov_b32 v4, 0 :: v_dual_mov_b32 v10, 0
	s_mov_b32 s1, exec_lo
	v_cmpx_gt_i32_e64 s8, v11
	s_cbranch_execnz .LBB16_28
; %bb.16:
	s_or_b32 exec_lo, exec_lo, s1
	s_delay_alu instid0(SALU_CYCLE_1)
	s_mov_b32 s1, exec_lo
	v_cmpx_gt_i32_e64 s8, v11
	s_cbranch_execnz .LBB16_29
.LBB16_17:
	s_or_b32 exec_lo, exec_lo, s1
	s_and_saveexec_b32 s0, vcc_lo
	s_cbranch_execz .LBB16_19
.LBB16_18:
	s_wait_loadcnt 0x0
	v_cmp_nge_f16_e64 s1, v7, -s9
	v_cmp_nge_f16_e32 vcc_lo, s9, v7
	v_mov_b32_e32 v0, v6
	s_or_b32 vcc_lo, s1, vcc_lo
	v_cndmask_b32_e32 v7, 0, v7, vcc_lo
	global_store_b16 v5, v7, s[4:5] scale_offset
.LBB16_19:
	s_wait_xcnt 0x0
	s_or_b32 exec_lo, exec_lo, s0
	s_xor_b32 s1, s9, 0x8000
	s_mov_b32 s2, exec_lo
	v_cmpx_gt_i32_e64 s8, v0
	s_cbranch_execnz .LBB16_30
; %bb.20:
	s_or_b32 exec_lo, exec_lo, s2
	s_delay_alu instid0(SALU_CYCLE_1)
	s_mov_b32 s2, exec_lo
	v_cmpx_gt_i32_e64 s8, v0
	s_cbranch_execnz .LBB16_31
.LBB16_21:
	s_or_b32 exec_lo, exec_lo, s2
	s_delay_alu instid0(SALU_CYCLE_1)
	s_mov_b32 s2, exec_lo
	v_cmpx_gt_i32_e64 s8, v0
	s_cbranch_execnz .LBB16_32
.LBB16_22:
	s_or_b32 exec_lo, exec_lo, s2
	s_delay_alu instid0(SALU_CYCLE_1)
	s_mov_b32 s2, exec_lo
	v_cmpx_gt_i32_e64 s8, v0
	s_cbranch_execnz .LBB16_33
.LBB16_23:
	s_or_b32 exec_lo, exec_lo, s2
	s_delay_alu instid0(SALU_CYCLE_1)
	s_mov_b32 s2, exec_lo
	v_cmpx_gt_i32_e64 s8, v0
	s_cbranch_execnz .LBB16_34
.LBB16_24:
	s_or_b32 exec_lo, exec_lo, s2
	s_delay_alu instid0(SALU_CYCLE_1)
	s_mov_b32 s2, exec_lo
	v_cmpx_gt_i32_e64 s8, v0
	s_cbranch_execnz .LBB16_35
.LBB16_25:
	s_or_b32 exec_lo, exec_lo, s2
	s_delay_alu instid0(SALU_CYCLE_1)
	s_mov_b32 s0, exec_lo
	v_cmpx_gt_i32_e64 s8, v0
	s_cbranch_execz .LBB16_27
.LBB16_26:
	s_wait_loadcnt 0x0
	v_cmp_nle_f16_e32 vcc_lo, s1, v4
	v_cmp_nge_f16_e64 s0, s9, v4
	v_add_nc_u32_e32 v0, s10, v0
	s_or_b32 vcc_lo, vcc_lo, s0
	v_cndmask_b32_e32 v1, 0, v4, vcc_lo
	global_store_b16 v0, v1, s[4:5] scale_offset
.LBB16_27:
	s_endpgm
.LBB16_28:
	v_add_nc_u32_e32 v10, s10, v11
	v_add_nc_u32_e32 v11, 0x100, v11
	global_load_u16 v10, v10, s[6:7] scale_offset
	s_wait_xcnt 0x0
	s_or_b32 exec_lo, exec_lo, s1
	s_delay_alu instid0(SALU_CYCLE_1)
	s_mov_b32 s1, exec_lo
	v_cmpx_gt_i32_e64 s8, v11
	s_cbranch_execz .LBB16_17
.LBB16_29:
	v_add_nc_u32_e32 v4, s10, v11
	global_load_u16 v4, v4, s[6:7] scale_offset
	s_wait_xcnt 0x0
	s_or_b32 exec_lo, exec_lo, s1
	s_and_saveexec_b32 s0, vcc_lo
	s_cbranch_execnz .LBB16_18
	s_branch .LBB16_19
.LBB16_30:
	s_wait_loadcnt 0x0
	v_cmp_nle_f16_e32 vcc_lo, s1, v1
	v_cmp_nge_f16_e64 s0, s9, v1
	v_add_nc_u32_e32 v5, s10, v0
	v_add_nc_u32_e32 v0, 0x100, v0
	s_or_b32 vcc_lo, vcc_lo, s0
	v_cndmask_b32_e32 v1, 0, v1, vcc_lo
	global_store_b16 v5, v1, s[4:5] scale_offset
	s_wait_xcnt 0x0
	s_or_b32 exec_lo, exec_lo, s2
	s_delay_alu instid0(SALU_CYCLE_1)
	s_mov_b32 s2, exec_lo
	v_cmpx_gt_i32_e64 s8, v0
	s_cbranch_execz .LBB16_21
.LBB16_31:
	s_wait_loadcnt 0x0
	v_cmp_nle_f16_e32 vcc_lo, s1, v8
	v_cmp_nge_f16_e64 s0, s9, v8
	v_add_nc_u32_e32 v5, s10, v0
	v_add_nc_u32_e32 v0, 0x100, v0
	s_or_b32 vcc_lo, vcc_lo, s0
	v_cndmask_b32_e32 v1, 0, v8, vcc_lo
	global_store_b16 v5, v1, s[4:5] scale_offset
	s_wait_xcnt 0x0
	s_or_b32 exec_lo, exec_lo, s2
	s_delay_alu instid0(SALU_CYCLE_1)
	s_mov_b32 s2, exec_lo
	v_cmpx_gt_i32_e64 s8, v0
	s_cbranch_execz .LBB16_22
.LBB16_32:
	s_wait_loadcnt 0x0
	v_cmp_nle_f16_e32 vcc_lo, s1, v2
	v_cmp_nge_f16_e64 s0, s9, v2
	s_or_b32 vcc_lo, vcc_lo, s0
	v_dual_cndmask_b32 v1, 0, v2 :: v_dual_add_nc_u32 v2, s10, v0
	v_add_nc_u32_e32 v0, 0x100, v0
	global_store_b16 v2, v1, s[4:5] scale_offset
	s_wait_xcnt 0x0
	s_or_b32 exec_lo, exec_lo, s2
	s_delay_alu instid0(SALU_CYCLE_1)
	s_mov_b32 s2, exec_lo
	v_cmpx_gt_i32_e64 s8, v0
	s_cbranch_execz .LBB16_23
.LBB16_33:
	s_wait_loadcnt 0x0
	v_cmp_nle_f16_e32 vcc_lo, s1, v9
	v_cmp_nge_f16_e64 s0, s9, v9
	v_add_nc_u32_e32 v2, s10, v0
	v_add_nc_u32_e32 v0, 0x100, v0
	s_or_b32 vcc_lo, vcc_lo, s0
	v_cndmask_b32_e32 v1, 0, v9, vcc_lo
	global_store_b16 v2, v1, s[4:5] scale_offset
	s_wait_xcnt 0x0
	s_or_b32 exec_lo, exec_lo, s2
	s_delay_alu instid0(SALU_CYCLE_1)
	s_mov_b32 s2, exec_lo
	v_cmpx_gt_i32_e64 s8, v0
	s_cbranch_execz .LBB16_24
.LBB16_34:
	s_wait_loadcnt 0x0
	v_cmp_nle_f16_e32 vcc_lo, s1, v3
	v_cmp_nge_f16_e64 s0, s9, v3
	v_add_nc_u32_e32 v2, s10, v0
	v_add_nc_u32_e32 v0, 0x100, v0
	s_or_b32 vcc_lo, vcc_lo, s0
	v_cndmask_b32_e32 v1, 0, v3, vcc_lo
	global_store_b16 v2, v1, s[4:5] scale_offset
	s_wait_xcnt 0x0
	s_or_b32 exec_lo, exec_lo, s2
	s_delay_alu instid0(SALU_CYCLE_1)
	s_mov_b32 s2, exec_lo
	v_cmpx_gt_i32_e64 s8, v0
	s_cbranch_execz .LBB16_25
.LBB16_35:
	s_wait_loadcnt 0x0
	v_cmp_nle_f16_e32 vcc_lo, s1, v10
	v_cmp_nge_f16_e64 s0, s9, v10
	v_add_nc_u32_e32 v2, s10, v0
	v_add_nc_u32_e32 v0, 0x100, v0
	s_or_b32 vcc_lo, vcc_lo, s0
	v_cndmask_b32_e32 v1, 0, v10, vcc_lo
	global_store_b16 v2, v1, s[4:5] scale_offset
	s_wait_xcnt 0x0
	s_or_b32 exec_lo, exec_lo, s2
	s_delay_alu instid0(SALU_CYCLE_1)
	s_mov_b32 s0, exec_lo
	v_cmpx_gt_i32_e64 s8, v0
	s_cbranch_execnz .LBB16_26
	s_branch .LBB16_27
	.section	.rodata,"a",@progbits
	.p2align	6, 0x0
	.amdhsa_kernel _ZN2at6native29vectorized_elementwise_kernelILi16EZZZNS0_12_GLOBAL__N_117hardshrink_kernelERNS_18TensorIteratorBaseERKN3c106ScalarEENKUlvE_clEvENKUlvE1_clEvEUlNS5_4HalfEE_St5arrayIPcLm2EEEEviT0_T1_
		.amdhsa_group_segment_fixed_size 0
		.amdhsa_private_segment_fixed_size 0
		.amdhsa_kernarg_size 24
		.amdhsa_user_sgpr_count 2
		.amdhsa_user_sgpr_dispatch_ptr 0
		.amdhsa_user_sgpr_queue_ptr 0
		.amdhsa_user_sgpr_kernarg_segment_ptr 1
		.amdhsa_user_sgpr_dispatch_id 0
		.amdhsa_user_sgpr_kernarg_preload_length 0
		.amdhsa_user_sgpr_kernarg_preload_offset 0
		.amdhsa_user_sgpr_private_segment_size 0
		.amdhsa_wavefront_size32 1
		.amdhsa_uses_dynamic_stack 0
		.amdhsa_enable_private_segment 0
		.amdhsa_system_sgpr_workgroup_id_x 1
		.amdhsa_system_sgpr_workgroup_id_y 0
		.amdhsa_system_sgpr_workgroup_id_z 0
		.amdhsa_system_sgpr_workgroup_info 0
		.amdhsa_system_vgpr_workitem_id 0
		.amdhsa_next_free_vgpr 12
		.amdhsa_next_free_sgpr 18
		.amdhsa_named_barrier_count 0
		.amdhsa_reserve_vcc 1
		.amdhsa_float_round_mode_32 0
		.amdhsa_float_round_mode_16_64 0
		.amdhsa_float_denorm_mode_32 3
		.amdhsa_float_denorm_mode_16_64 3
		.amdhsa_fp16_overflow 0
		.amdhsa_memory_ordered 1
		.amdhsa_forward_progress 1
		.amdhsa_inst_pref_size 13
		.amdhsa_round_robin_scheduling 0
		.amdhsa_exception_fp_ieee_invalid_op 0
		.amdhsa_exception_fp_denorm_src 0
		.amdhsa_exception_fp_ieee_div_zero 0
		.amdhsa_exception_fp_ieee_overflow 0
		.amdhsa_exception_fp_ieee_underflow 0
		.amdhsa_exception_fp_ieee_inexact 0
		.amdhsa_exception_int_div_zero 0
	.end_amdhsa_kernel
	.section	.text._ZN2at6native29vectorized_elementwise_kernelILi16EZZZNS0_12_GLOBAL__N_117hardshrink_kernelERNS_18TensorIteratorBaseERKN3c106ScalarEENKUlvE_clEvENKUlvE1_clEvEUlNS5_4HalfEE_St5arrayIPcLm2EEEEviT0_T1_,"axG",@progbits,_ZN2at6native29vectorized_elementwise_kernelILi16EZZZNS0_12_GLOBAL__N_117hardshrink_kernelERNS_18TensorIteratorBaseERKN3c106ScalarEENKUlvE_clEvENKUlvE1_clEvEUlNS5_4HalfEE_St5arrayIPcLm2EEEEviT0_T1_,comdat
.Lfunc_end16:
	.size	_ZN2at6native29vectorized_elementwise_kernelILi16EZZZNS0_12_GLOBAL__N_117hardshrink_kernelERNS_18TensorIteratorBaseERKN3c106ScalarEENKUlvE_clEvENKUlvE1_clEvEUlNS5_4HalfEE_St5arrayIPcLm2EEEEviT0_T1_, .Lfunc_end16-_ZN2at6native29vectorized_elementwise_kernelILi16EZZZNS0_12_GLOBAL__N_117hardshrink_kernelERNS_18TensorIteratorBaseERKN3c106ScalarEENKUlvE_clEvENKUlvE1_clEvEUlNS5_4HalfEE_St5arrayIPcLm2EEEEviT0_T1_
                                        ; -- End function
	.set _ZN2at6native29vectorized_elementwise_kernelILi16EZZZNS0_12_GLOBAL__N_117hardshrink_kernelERNS_18TensorIteratorBaseERKN3c106ScalarEENKUlvE_clEvENKUlvE1_clEvEUlNS5_4HalfEE_St5arrayIPcLm2EEEEviT0_T1_.num_vgpr, 12
	.set _ZN2at6native29vectorized_elementwise_kernelILi16EZZZNS0_12_GLOBAL__N_117hardshrink_kernelERNS_18TensorIteratorBaseERKN3c106ScalarEENKUlvE_clEvENKUlvE1_clEvEUlNS5_4HalfEE_St5arrayIPcLm2EEEEviT0_T1_.num_agpr, 0
	.set _ZN2at6native29vectorized_elementwise_kernelILi16EZZZNS0_12_GLOBAL__N_117hardshrink_kernelERNS_18TensorIteratorBaseERKN3c106ScalarEENKUlvE_clEvENKUlvE1_clEvEUlNS5_4HalfEE_St5arrayIPcLm2EEEEviT0_T1_.numbered_sgpr, 18
	.set _ZN2at6native29vectorized_elementwise_kernelILi16EZZZNS0_12_GLOBAL__N_117hardshrink_kernelERNS_18TensorIteratorBaseERKN3c106ScalarEENKUlvE_clEvENKUlvE1_clEvEUlNS5_4HalfEE_St5arrayIPcLm2EEEEviT0_T1_.num_named_barrier, 0
	.set _ZN2at6native29vectorized_elementwise_kernelILi16EZZZNS0_12_GLOBAL__N_117hardshrink_kernelERNS_18TensorIteratorBaseERKN3c106ScalarEENKUlvE_clEvENKUlvE1_clEvEUlNS5_4HalfEE_St5arrayIPcLm2EEEEviT0_T1_.private_seg_size, 0
	.set _ZN2at6native29vectorized_elementwise_kernelILi16EZZZNS0_12_GLOBAL__N_117hardshrink_kernelERNS_18TensorIteratorBaseERKN3c106ScalarEENKUlvE_clEvENKUlvE1_clEvEUlNS5_4HalfEE_St5arrayIPcLm2EEEEviT0_T1_.uses_vcc, 1
	.set _ZN2at6native29vectorized_elementwise_kernelILi16EZZZNS0_12_GLOBAL__N_117hardshrink_kernelERNS_18TensorIteratorBaseERKN3c106ScalarEENKUlvE_clEvENKUlvE1_clEvEUlNS5_4HalfEE_St5arrayIPcLm2EEEEviT0_T1_.uses_flat_scratch, 0
	.set _ZN2at6native29vectorized_elementwise_kernelILi16EZZZNS0_12_GLOBAL__N_117hardshrink_kernelERNS_18TensorIteratorBaseERKN3c106ScalarEENKUlvE_clEvENKUlvE1_clEvEUlNS5_4HalfEE_St5arrayIPcLm2EEEEviT0_T1_.has_dyn_sized_stack, 0
	.set _ZN2at6native29vectorized_elementwise_kernelILi16EZZZNS0_12_GLOBAL__N_117hardshrink_kernelERNS_18TensorIteratorBaseERKN3c106ScalarEENKUlvE_clEvENKUlvE1_clEvEUlNS5_4HalfEE_St5arrayIPcLm2EEEEviT0_T1_.has_recursion, 0
	.set _ZN2at6native29vectorized_elementwise_kernelILi16EZZZNS0_12_GLOBAL__N_117hardshrink_kernelERNS_18TensorIteratorBaseERKN3c106ScalarEENKUlvE_clEvENKUlvE1_clEvEUlNS5_4HalfEE_St5arrayIPcLm2EEEEviT0_T1_.has_indirect_call, 0
	.section	.AMDGPU.csdata,"",@progbits
; Kernel info:
; codeLenInByte = 1656
; TotalNumSgprs: 20
; NumVgprs: 12
; ScratchSize: 0
; MemoryBound: 0
; FloatMode: 240
; IeeeMode: 1
; LDSByteSize: 0 bytes/workgroup (compile time only)
; SGPRBlocks: 0
; VGPRBlocks: 0
; NumSGPRsForWavesPerEU: 20
; NumVGPRsForWavesPerEU: 12
; NamedBarCnt: 0
; Occupancy: 16
; WaveLimiterHint : 0
; COMPUTE_PGM_RSRC2:SCRATCH_EN: 0
; COMPUTE_PGM_RSRC2:USER_SGPR: 2
; COMPUTE_PGM_RSRC2:TRAP_HANDLER: 0
; COMPUTE_PGM_RSRC2:TGID_X_EN: 1
; COMPUTE_PGM_RSRC2:TGID_Y_EN: 0
; COMPUTE_PGM_RSRC2:TGID_Z_EN: 0
; COMPUTE_PGM_RSRC2:TIDIG_COMP_CNT: 0
	.section	.text._ZN2at6native29vectorized_elementwise_kernelILi8EZZZNS0_12_GLOBAL__N_117hardshrink_kernelERNS_18TensorIteratorBaseERKN3c106ScalarEENKUlvE_clEvENKUlvE1_clEvEUlNS5_4HalfEE_St5arrayIPcLm2EEEEviT0_T1_,"axG",@progbits,_ZN2at6native29vectorized_elementwise_kernelILi8EZZZNS0_12_GLOBAL__N_117hardshrink_kernelERNS_18TensorIteratorBaseERKN3c106ScalarEENKUlvE_clEvENKUlvE1_clEvEUlNS5_4HalfEE_St5arrayIPcLm2EEEEviT0_T1_,comdat
	.globl	_ZN2at6native29vectorized_elementwise_kernelILi8EZZZNS0_12_GLOBAL__N_117hardshrink_kernelERNS_18TensorIteratorBaseERKN3c106ScalarEENKUlvE_clEvENKUlvE1_clEvEUlNS5_4HalfEE_St5arrayIPcLm2EEEEviT0_T1_ ; -- Begin function _ZN2at6native29vectorized_elementwise_kernelILi8EZZZNS0_12_GLOBAL__N_117hardshrink_kernelERNS_18TensorIteratorBaseERKN3c106ScalarEENKUlvE_clEvENKUlvE1_clEvEUlNS5_4HalfEE_St5arrayIPcLm2EEEEviT0_T1_
	.p2align	8
	.type	_ZN2at6native29vectorized_elementwise_kernelILi8EZZZNS0_12_GLOBAL__N_117hardshrink_kernelERNS_18TensorIteratorBaseERKN3c106ScalarEENKUlvE_clEvENKUlvE1_clEvEUlNS5_4HalfEE_St5arrayIPcLm2EEEEviT0_T1_,@function
_ZN2at6native29vectorized_elementwise_kernelILi8EZZZNS0_12_GLOBAL__N_117hardshrink_kernelERNS_18TensorIteratorBaseERKN3c106ScalarEENKUlvE_clEvENKUlvE1_clEvEUlNS5_4HalfEE_St5arrayIPcLm2EEEEviT0_T1_: ; @_ZN2at6native29vectorized_elementwise_kernelILi8EZZZNS0_12_GLOBAL__N_117hardshrink_kernelERNS_18TensorIteratorBaseERKN3c106ScalarEENKUlvE_clEvENKUlvE1_clEvEUlNS5_4HalfEE_St5arrayIPcLm2EEEEviT0_T1_
; %bb.0:
	s_clause 0x1
	s_load_b64 s[8:9], s[0:1], 0x0
	s_load_b128 s[4:7], s[0:1], 0x8
	s_wait_xcnt 0x0
	s_bfe_u32 s0, ttmp6, 0x4000c
	s_and_b32 s1, ttmp6, 15
	s_add_co_i32 s0, s0, 1
	s_getreg_b32 s2, hwreg(HW_REG_IB_STS2, 6, 4)
	s_mul_i32 s0, ttmp9, s0
	s_delay_alu instid0(SALU_CYCLE_1) | instskip(SKIP_2) | instid1(SALU_CYCLE_1)
	s_add_co_i32 s1, s1, s0
	s_cmp_eq_u32 s2, 0
	s_cselect_b32 s0, ttmp9, s1
	s_lshl_b32 s10, s0, 11
	s_mov_b32 s0, -1
	s_wait_kmcnt 0x0
	s_sub_co_i32 s8, s8, s10
	s_delay_alu instid0(SALU_CYCLE_1)
	s_cmp_gt_i32 s8, 0x7ff
	s_cbranch_scc0 .LBB17_2
; %bb.1:
	s_ashr_i32 s11, s10, 31
	s_delay_alu instid0(SALU_CYCLE_1) | instskip(NEXT) | instid1(SALU_CYCLE_1)
	s_lshl_b64 s[12:13], s[10:11], 1
	s_add_nc_u64 s[0:1], s[6:7], s[12:13]
	global_load_b128 v[2:5], v0, s[0:1] scale_offset
	s_wait_loadcnt 0x0
	v_cmp_nle_f16_e64 s11, -s9, v2
	v_cmp_nge_f16_e32 vcc_lo, s9, v2
	v_dual_lshrrev_b32 v1, 16, v2 :: v_dual_lshrrev_b32 v6, 16, v3
	v_cmp_nle_f16_e64 s14, -s9, v3
	v_cmp_nge_f16_e64 s0, s9, v3
	v_cmp_nle_f16_e64 s15, -s9, v4
	v_cmp_nge_f16_e64 s1, s9, v4
	v_dual_lshrrev_b32 v7, 16, v4 :: v_dual_lshrrev_b32 v8, 16, v5
	v_cmp_nle_f16_e64 s16, -s9, v5
	v_cmp_nge_f16_e64 s2, s9, v5
	s_or_b32 vcc_lo, s11, vcc_lo
	v_cmp_nle_f16_e64 s11, -s9, v6
	s_or_b32 s0, s14, s0
	s_delay_alu instid0(SALU_CYCLE_1) | instskip(SKIP_4) | instid1(SALU_CYCLE_1)
	v_dual_cndmask_b32 v2, 0, v2, vcc_lo :: v_dual_cndmask_b32 v3, 0, v3, s0
	v_cmp_nge_f16_e32 vcc_lo, s9, v6
	s_or_b32 s1, s15, s1
	v_cmp_nle_f16_e64 s15, -s9, v8
	s_or_b32 s2, s16, s2
	v_dual_cndmask_b32 v4, 0, v4, s1 :: v_dual_cndmask_b32 v5, 0, v5, s2
	v_cmp_nge_f16_e64 s1, s9, v8
	v_cmp_nle_f16_e64 s14, -s9, v7
	v_cmp_nge_f16_e64 s0, s9, v7
	s_or_b32 vcc_lo, s11, vcc_lo
	v_cmp_nle_f16_e64 s17, -s9, v1
	v_cmp_nge_f16_e64 s3, s9, v1
	v_cndmask_b32_e32 v6, 0, v6, vcc_lo
	s_or_b32 vcc_lo, s15, s1
	v_cndmask_b32_e32 v8, 0, v8, vcc_lo
	s_or_b32 vcc_lo, s14, s0
	s_delay_alu instid0(VALU_DEP_2)
	v_perm_b32 v3, v6, v3, 0x5040100
	v_cndmask_b32_e32 v7, 0, v7, vcc_lo
	s_or_b32 vcc_lo, s17, s3
	v_perm_b32 v5, v8, v5, 0x5040100
	v_cndmask_b32_e32 v1, 0, v1, vcc_lo
	s_add_nc_u64 s[2:3], s[4:5], s[12:13]
	v_perm_b32 v4, v7, v4, 0x5040100
	s_mov_b32 s0, 0
	s_delay_alu instid0(VALU_DEP_2)
	v_perm_b32 v2, v1, v2, 0x5040100
	global_store_b128 v0, v[2:5], s[2:3] scale_offset
.LBB17_2:
	s_and_not1_b32 vcc_lo, exec_lo, s0
	s_cbranch_vccnz .LBB17_27
; %bb.3:
	v_cmp_gt_i32_e32 vcc_lo, s8, v0
	s_wait_xcnt 0x0
	v_dual_mov_b32 v1, 0 :: v_dual_bitop2_b32 v5, s10, v0 bitop3:0x54
	v_or_b32_e32 v6, 0x100, v0
	v_dual_mov_b32 v7, 0 :: v_dual_mov_b32 v11, v0
	s_and_saveexec_b32 s0, vcc_lo
	s_cbranch_execz .LBB17_5
; %bb.4:
	global_load_u16 v7, v5, s[6:7] scale_offset
	v_or_b32_e32 v11, 0x100, v0
.LBB17_5:
	s_wait_xcnt 0x0
	s_or_b32 exec_lo, exec_lo, s0
	s_delay_alu instid0(SALU_CYCLE_1) | instskip(NEXT) | instid1(VALU_DEP_1)
	s_mov_b32 s1, exec_lo
	v_cmpx_gt_i32_e64 s8, v11
	s_cbranch_execz .LBB17_7
; %bb.6:
	v_add_nc_u32_e32 v1, s10, v11
	v_add_nc_u32_e32 v11, 0x100, v11
	global_load_u16 v1, v1, s[6:7] scale_offset
.LBB17_7:
	s_wait_xcnt 0x0
	s_or_b32 exec_lo, exec_lo, s1
	v_dual_mov_b32 v2, 0 :: v_dual_mov_b32 v8, 0
	s_mov_b32 s1, exec_lo
	v_cmpx_gt_i32_e64 s8, v11
	s_cbranch_execz .LBB17_9
; %bb.8:
	v_add_nc_u32_e32 v3, s10, v11
	v_add_nc_u32_e32 v11, 0x100, v11
	global_load_u16 v8, v3, s[6:7] scale_offset
.LBB17_9:
	s_wait_xcnt 0x0
	s_or_b32 exec_lo, exec_lo, s1
	s_delay_alu instid0(SALU_CYCLE_1)
	s_mov_b32 s1, exec_lo
	v_cmpx_gt_i32_e64 s8, v11
	s_cbranch_execz .LBB17_11
; %bb.10:
	v_add_nc_u32_e32 v2, s10, v11
	v_add_nc_u32_e32 v11, 0x100, v11
	global_load_u16 v2, v2, s[6:7] scale_offset
.LBB17_11:
	s_wait_xcnt 0x0
	s_or_b32 exec_lo, exec_lo, s1
	v_dual_mov_b32 v3, 0 :: v_dual_mov_b32 v9, 0
	s_mov_b32 s1, exec_lo
	v_cmpx_gt_i32_e64 s8, v11
	s_cbranch_execz .LBB17_13
; %bb.12:
	v_add_nc_u32_e32 v4, s10, v11
	v_add_nc_u32_e32 v11, 0x100, v11
	global_load_u16 v9, v4, s[6:7] scale_offset
.LBB17_13:
	s_wait_xcnt 0x0
	s_or_b32 exec_lo, exec_lo, s1
	s_delay_alu instid0(SALU_CYCLE_1)
	s_mov_b32 s1, exec_lo
	v_cmpx_gt_i32_e64 s8, v11
	s_cbranch_execz .LBB17_15
; %bb.14:
	v_add_nc_u32_e32 v3, s10, v11
	v_add_nc_u32_e32 v11, 0x100, v11
	global_load_u16 v3, v3, s[6:7] scale_offset
.LBB17_15:
	s_wait_xcnt 0x0
	s_or_b32 exec_lo, exec_lo, s1
	v_dual_mov_b32 v4, 0 :: v_dual_mov_b32 v10, 0
	s_mov_b32 s1, exec_lo
	v_cmpx_gt_i32_e64 s8, v11
	s_cbranch_execnz .LBB17_28
; %bb.16:
	s_or_b32 exec_lo, exec_lo, s1
	s_delay_alu instid0(SALU_CYCLE_1)
	s_mov_b32 s1, exec_lo
	v_cmpx_gt_i32_e64 s8, v11
	s_cbranch_execnz .LBB17_29
.LBB17_17:
	s_or_b32 exec_lo, exec_lo, s1
	s_and_saveexec_b32 s0, vcc_lo
	s_cbranch_execz .LBB17_19
.LBB17_18:
	s_wait_loadcnt 0x0
	v_cmp_nge_f16_e64 s1, v7, -s9
	v_cmp_nge_f16_e32 vcc_lo, s9, v7
	v_mov_b32_e32 v0, v6
	s_or_b32 vcc_lo, s1, vcc_lo
	v_cndmask_b32_e32 v7, 0, v7, vcc_lo
	global_store_b16 v5, v7, s[4:5] scale_offset
.LBB17_19:
	s_wait_xcnt 0x0
	s_or_b32 exec_lo, exec_lo, s0
	s_xor_b32 s1, s9, 0x8000
	s_mov_b32 s2, exec_lo
	v_cmpx_gt_i32_e64 s8, v0
	s_cbranch_execnz .LBB17_30
; %bb.20:
	s_or_b32 exec_lo, exec_lo, s2
	s_delay_alu instid0(SALU_CYCLE_1)
	s_mov_b32 s2, exec_lo
	v_cmpx_gt_i32_e64 s8, v0
	s_cbranch_execnz .LBB17_31
.LBB17_21:
	s_or_b32 exec_lo, exec_lo, s2
	s_delay_alu instid0(SALU_CYCLE_1)
	s_mov_b32 s2, exec_lo
	v_cmpx_gt_i32_e64 s8, v0
	s_cbranch_execnz .LBB17_32
.LBB17_22:
	s_or_b32 exec_lo, exec_lo, s2
	s_delay_alu instid0(SALU_CYCLE_1)
	s_mov_b32 s2, exec_lo
	v_cmpx_gt_i32_e64 s8, v0
	s_cbranch_execnz .LBB17_33
.LBB17_23:
	s_or_b32 exec_lo, exec_lo, s2
	s_delay_alu instid0(SALU_CYCLE_1)
	s_mov_b32 s2, exec_lo
	v_cmpx_gt_i32_e64 s8, v0
	s_cbranch_execnz .LBB17_34
.LBB17_24:
	s_or_b32 exec_lo, exec_lo, s2
	s_delay_alu instid0(SALU_CYCLE_1)
	s_mov_b32 s2, exec_lo
	v_cmpx_gt_i32_e64 s8, v0
	s_cbranch_execnz .LBB17_35
.LBB17_25:
	s_or_b32 exec_lo, exec_lo, s2
	s_delay_alu instid0(SALU_CYCLE_1)
	s_mov_b32 s0, exec_lo
	v_cmpx_gt_i32_e64 s8, v0
	s_cbranch_execz .LBB17_27
.LBB17_26:
	s_wait_loadcnt 0x0
	v_cmp_nle_f16_e32 vcc_lo, s1, v4
	v_cmp_nge_f16_e64 s0, s9, v4
	v_add_nc_u32_e32 v0, s10, v0
	s_or_b32 vcc_lo, vcc_lo, s0
	v_cndmask_b32_e32 v1, 0, v4, vcc_lo
	global_store_b16 v0, v1, s[4:5] scale_offset
.LBB17_27:
	s_endpgm
.LBB17_28:
	v_add_nc_u32_e32 v10, s10, v11
	v_add_nc_u32_e32 v11, 0x100, v11
	global_load_u16 v10, v10, s[6:7] scale_offset
	s_wait_xcnt 0x0
	s_or_b32 exec_lo, exec_lo, s1
	s_delay_alu instid0(SALU_CYCLE_1)
	s_mov_b32 s1, exec_lo
	v_cmpx_gt_i32_e64 s8, v11
	s_cbranch_execz .LBB17_17
.LBB17_29:
	v_add_nc_u32_e32 v4, s10, v11
	global_load_u16 v4, v4, s[6:7] scale_offset
	s_wait_xcnt 0x0
	s_or_b32 exec_lo, exec_lo, s1
	s_and_saveexec_b32 s0, vcc_lo
	s_cbranch_execnz .LBB17_18
	s_branch .LBB17_19
.LBB17_30:
	s_wait_loadcnt 0x0
	v_cmp_nle_f16_e32 vcc_lo, s1, v1
	v_cmp_nge_f16_e64 s0, s9, v1
	v_add_nc_u32_e32 v5, s10, v0
	v_add_nc_u32_e32 v0, 0x100, v0
	s_or_b32 vcc_lo, vcc_lo, s0
	v_cndmask_b32_e32 v1, 0, v1, vcc_lo
	global_store_b16 v5, v1, s[4:5] scale_offset
	s_wait_xcnt 0x0
	s_or_b32 exec_lo, exec_lo, s2
	s_delay_alu instid0(SALU_CYCLE_1)
	s_mov_b32 s2, exec_lo
	v_cmpx_gt_i32_e64 s8, v0
	s_cbranch_execz .LBB17_21
.LBB17_31:
	s_wait_loadcnt 0x0
	v_cmp_nle_f16_e32 vcc_lo, s1, v8
	v_cmp_nge_f16_e64 s0, s9, v8
	v_add_nc_u32_e32 v5, s10, v0
	v_add_nc_u32_e32 v0, 0x100, v0
	s_or_b32 vcc_lo, vcc_lo, s0
	v_cndmask_b32_e32 v1, 0, v8, vcc_lo
	global_store_b16 v5, v1, s[4:5] scale_offset
	s_wait_xcnt 0x0
	s_or_b32 exec_lo, exec_lo, s2
	s_delay_alu instid0(SALU_CYCLE_1)
	s_mov_b32 s2, exec_lo
	v_cmpx_gt_i32_e64 s8, v0
	s_cbranch_execz .LBB17_22
.LBB17_32:
	s_wait_loadcnt 0x0
	v_cmp_nle_f16_e32 vcc_lo, s1, v2
	v_cmp_nge_f16_e64 s0, s9, v2
	s_or_b32 vcc_lo, vcc_lo, s0
	v_dual_cndmask_b32 v1, 0, v2 :: v_dual_add_nc_u32 v2, s10, v0
	v_add_nc_u32_e32 v0, 0x100, v0
	global_store_b16 v2, v1, s[4:5] scale_offset
	s_wait_xcnt 0x0
	s_or_b32 exec_lo, exec_lo, s2
	s_delay_alu instid0(SALU_CYCLE_1)
	s_mov_b32 s2, exec_lo
	v_cmpx_gt_i32_e64 s8, v0
	s_cbranch_execz .LBB17_23
.LBB17_33:
	s_wait_loadcnt 0x0
	v_cmp_nle_f16_e32 vcc_lo, s1, v9
	v_cmp_nge_f16_e64 s0, s9, v9
	v_add_nc_u32_e32 v2, s10, v0
	v_add_nc_u32_e32 v0, 0x100, v0
	s_or_b32 vcc_lo, vcc_lo, s0
	v_cndmask_b32_e32 v1, 0, v9, vcc_lo
	global_store_b16 v2, v1, s[4:5] scale_offset
	s_wait_xcnt 0x0
	s_or_b32 exec_lo, exec_lo, s2
	s_delay_alu instid0(SALU_CYCLE_1)
	s_mov_b32 s2, exec_lo
	v_cmpx_gt_i32_e64 s8, v0
	s_cbranch_execz .LBB17_24
.LBB17_34:
	s_wait_loadcnt 0x0
	v_cmp_nle_f16_e32 vcc_lo, s1, v3
	v_cmp_nge_f16_e64 s0, s9, v3
	v_add_nc_u32_e32 v2, s10, v0
	v_add_nc_u32_e32 v0, 0x100, v0
	s_or_b32 vcc_lo, vcc_lo, s0
	v_cndmask_b32_e32 v1, 0, v3, vcc_lo
	global_store_b16 v2, v1, s[4:5] scale_offset
	s_wait_xcnt 0x0
	s_or_b32 exec_lo, exec_lo, s2
	s_delay_alu instid0(SALU_CYCLE_1)
	s_mov_b32 s2, exec_lo
	v_cmpx_gt_i32_e64 s8, v0
	s_cbranch_execz .LBB17_25
.LBB17_35:
	s_wait_loadcnt 0x0
	v_cmp_nle_f16_e32 vcc_lo, s1, v10
	v_cmp_nge_f16_e64 s0, s9, v10
	v_add_nc_u32_e32 v2, s10, v0
	v_add_nc_u32_e32 v0, 0x100, v0
	s_or_b32 vcc_lo, vcc_lo, s0
	v_cndmask_b32_e32 v1, 0, v10, vcc_lo
	global_store_b16 v2, v1, s[4:5] scale_offset
	s_wait_xcnt 0x0
	s_or_b32 exec_lo, exec_lo, s2
	s_delay_alu instid0(SALU_CYCLE_1)
	s_mov_b32 s0, exec_lo
	v_cmpx_gt_i32_e64 s8, v0
	s_cbranch_execnz .LBB17_26
	s_branch .LBB17_27
	.section	.rodata,"a",@progbits
	.p2align	6, 0x0
	.amdhsa_kernel _ZN2at6native29vectorized_elementwise_kernelILi8EZZZNS0_12_GLOBAL__N_117hardshrink_kernelERNS_18TensorIteratorBaseERKN3c106ScalarEENKUlvE_clEvENKUlvE1_clEvEUlNS5_4HalfEE_St5arrayIPcLm2EEEEviT0_T1_
		.amdhsa_group_segment_fixed_size 0
		.amdhsa_private_segment_fixed_size 0
		.amdhsa_kernarg_size 24
		.amdhsa_user_sgpr_count 2
		.amdhsa_user_sgpr_dispatch_ptr 0
		.amdhsa_user_sgpr_queue_ptr 0
		.amdhsa_user_sgpr_kernarg_segment_ptr 1
		.amdhsa_user_sgpr_dispatch_id 0
		.amdhsa_user_sgpr_kernarg_preload_length 0
		.amdhsa_user_sgpr_kernarg_preload_offset 0
		.amdhsa_user_sgpr_private_segment_size 0
		.amdhsa_wavefront_size32 1
		.amdhsa_uses_dynamic_stack 0
		.amdhsa_enable_private_segment 0
		.amdhsa_system_sgpr_workgroup_id_x 1
		.amdhsa_system_sgpr_workgroup_id_y 0
		.amdhsa_system_sgpr_workgroup_id_z 0
		.amdhsa_system_sgpr_workgroup_info 0
		.amdhsa_system_vgpr_workitem_id 0
		.amdhsa_next_free_vgpr 12
		.amdhsa_next_free_sgpr 18
		.amdhsa_named_barrier_count 0
		.amdhsa_reserve_vcc 1
		.amdhsa_float_round_mode_32 0
		.amdhsa_float_round_mode_16_64 0
		.amdhsa_float_denorm_mode_32 3
		.amdhsa_float_denorm_mode_16_64 3
		.amdhsa_fp16_overflow 0
		.amdhsa_memory_ordered 1
		.amdhsa_forward_progress 1
		.amdhsa_inst_pref_size 13
		.amdhsa_round_robin_scheduling 0
		.amdhsa_exception_fp_ieee_invalid_op 0
		.amdhsa_exception_fp_denorm_src 0
		.amdhsa_exception_fp_ieee_div_zero 0
		.amdhsa_exception_fp_ieee_overflow 0
		.amdhsa_exception_fp_ieee_underflow 0
		.amdhsa_exception_fp_ieee_inexact 0
		.amdhsa_exception_int_div_zero 0
	.end_amdhsa_kernel
	.section	.text._ZN2at6native29vectorized_elementwise_kernelILi8EZZZNS0_12_GLOBAL__N_117hardshrink_kernelERNS_18TensorIteratorBaseERKN3c106ScalarEENKUlvE_clEvENKUlvE1_clEvEUlNS5_4HalfEE_St5arrayIPcLm2EEEEviT0_T1_,"axG",@progbits,_ZN2at6native29vectorized_elementwise_kernelILi8EZZZNS0_12_GLOBAL__N_117hardshrink_kernelERNS_18TensorIteratorBaseERKN3c106ScalarEENKUlvE_clEvENKUlvE1_clEvEUlNS5_4HalfEE_St5arrayIPcLm2EEEEviT0_T1_,comdat
.Lfunc_end17:
	.size	_ZN2at6native29vectorized_elementwise_kernelILi8EZZZNS0_12_GLOBAL__N_117hardshrink_kernelERNS_18TensorIteratorBaseERKN3c106ScalarEENKUlvE_clEvENKUlvE1_clEvEUlNS5_4HalfEE_St5arrayIPcLm2EEEEviT0_T1_, .Lfunc_end17-_ZN2at6native29vectorized_elementwise_kernelILi8EZZZNS0_12_GLOBAL__N_117hardshrink_kernelERNS_18TensorIteratorBaseERKN3c106ScalarEENKUlvE_clEvENKUlvE1_clEvEUlNS5_4HalfEE_St5arrayIPcLm2EEEEviT0_T1_
                                        ; -- End function
	.set _ZN2at6native29vectorized_elementwise_kernelILi8EZZZNS0_12_GLOBAL__N_117hardshrink_kernelERNS_18TensorIteratorBaseERKN3c106ScalarEENKUlvE_clEvENKUlvE1_clEvEUlNS5_4HalfEE_St5arrayIPcLm2EEEEviT0_T1_.num_vgpr, 12
	.set _ZN2at6native29vectorized_elementwise_kernelILi8EZZZNS0_12_GLOBAL__N_117hardshrink_kernelERNS_18TensorIteratorBaseERKN3c106ScalarEENKUlvE_clEvENKUlvE1_clEvEUlNS5_4HalfEE_St5arrayIPcLm2EEEEviT0_T1_.num_agpr, 0
	.set _ZN2at6native29vectorized_elementwise_kernelILi8EZZZNS0_12_GLOBAL__N_117hardshrink_kernelERNS_18TensorIteratorBaseERKN3c106ScalarEENKUlvE_clEvENKUlvE1_clEvEUlNS5_4HalfEE_St5arrayIPcLm2EEEEviT0_T1_.numbered_sgpr, 18
	.set _ZN2at6native29vectorized_elementwise_kernelILi8EZZZNS0_12_GLOBAL__N_117hardshrink_kernelERNS_18TensorIteratorBaseERKN3c106ScalarEENKUlvE_clEvENKUlvE1_clEvEUlNS5_4HalfEE_St5arrayIPcLm2EEEEviT0_T1_.num_named_barrier, 0
	.set _ZN2at6native29vectorized_elementwise_kernelILi8EZZZNS0_12_GLOBAL__N_117hardshrink_kernelERNS_18TensorIteratorBaseERKN3c106ScalarEENKUlvE_clEvENKUlvE1_clEvEUlNS5_4HalfEE_St5arrayIPcLm2EEEEviT0_T1_.private_seg_size, 0
	.set _ZN2at6native29vectorized_elementwise_kernelILi8EZZZNS0_12_GLOBAL__N_117hardshrink_kernelERNS_18TensorIteratorBaseERKN3c106ScalarEENKUlvE_clEvENKUlvE1_clEvEUlNS5_4HalfEE_St5arrayIPcLm2EEEEviT0_T1_.uses_vcc, 1
	.set _ZN2at6native29vectorized_elementwise_kernelILi8EZZZNS0_12_GLOBAL__N_117hardshrink_kernelERNS_18TensorIteratorBaseERKN3c106ScalarEENKUlvE_clEvENKUlvE1_clEvEUlNS5_4HalfEE_St5arrayIPcLm2EEEEviT0_T1_.uses_flat_scratch, 0
	.set _ZN2at6native29vectorized_elementwise_kernelILi8EZZZNS0_12_GLOBAL__N_117hardshrink_kernelERNS_18TensorIteratorBaseERKN3c106ScalarEENKUlvE_clEvENKUlvE1_clEvEUlNS5_4HalfEE_St5arrayIPcLm2EEEEviT0_T1_.has_dyn_sized_stack, 0
	.set _ZN2at6native29vectorized_elementwise_kernelILi8EZZZNS0_12_GLOBAL__N_117hardshrink_kernelERNS_18TensorIteratorBaseERKN3c106ScalarEENKUlvE_clEvENKUlvE1_clEvEUlNS5_4HalfEE_St5arrayIPcLm2EEEEviT0_T1_.has_recursion, 0
	.set _ZN2at6native29vectorized_elementwise_kernelILi8EZZZNS0_12_GLOBAL__N_117hardshrink_kernelERNS_18TensorIteratorBaseERKN3c106ScalarEENKUlvE_clEvENKUlvE1_clEvEUlNS5_4HalfEE_St5arrayIPcLm2EEEEviT0_T1_.has_indirect_call, 0
	.section	.AMDGPU.csdata,"",@progbits
; Kernel info:
; codeLenInByte = 1656
; TotalNumSgprs: 20
; NumVgprs: 12
; ScratchSize: 0
; MemoryBound: 0
; FloatMode: 240
; IeeeMode: 1
; LDSByteSize: 0 bytes/workgroup (compile time only)
; SGPRBlocks: 0
; VGPRBlocks: 0
; NumSGPRsForWavesPerEU: 20
; NumVGPRsForWavesPerEU: 12
; NamedBarCnt: 0
; Occupancy: 16
; WaveLimiterHint : 0
; COMPUTE_PGM_RSRC2:SCRATCH_EN: 0
; COMPUTE_PGM_RSRC2:USER_SGPR: 2
; COMPUTE_PGM_RSRC2:TRAP_HANDLER: 0
; COMPUTE_PGM_RSRC2:TGID_X_EN: 1
; COMPUTE_PGM_RSRC2:TGID_Y_EN: 0
; COMPUTE_PGM_RSRC2:TGID_Z_EN: 0
; COMPUTE_PGM_RSRC2:TIDIG_COMP_CNT: 0
	.section	.text._ZN2at6native29vectorized_elementwise_kernelILi4EZZZNS0_12_GLOBAL__N_117hardshrink_kernelERNS_18TensorIteratorBaseERKN3c106ScalarEENKUlvE_clEvENKUlvE1_clEvEUlNS5_4HalfEE_St5arrayIPcLm2EEEEviT0_T1_,"axG",@progbits,_ZN2at6native29vectorized_elementwise_kernelILi4EZZZNS0_12_GLOBAL__N_117hardshrink_kernelERNS_18TensorIteratorBaseERKN3c106ScalarEENKUlvE_clEvENKUlvE1_clEvEUlNS5_4HalfEE_St5arrayIPcLm2EEEEviT0_T1_,comdat
	.globl	_ZN2at6native29vectorized_elementwise_kernelILi4EZZZNS0_12_GLOBAL__N_117hardshrink_kernelERNS_18TensorIteratorBaseERKN3c106ScalarEENKUlvE_clEvENKUlvE1_clEvEUlNS5_4HalfEE_St5arrayIPcLm2EEEEviT0_T1_ ; -- Begin function _ZN2at6native29vectorized_elementwise_kernelILi4EZZZNS0_12_GLOBAL__N_117hardshrink_kernelERNS_18TensorIteratorBaseERKN3c106ScalarEENKUlvE_clEvENKUlvE1_clEvEUlNS5_4HalfEE_St5arrayIPcLm2EEEEviT0_T1_
	.p2align	8
	.type	_ZN2at6native29vectorized_elementwise_kernelILi4EZZZNS0_12_GLOBAL__N_117hardshrink_kernelERNS_18TensorIteratorBaseERKN3c106ScalarEENKUlvE_clEvENKUlvE1_clEvEUlNS5_4HalfEE_St5arrayIPcLm2EEEEviT0_T1_,@function
_ZN2at6native29vectorized_elementwise_kernelILi4EZZZNS0_12_GLOBAL__N_117hardshrink_kernelERNS_18TensorIteratorBaseERKN3c106ScalarEENKUlvE_clEvENKUlvE1_clEvEUlNS5_4HalfEE_St5arrayIPcLm2EEEEviT0_T1_: ; @_ZN2at6native29vectorized_elementwise_kernelILi4EZZZNS0_12_GLOBAL__N_117hardshrink_kernelERNS_18TensorIteratorBaseERKN3c106ScalarEENKUlvE_clEvENKUlvE1_clEvEUlNS5_4HalfEE_St5arrayIPcLm2EEEEviT0_T1_
; %bb.0:
	s_clause 0x1
	s_load_b64 s[8:9], s[0:1], 0x0
	s_load_b128 s[4:7], s[0:1], 0x8
	s_wait_xcnt 0x0
	s_bfe_u32 s0, ttmp6, 0x4000c
	s_and_b32 s1, ttmp6, 15
	s_add_co_i32 s0, s0, 1
	s_getreg_b32 s2, hwreg(HW_REG_IB_STS2, 6, 4)
	s_mul_i32 s0, ttmp9, s0
	s_delay_alu instid0(SALU_CYCLE_1) | instskip(SKIP_2) | instid1(SALU_CYCLE_1)
	s_add_co_i32 s1, s1, s0
	s_cmp_eq_u32 s2, 0
	s_cselect_b32 s0, ttmp9, s1
	s_lshl_b32 s10, s0, 11
	s_mov_b32 s0, -1
	s_wait_kmcnt 0x0
	s_sub_co_i32 s8, s8, s10
	s_delay_alu instid0(SALU_CYCLE_1)
	s_cmp_gt_i32 s8, 0x7ff
	s_cbranch_scc0 .LBB18_2
; %bb.1:
	s_ashr_i32 s11, s10, 31
	s_delay_alu instid0(SALU_CYCLE_1) | instskip(NEXT) | instid1(SALU_CYCLE_1)
	s_lshl_b64 s[12:13], s[10:11], 1
	s_add_nc_u64 s[0:1], s[6:7], s[12:13]
	s_clause 0x1
	global_load_b64 v[2:3], v0, s[0:1] scale_offset
	global_load_b64 v[4:5], v0, s[0:1] offset:2048 scale_offset
	s_wait_loadcnt 0x1
	v_cmp_nge_f16_e64 s11, v2, -s9
	v_cmp_nge_f16_e32 vcc_lo, s9, v2
	v_dual_lshrrev_b32 v1, 16, v2 :: v_dual_lshrrev_b32 v8, 16, v3
	v_and_b32_e32 v6, 0xffff0000, v2
	v_and_b32_e32 v2, 0xffff, v2
	v_cmp_nge_f16_e64 s14, v3, -s9
	s_wait_xcnt 0x0
	v_cmp_nge_f16_e64 s0, s9, v3
	s_wait_loadcnt 0x0
	v_cmp_nge_f16_e64 s15, v4, -s9
	v_cmp_nge_f16_e64 s1, s9, v4
	v_and_b32_e32 v7, 0xffff, v3
	v_dual_lshrrev_b32 v9, 16, v4 :: v_dual_lshrrev_b32 v12, 16, v5
	v_and_b32_e32 v10, 0xffff0000, v4
	v_and_b32_e32 v4, 0xffff, v4
	v_cmp_nge_f16_e64 s16, v5, -s9
	v_cmp_nge_f16_e64 s2, s9, v5
	s_or_b32 vcc_lo, s11, vcc_lo
	v_and_b32_e32 v11, 0xffff, v5
	v_cmp_nge_f16_e64 s17, v1, -s9
	v_cmp_nge_f16_e64 s3, s9, v1
	v_cndmask_b32_e32 v1, 0, v2, vcc_lo
	s_or_b32 vcc_lo, s14, s0
	s_or_b32 s1, s15, s1
	v_cndmask_b32_e32 v2, 0, v7, vcc_lo
	v_cmp_nge_f16_e64 s11, v8, -s9
	v_cmp_nge_f16_e32 vcc_lo, s9, v8
	v_cmp_nge_f16_e64 s14, v9, -s9
	v_cmp_nge_f16_e64 s0, s9, v9
	v_cndmask_b32_e64 v4, 0, v4, s1
	s_or_b32 s1, s16, s2
	v_and_b32_e32 v3, 0xffff0000, v3
	v_cndmask_b32_e64 v7, 0, v11, s1
	v_cmp_nge_f16_e64 s15, v12, -s9
	v_cmp_nge_f16_e64 s1, s9, v12
	s_or_b32 s2, s17, s3
	s_or_b32 s0, s14, s0
	s_or_b32 vcc_lo, s11, vcc_lo
	s_delay_alu instid0(SALU_CYCLE_1) | instskip(SKIP_2) | instid1(VALU_DEP_2)
	v_dual_cndmask_b32 v6, 0, v6, s2 :: v_dual_cndmask_b32 v3, 0, v3, vcc_lo
	v_and_b32_e32 v5, 0xffff0000, v5
	s_or_b32 vcc_lo, s15, s1
	v_dual_cndmask_b32 v8, 0, v10, s0 :: v_dual_bitop2_b32 v1, v6, v1 bitop3:0x54
	s_delay_alu instid0(VALU_DEP_3) | instskip(NEXT) | instid1(VALU_DEP_3)
	v_or3_b32 v3, 0, v2, v3
	v_cndmask_b32_e32 v5, 0, v5, vcc_lo
	s_add_nc_u64 s[2:3], s[4:5], s[12:13]
	s_delay_alu instid0(VALU_DEP_3) | instskip(SKIP_3) | instid1(VALU_DEP_3)
	v_or_b32_e32 v4, v8, v4
	v_or3_b32 v2, v1, 0, 0
	s_mov_b32 s0, 0
	v_or3_b32 v5, 0, v7, v5
	v_or3_b32 v4, v4, 0, 0
	s_clause 0x1
	global_store_b64 v0, v[2:3], s[2:3] scale_offset
	global_store_b64 v0, v[4:5], s[2:3] offset:2048 scale_offset
.LBB18_2:
	s_and_not1_b32 vcc_lo, exec_lo, s0
	s_cbranch_vccnz .LBB18_27
; %bb.3:
	v_cmp_gt_i32_e32 vcc_lo, s8, v0
	s_wait_xcnt 0x0
	v_dual_mov_b32 v1, 0 :: v_dual_bitop2_b32 v5, s10, v0 bitop3:0x54
	v_or_b32_e32 v6, 0x100, v0
	v_dual_mov_b32 v7, 0 :: v_dual_mov_b32 v11, v0
	s_and_saveexec_b32 s0, vcc_lo
	s_cbranch_execz .LBB18_5
; %bb.4:
	global_load_u16 v7, v5, s[6:7] scale_offset
	v_or_b32_e32 v11, 0x100, v0
.LBB18_5:
	s_wait_xcnt 0x0
	s_or_b32 exec_lo, exec_lo, s0
	s_delay_alu instid0(SALU_CYCLE_1) | instskip(NEXT) | instid1(VALU_DEP_1)
	s_mov_b32 s1, exec_lo
	v_cmpx_gt_i32_e64 s8, v11
	s_cbranch_execz .LBB18_7
; %bb.6:
	v_add_nc_u32_e32 v1, s10, v11
	v_add_nc_u32_e32 v11, 0x100, v11
	global_load_u16 v1, v1, s[6:7] scale_offset
.LBB18_7:
	s_wait_xcnt 0x0
	s_or_b32 exec_lo, exec_lo, s1
	v_dual_mov_b32 v2, 0 :: v_dual_mov_b32 v8, 0
	s_mov_b32 s1, exec_lo
	v_cmpx_gt_i32_e64 s8, v11
	s_cbranch_execz .LBB18_9
; %bb.8:
	v_add_nc_u32_e32 v3, s10, v11
	v_add_nc_u32_e32 v11, 0x100, v11
	global_load_u16 v8, v3, s[6:7] scale_offset
.LBB18_9:
	s_wait_xcnt 0x0
	s_or_b32 exec_lo, exec_lo, s1
	s_delay_alu instid0(SALU_CYCLE_1)
	s_mov_b32 s1, exec_lo
	v_cmpx_gt_i32_e64 s8, v11
	s_cbranch_execz .LBB18_11
; %bb.10:
	v_add_nc_u32_e32 v2, s10, v11
	v_add_nc_u32_e32 v11, 0x100, v11
	global_load_u16 v2, v2, s[6:7] scale_offset
.LBB18_11:
	s_wait_xcnt 0x0
	s_or_b32 exec_lo, exec_lo, s1
	v_dual_mov_b32 v3, 0 :: v_dual_mov_b32 v9, 0
	s_mov_b32 s1, exec_lo
	v_cmpx_gt_i32_e64 s8, v11
	s_cbranch_execz .LBB18_13
; %bb.12:
	v_add_nc_u32_e32 v4, s10, v11
	v_add_nc_u32_e32 v11, 0x100, v11
	global_load_u16 v9, v4, s[6:7] scale_offset
.LBB18_13:
	s_wait_xcnt 0x0
	s_or_b32 exec_lo, exec_lo, s1
	s_delay_alu instid0(SALU_CYCLE_1)
	s_mov_b32 s1, exec_lo
	v_cmpx_gt_i32_e64 s8, v11
	s_cbranch_execz .LBB18_15
; %bb.14:
	v_add_nc_u32_e32 v3, s10, v11
	v_add_nc_u32_e32 v11, 0x100, v11
	global_load_u16 v3, v3, s[6:7] scale_offset
.LBB18_15:
	s_wait_xcnt 0x0
	s_or_b32 exec_lo, exec_lo, s1
	v_dual_mov_b32 v4, 0 :: v_dual_mov_b32 v10, 0
	s_mov_b32 s1, exec_lo
	v_cmpx_gt_i32_e64 s8, v11
	s_cbranch_execnz .LBB18_28
; %bb.16:
	s_or_b32 exec_lo, exec_lo, s1
	s_delay_alu instid0(SALU_CYCLE_1)
	s_mov_b32 s1, exec_lo
	v_cmpx_gt_i32_e64 s8, v11
	s_cbranch_execnz .LBB18_29
.LBB18_17:
	s_or_b32 exec_lo, exec_lo, s1
	s_and_saveexec_b32 s0, vcc_lo
	s_cbranch_execz .LBB18_19
.LBB18_18:
	s_wait_loadcnt 0x0
	v_cmp_nge_f16_e64 s1, v7, -s9
	v_cmp_nge_f16_e32 vcc_lo, s9, v7
	v_mov_b32_e32 v0, v6
	s_or_b32 vcc_lo, s1, vcc_lo
	v_cndmask_b32_e32 v7, 0, v7, vcc_lo
	global_store_b16 v5, v7, s[4:5] scale_offset
.LBB18_19:
	s_wait_xcnt 0x0
	s_or_b32 exec_lo, exec_lo, s0
	s_xor_b32 s1, s9, 0x8000
	s_mov_b32 s2, exec_lo
	v_cmpx_gt_i32_e64 s8, v0
	s_cbranch_execnz .LBB18_30
; %bb.20:
	s_or_b32 exec_lo, exec_lo, s2
	s_delay_alu instid0(SALU_CYCLE_1)
	s_mov_b32 s2, exec_lo
	v_cmpx_gt_i32_e64 s8, v0
	s_cbranch_execnz .LBB18_31
.LBB18_21:
	s_or_b32 exec_lo, exec_lo, s2
	s_delay_alu instid0(SALU_CYCLE_1)
	s_mov_b32 s2, exec_lo
	v_cmpx_gt_i32_e64 s8, v0
	s_cbranch_execnz .LBB18_32
.LBB18_22:
	s_or_b32 exec_lo, exec_lo, s2
	s_delay_alu instid0(SALU_CYCLE_1)
	s_mov_b32 s2, exec_lo
	v_cmpx_gt_i32_e64 s8, v0
	s_cbranch_execnz .LBB18_33
.LBB18_23:
	s_or_b32 exec_lo, exec_lo, s2
	s_delay_alu instid0(SALU_CYCLE_1)
	s_mov_b32 s2, exec_lo
	v_cmpx_gt_i32_e64 s8, v0
	s_cbranch_execnz .LBB18_34
.LBB18_24:
	s_or_b32 exec_lo, exec_lo, s2
	s_delay_alu instid0(SALU_CYCLE_1)
	s_mov_b32 s2, exec_lo
	v_cmpx_gt_i32_e64 s8, v0
	s_cbranch_execnz .LBB18_35
.LBB18_25:
	s_or_b32 exec_lo, exec_lo, s2
	s_delay_alu instid0(SALU_CYCLE_1)
	s_mov_b32 s0, exec_lo
	v_cmpx_gt_i32_e64 s8, v0
	s_cbranch_execz .LBB18_27
.LBB18_26:
	s_wait_loadcnt 0x0
	v_cmp_nle_f16_e32 vcc_lo, s1, v4
	v_cmp_nge_f16_e64 s0, s9, v4
	v_add_nc_u32_e32 v0, s10, v0
	s_or_b32 vcc_lo, vcc_lo, s0
	v_cndmask_b32_e32 v1, 0, v4, vcc_lo
	global_store_b16 v0, v1, s[4:5] scale_offset
.LBB18_27:
	s_endpgm
.LBB18_28:
	v_add_nc_u32_e32 v10, s10, v11
	v_add_nc_u32_e32 v11, 0x100, v11
	global_load_u16 v10, v10, s[6:7] scale_offset
	s_wait_xcnt 0x0
	s_or_b32 exec_lo, exec_lo, s1
	s_delay_alu instid0(SALU_CYCLE_1)
	s_mov_b32 s1, exec_lo
	v_cmpx_gt_i32_e64 s8, v11
	s_cbranch_execz .LBB18_17
.LBB18_29:
	v_add_nc_u32_e32 v4, s10, v11
	global_load_u16 v4, v4, s[6:7] scale_offset
	s_wait_xcnt 0x0
	s_or_b32 exec_lo, exec_lo, s1
	s_and_saveexec_b32 s0, vcc_lo
	s_cbranch_execnz .LBB18_18
	s_branch .LBB18_19
.LBB18_30:
	s_wait_loadcnt 0x0
	v_cmp_nle_f16_e32 vcc_lo, s1, v1
	v_cmp_nge_f16_e64 s0, s9, v1
	v_add_nc_u32_e32 v5, s10, v0
	v_add_nc_u32_e32 v0, 0x100, v0
	s_or_b32 vcc_lo, vcc_lo, s0
	v_cndmask_b32_e32 v1, 0, v1, vcc_lo
	global_store_b16 v5, v1, s[4:5] scale_offset
	s_wait_xcnt 0x0
	s_or_b32 exec_lo, exec_lo, s2
	s_delay_alu instid0(SALU_CYCLE_1)
	s_mov_b32 s2, exec_lo
	v_cmpx_gt_i32_e64 s8, v0
	s_cbranch_execz .LBB18_21
.LBB18_31:
	s_wait_loadcnt 0x0
	v_cmp_nle_f16_e32 vcc_lo, s1, v8
	v_cmp_nge_f16_e64 s0, s9, v8
	v_add_nc_u32_e32 v5, s10, v0
	v_add_nc_u32_e32 v0, 0x100, v0
	s_or_b32 vcc_lo, vcc_lo, s0
	v_cndmask_b32_e32 v1, 0, v8, vcc_lo
	global_store_b16 v5, v1, s[4:5] scale_offset
	s_wait_xcnt 0x0
	s_or_b32 exec_lo, exec_lo, s2
	s_delay_alu instid0(SALU_CYCLE_1)
	s_mov_b32 s2, exec_lo
	v_cmpx_gt_i32_e64 s8, v0
	s_cbranch_execz .LBB18_22
.LBB18_32:
	s_wait_loadcnt 0x0
	v_cmp_nle_f16_e32 vcc_lo, s1, v2
	v_cmp_nge_f16_e64 s0, s9, v2
	s_or_b32 vcc_lo, vcc_lo, s0
	v_dual_cndmask_b32 v1, 0, v2 :: v_dual_add_nc_u32 v2, s10, v0
	v_add_nc_u32_e32 v0, 0x100, v0
	global_store_b16 v2, v1, s[4:5] scale_offset
	s_wait_xcnt 0x0
	s_or_b32 exec_lo, exec_lo, s2
	s_delay_alu instid0(SALU_CYCLE_1)
	s_mov_b32 s2, exec_lo
	v_cmpx_gt_i32_e64 s8, v0
	s_cbranch_execz .LBB18_23
.LBB18_33:
	s_wait_loadcnt 0x0
	v_cmp_nle_f16_e32 vcc_lo, s1, v9
	v_cmp_nge_f16_e64 s0, s9, v9
	v_add_nc_u32_e32 v2, s10, v0
	v_add_nc_u32_e32 v0, 0x100, v0
	s_or_b32 vcc_lo, vcc_lo, s0
	v_cndmask_b32_e32 v1, 0, v9, vcc_lo
	global_store_b16 v2, v1, s[4:5] scale_offset
	s_wait_xcnt 0x0
	s_or_b32 exec_lo, exec_lo, s2
	s_delay_alu instid0(SALU_CYCLE_1)
	s_mov_b32 s2, exec_lo
	v_cmpx_gt_i32_e64 s8, v0
	s_cbranch_execz .LBB18_24
.LBB18_34:
	s_wait_loadcnt 0x0
	v_cmp_nle_f16_e32 vcc_lo, s1, v3
	v_cmp_nge_f16_e64 s0, s9, v3
	v_add_nc_u32_e32 v2, s10, v0
	v_add_nc_u32_e32 v0, 0x100, v0
	s_or_b32 vcc_lo, vcc_lo, s0
	v_cndmask_b32_e32 v1, 0, v3, vcc_lo
	global_store_b16 v2, v1, s[4:5] scale_offset
	s_wait_xcnt 0x0
	s_or_b32 exec_lo, exec_lo, s2
	s_delay_alu instid0(SALU_CYCLE_1)
	s_mov_b32 s2, exec_lo
	v_cmpx_gt_i32_e64 s8, v0
	s_cbranch_execz .LBB18_25
.LBB18_35:
	s_wait_loadcnt 0x0
	v_cmp_nle_f16_e32 vcc_lo, s1, v10
	v_cmp_nge_f16_e64 s0, s9, v10
	v_add_nc_u32_e32 v2, s10, v0
	v_add_nc_u32_e32 v0, 0x100, v0
	s_or_b32 vcc_lo, vcc_lo, s0
	v_cndmask_b32_e32 v1, 0, v10, vcc_lo
	global_store_b16 v2, v1, s[4:5] scale_offset
	s_wait_xcnt 0x0
	s_or_b32 exec_lo, exec_lo, s2
	s_delay_alu instid0(SALU_CYCLE_1)
	s_mov_b32 s0, exec_lo
	v_cmpx_gt_i32_e64 s8, v0
	s_cbranch_execnz .LBB18_26
	s_branch .LBB18_27
	.section	.rodata,"a",@progbits
	.p2align	6, 0x0
	.amdhsa_kernel _ZN2at6native29vectorized_elementwise_kernelILi4EZZZNS0_12_GLOBAL__N_117hardshrink_kernelERNS_18TensorIteratorBaseERKN3c106ScalarEENKUlvE_clEvENKUlvE1_clEvEUlNS5_4HalfEE_St5arrayIPcLm2EEEEviT0_T1_
		.amdhsa_group_segment_fixed_size 0
		.amdhsa_private_segment_fixed_size 0
		.amdhsa_kernarg_size 24
		.amdhsa_user_sgpr_count 2
		.amdhsa_user_sgpr_dispatch_ptr 0
		.amdhsa_user_sgpr_queue_ptr 0
		.amdhsa_user_sgpr_kernarg_segment_ptr 1
		.amdhsa_user_sgpr_dispatch_id 0
		.amdhsa_user_sgpr_kernarg_preload_length 0
		.amdhsa_user_sgpr_kernarg_preload_offset 0
		.amdhsa_user_sgpr_private_segment_size 0
		.amdhsa_wavefront_size32 1
		.amdhsa_uses_dynamic_stack 0
		.amdhsa_enable_private_segment 0
		.amdhsa_system_sgpr_workgroup_id_x 1
		.amdhsa_system_sgpr_workgroup_id_y 0
		.amdhsa_system_sgpr_workgroup_id_z 0
		.amdhsa_system_sgpr_workgroup_info 0
		.amdhsa_system_vgpr_workitem_id 0
		.amdhsa_next_free_vgpr 13
		.amdhsa_next_free_sgpr 18
		.amdhsa_named_barrier_count 0
		.amdhsa_reserve_vcc 1
		.amdhsa_float_round_mode_32 0
		.amdhsa_float_round_mode_16_64 0
		.amdhsa_float_denorm_mode_32 3
		.amdhsa_float_denorm_mode_16_64 3
		.amdhsa_fp16_overflow 0
		.amdhsa_memory_ordered 1
		.amdhsa_forward_progress 1
		.amdhsa_inst_pref_size 14
		.amdhsa_round_robin_scheduling 0
		.amdhsa_exception_fp_ieee_invalid_op 0
		.amdhsa_exception_fp_denorm_src 0
		.amdhsa_exception_fp_ieee_div_zero 0
		.amdhsa_exception_fp_ieee_overflow 0
		.amdhsa_exception_fp_ieee_underflow 0
		.amdhsa_exception_fp_ieee_inexact 0
		.amdhsa_exception_int_div_zero 0
	.end_amdhsa_kernel
	.section	.text._ZN2at6native29vectorized_elementwise_kernelILi4EZZZNS0_12_GLOBAL__N_117hardshrink_kernelERNS_18TensorIteratorBaseERKN3c106ScalarEENKUlvE_clEvENKUlvE1_clEvEUlNS5_4HalfEE_St5arrayIPcLm2EEEEviT0_T1_,"axG",@progbits,_ZN2at6native29vectorized_elementwise_kernelILi4EZZZNS0_12_GLOBAL__N_117hardshrink_kernelERNS_18TensorIteratorBaseERKN3c106ScalarEENKUlvE_clEvENKUlvE1_clEvEUlNS5_4HalfEE_St5arrayIPcLm2EEEEviT0_T1_,comdat
.Lfunc_end18:
	.size	_ZN2at6native29vectorized_elementwise_kernelILi4EZZZNS0_12_GLOBAL__N_117hardshrink_kernelERNS_18TensorIteratorBaseERKN3c106ScalarEENKUlvE_clEvENKUlvE1_clEvEUlNS5_4HalfEE_St5arrayIPcLm2EEEEviT0_T1_, .Lfunc_end18-_ZN2at6native29vectorized_elementwise_kernelILi4EZZZNS0_12_GLOBAL__N_117hardshrink_kernelERNS_18TensorIteratorBaseERKN3c106ScalarEENKUlvE_clEvENKUlvE1_clEvEUlNS5_4HalfEE_St5arrayIPcLm2EEEEviT0_T1_
                                        ; -- End function
	.set _ZN2at6native29vectorized_elementwise_kernelILi4EZZZNS0_12_GLOBAL__N_117hardshrink_kernelERNS_18TensorIteratorBaseERKN3c106ScalarEENKUlvE_clEvENKUlvE1_clEvEUlNS5_4HalfEE_St5arrayIPcLm2EEEEviT0_T1_.num_vgpr, 13
	.set _ZN2at6native29vectorized_elementwise_kernelILi4EZZZNS0_12_GLOBAL__N_117hardshrink_kernelERNS_18TensorIteratorBaseERKN3c106ScalarEENKUlvE_clEvENKUlvE1_clEvEUlNS5_4HalfEE_St5arrayIPcLm2EEEEviT0_T1_.num_agpr, 0
	.set _ZN2at6native29vectorized_elementwise_kernelILi4EZZZNS0_12_GLOBAL__N_117hardshrink_kernelERNS_18TensorIteratorBaseERKN3c106ScalarEENKUlvE_clEvENKUlvE1_clEvEUlNS5_4HalfEE_St5arrayIPcLm2EEEEviT0_T1_.numbered_sgpr, 18
	.set _ZN2at6native29vectorized_elementwise_kernelILi4EZZZNS0_12_GLOBAL__N_117hardshrink_kernelERNS_18TensorIteratorBaseERKN3c106ScalarEENKUlvE_clEvENKUlvE1_clEvEUlNS5_4HalfEE_St5arrayIPcLm2EEEEviT0_T1_.num_named_barrier, 0
	.set _ZN2at6native29vectorized_elementwise_kernelILi4EZZZNS0_12_GLOBAL__N_117hardshrink_kernelERNS_18TensorIteratorBaseERKN3c106ScalarEENKUlvE_clEvENKUlvE1_clEvEUlNS5_4HalfEE_St5arrayIPcLm2EEEEviT0_T1_.private_seg_size, 0
	.set _ZN2at6native29vectorized_elementwise_kernelILi4EZZZNS0_12_GLOBAL__N_117hardshrink_kernelERNS_18TensorIteratorBaseERKN3c106ScalarEENKUlvE_clEvENKUlvE1_clEvEUlNS5_4HalfEE_St5arrayIPcLm2EEEEviT0_T1_.uses_vcc, 1
	.set _ZN2at6native29vectorized_elementwise_kernelILi4EZZZNS0_12_GLOBAL__N_117hardshrink_kernelERNS_18TensorIteratorBaseERKN3c106ScalarEENKUlvE_clEvENKUlvE1_clEvEUlNS5_4HalfEE_St5arrayIPcLm2EEEEviT0_T1_.uses_flat_scratch, 0
	.set _ZN2at6native29vectorized_elementwise_kernelILi4EZZZNS0_12_GLOBAL__N_117hardshrink_kernelERNS_18TensorIteratorBaseERKN3c106ScalarEENKUlvE_clEvENKUlvE1_clEvEUlNS5_4HalfEE_St5arrayIPcLm2EEEEviT0_T1_.has_dyn_sized_stack, 0
	.set _ZN2at6native29vectorized_elementwise_kernelILi4EZZZNS0_12_GLOBAL__N_117hardshrink_kernelERNS_18TensorIteratorBaseERKN3c106ScalarEENKUlvE_clEvENKUlvE1_clEvEUlNS5_4HalfEE_St5arrayIPcLm2EEEEviT0_T1_.has_recursion, 0
	.set _ZN2at6native29vectorized_elementwise_kernelILi4EZZZNS0_12_GLOBAL__N_117hardshrink_kernelERNS_18TensorIteratorBaseERKN3c106ScalarEENKUlvE_clEvENKUlvE1_clEvEUlNS5_4HalfEE_St5arrayIPcLm2EEEEviT0_T1_.has_indirect_call, 0
	.section	.AMDGPU.csdata,"",@progbits
; Kernel info:
; codeLenInByte = 1760
; TotalNumSgprs: 20
; NumVgprs: 13
; ScratchSize: 0
; MemoryBound: 0
; FloatMode: 240
; IeeeMode: 1
; LDSByteSize: 0 bytes/workgroup (compile time only)
; SGPRBlocks: 0
; VGPRBlocks: 0
; NumSGPRsForWavesPerEU: 20
; NumVGPRsForWavesPerEU: 13
; NamedBarCnt: 0
; Occupancy: 16
; WaveLimiterHint : 1
; COMPUTE_PGM_RSRC2:SCRATCH_EN: 0
; COMPUTE_PGM_RSRC2:USER_SGPR: 2
; COMPUTE_PGM_RSRC2:TRAP_HANDLER: 0
; COMPUTE_PGM_RSRC2:TGID_X_EN: 1
; COMPUTE_PGM_RSRC2:TGID_Y_EN: 0
; COMPUTE_PGM_RSRC2:TGID_Z_EN: 0
; COMPUTE_PGM_RSRC2:TIDIG_COMP_CNT: 0
	.section	.text._ZN2at6native29vectorized_elementwise_kernelILi2EZZZNS0_12_GLOBAL__N_117hardshrink_kernelERNS_18TensorIteratorBaseERKN3c106ScalarEENKUlvE_clEvENKUlvE1_clEvEUlNS5_4HalfEE_St5arrayIPcLm2EEEEviT0_T1_,"axG",@progbits,_ZN2at6native29vectorized_elementwise_kernelILi2EZZZNS0_12_GLOBAL__N_117hardshrink_kernelERNS_18TensorIteratorBaseERKN3c106ScalarEENKUlvE_clEvENKUlvE1_clEvEUlNS5_4HalfEE_St5arrayIPcLm2EEEEviT0_T1_,comdat
	.globl	_ZN2at6native29vectorized_elementwise_kernelILi2EZZZNS0_12_GLOBAL__N_117hardshrink_kernelERNS_18TensorIteratorBaseERKN3c106ScalarEENKUlvE_clEvENKUlvE1_clEvEUlNS5_4HalfEE_St5arrayIPcLm2EEEEviT0_T1_ ; -- Begin function _ZN2at6native29vectorized_elementwise_kernelILi2EZZZNS0_12_GLOBAL__N_117hardshrink_kernelERNS_18TensorIteratorBaseERKN3c106ScalarEENKUlvE_clEvENKUlvE1_clEvEUlNS5_4HalfEE_St5arrayIPcLm2EEEEviT0_T1_
	.p2align	8
	.type	_ZN2at6native29vectorized_elementwise_kernelILi2EZZZNS0_12_GLOBAL__N_117hardshrink_kernelERNS_18TensorIteratorBaseERKN3c106ScalarEENKUlvE_clEvENKUlvE1_clEvEUlNS5_4HalfEE_St5arrayIPcLm2EEEEviT0_T1_,@function
_ZN2at6native29vectorized_elementwise_kernelILi2EZZZNS0_12_GLOBAL__N_117hardshrink_kernelERNS_18TensorIteratorBaseERKN3c106ScalarEENKUlvE_clEvENKUlvE1_clEvEUlNS5_4HalfEE_St5arrayIPcLm2EEEEviT0_T1_: ; @_ZN2at6native29vectorized_elementwise_kernelILi2EZZZNS0_12_GLOBAL__N_117hardshrink_kernelERNS_18TensorIteratorBaseERKN3c106ScalarEENKUlvE_clEvENKUlvE1_clEvEUlNS5_4HalfEE_St5arrayIPcLm2EEEEviT0_T1_
; %bb.0:
	s_clause 0x1
	s_load_b64 s[2:3], s[0:1], 0x0
	s_load_b128 s[4:7], s[0:1], 0x8
	s_wait_xcnt 0x0
	s_bfe_u32 s0, ttmp6, 0x4000c
	s_and_b32 s1, ttmp6, 15
	s_add_co_i32 s0, s0, 1
	s_getreg_b32 s8, hwreg(HW_REG_IB_STS2, 6, 4)
	s_mul_i32 s0, ttmp9, s0
	s_delay_alu instid0(SALU_CYCLE_1) | instskip(SKIP_2) | instid1(SALU_CYCLE_1)
	s_add_co_i32 s1, s1, s0
	s_cmp_eq_u32 s8, 0
	s_cselect_b32 s0, ttmp9, s1
	s_lshl_b32 s8, s0, 11
	s_mov_b32 s0, -1
	s_wait_kmcnt 0x0
	s_sub_co_i32 s10, s2, s8
	s_delay_alu instid0(SALU_CYCLE_1)
	s_cmp_gt_i32 s10, 0x7ff
	s_cbranch_scc0 .LBB19_2
; %bb.1:
	s_ashr_i32 s9, s8, 31
	s_delay_alu instid0(SALU_CYCLE_1) | instskip(NEXT) | instid1(SALU_CYCLE_1)
	s_lshl_b64 s[12:13], s[8:9], 1
	s_add_nc_u64 s[0:1], s[6:7], s[12:13]
	s_add_nc_u64 s[12:13], s[4:5], s[12:13]
	s_clause 0x3
	global_load_b32 v1, v0, s[0:1] scale_offset
	global_load_b32 v2, v0, s[0:1] offset:1024 scale_offset
	global_load_b32 v3, v0, s[0:1] offset:2048 scale_offset
	;; [unrolled: 1-line block ×3, first 2 shown]
	s_wait_loadcnt 0x3
	v_cmp_nge_f16_e64 s9, v1, -s3
	v_cmp_nge_f16_e32 vcc_lo, s3, v1
	v_and_b32_e32 v5, 0xffff, v1
	s_wait_loadcnt 0x2
	v_dual_lshrrev_b32 v6, 16, v1 :: v_dual_lshrrev_b32 v8, 16, v2
	v_cmp_nge_f16_e64 s11, v2, -s3
	s_wait_xcnt 0x0
	v_cmp_nge_f16_e64 s0, s3, v2
	v_and_b32_e32 v7, 0xffff, v2
	s_wait_loadcnt 0x1
	v_cmp_nge_f16_e64 s14, v3, -s3
	v_cmp_nge_f16_e64 s1, s3, v3
	s_or_b32 vcc_lo, s9, vcc_lo
	v_and_b32_e32 v9, 0xffff, v3
	s_wait_loadcnt 0x0
	v_dual_lshrrev_b32 v10, 16, v3 :: v_dual_lshrrev_b32 v12, 16, v4
	v_cmp_nge_f16_e64 s15, v4, -s3
	v_cmp_nge_f16_e64 s2, s3, v4
	v_cmp_nge_f16_e64 s9, v6, -s3
	s_or_b32 s0, s11, s0
	v_cndmask_b32_e32 v5, 0, v5, vcc_lo
	v_cmp_nge_f16_e32 vcc_lo, s3, v6
	v_and_b32_e32 v11, 0xffff, v4
	v_and_b32_e32 v1, 0xffff0000, v1
	v_cndmask_b32_e64 v6, 0, v7, s0
	v_cmp_nge_f16_e64 s11, v8, -s3
	v_cmp_nge_f16_e64 s0, s3, v8
	s_or_b32 s1, s14, s1
	v_and_b32_e32 v2, 0xffff0000, v2
	v_cmp_nge_f16_e64 s14, v10, -s3
	s_or_b32 s2, s15, s2
	s_delay_alu instid0(SALU_CYCLE_1)
	v_dual_cndmask_b32 v7, 0, v9, s1 :: v_dual_cndmask_b32 v8, 0, v11, s2
	v_cmp_nge_f16_e64 s1, s3, v10
	s_or_b32 vcc_lo, s9, vcc_lo
	v_and_b32_e32 v3, 0xffff0000, v3
	v_cmp_nge_f16_e64 s15, v12, -s3
	v_cmp_nge_f16_e64 s2, s3, v12
	v_cndmask_b32_e32 v1, 0, v1, vcc_lo
	s_or_b32 vcc_lo, s11, s0
	v_and_b32_e32 v4, 0xffff0000, v4
	v_cndmask_b32_e32 v2, 0, v2, vcc_lo
	s_or_b32 vcc_lo, s14, s1
	s_delay_alu instid0(SALU_CYCLE_1)
	v_dual_cndmask_b32 v3, 0, v3, vcc_lo :: v_dual_bitop2_b32 v1, v1, v5 bitop3:0x54
	s_or_b32 vcc_lo, s15, s2
	s_delay_alu instid0(VALU_DEP_2) | instid1(SALU_CYCLE_1)
	v_dual_cndmask_b32 v4, 0, v4, vcc_lo :: v_dual_bitop2_b32 v2, v2, v6 bitop3:0x54
	s_mov_b32 s0, 0
	s_delay_alu instid0(VALU_DEP_2) | instskip(NEXT) | instid1(VALU_DEP_2)
	v_or_b32_e32 v3, v3, v7
	v_or_b32_e32 v4, v4, v8
	s_clause 0x3
	global_store_b32 v0, v1, s[12:13] scale_offset
	global_store_b32 v0, v2, s[12:13] offset:1024 scale_offset
	global_store_b32 v0, v3, s[12:13] offset:2048 scale_offset
	;; [unrolled: 1-line block ×3, first 2 shown]
.LBB19_2:
	s_and_not1_b32 vcc_lo, exec_lo, s0
	s_cbranch_vccnz .LBB19_27
; %bb.3:
	v_cmp_gt_i32_e32 vcc_lo, s10, v0
	s_wait_xcnt 0x3
	v_dual_mov_b32 v1, 0 :: v_dual_bitop2_b32 v5, s8, v0 bitop3:0x54
	v_or_b32_e32 v6, 0x100, v0
	v_dual_mov_b32 v7, 0 :: v_dual_mov_b32 v11, v0
	s_wait_xcnt 0x0
	s_and_saveexec_b32 s0, vcc_lo
	s_cbranch_execz .LBB19_5
; %bb.4:
	global_load_u16 v7, v5, s[6:7] scale_offset
	v_or_b32_e32 v11, 0x100, v0
.LBB19_5:
	s_wait_xcnt 0x0
	s_or_b32 exec_lo, exec_lo, s0
	s_delay_alu instid0(SALU_CYCLE_1) | instskip(NEXT) | instid1(VALU_DEP_1)
	s_mov_b32 s1, exec_lo
	v_cmpx_gt_i32_e64 s10, v11
	s_cbranch_execz .LBB19_7
; %bb.6:
	v_add_nc_u32_e32 v1, s8, v11
	v_add_nc_u32_e32 v11, 0x100, v11
	global_load_u16 v1, v1, s[6:7] scale_offset
.LBB19_7:
	s_wait_xcnt 0x0
	s_or_b32 exec_lo, exec_lo, s1
	v_dual_mov_b32 v2, 0 :: v_dual_mov_b32 v8, 0
	s_mov_b32 s1, exec_lo
	v_cmpx_gt_i32_e64 s10, v11
	s_cbranch_execz .LBB19_9
; %bb.8:
	v_add_nc_u32_e32 v3, s8, v11
	v_add_nc_u32_e32 v11, 0x100, v11
	global_load_u16 v8, v3, s[6:7] scale_offset
.LBB19_9:
	s_wait_xcnt 0x0
	s_or_b32 exec_lo, exec_lo, s1
	s_delay_alu instid0(SALU_CYCLE_1)
	s_mov_b32 s1, exec_lo
	v_cmpx_gt_i32_e64 s10, v11
	s_cbranch_execz .LBB19_11
; %bb.10:
	v_add_nc_u32_e32 v2, s8, v11
	v_add_nc_u32_e32 v11, 0x100, v11
	global_load_u16 v2, v2, s[6:7] scale_offset
.LBB19_11:
	s_wait_xcnt 0x0
	s_or_b32 exec_lo, exec_lo, s1
	v_dual_mov_b32 v3, 0 :: v_dual_mov_b32 v9, 0
	s_mov_b32 s1, exec_lo
	v_cmpx_gt_i32_e64 s10, v11
	s_cbranch_execz .LBB19_13
; %bb.12:
	v_add_nc_u32_e32 v4, s8, v11
	v_add_nc_u32_e32 v11, 0x100, v11
	global_load_u16 v9, v4, s[6:7] scale_offset
.LBB19_13:
	s_wait_xcnt 0x0
	s_or_b32 exec_lo, exec_lo, s1
	s_delay_alu instid0(SALU_CYCLE_1)
	s_mov_b32 s1, exec_lo
	v_cmpx_gt_i32_e64 s10, v11
	s_cbranch_execz .LBB19_15
; %bb.14:
	v_add_nc_u32_e32 v3, s8, v11
	v_add_nc_u32_e32 v11, 0x100, v11
	global_load_u16 v3, v3, s[6:7] scale_offset
.LBB19_15:
	s_wait_xcnt 0x0
	s_or_b32 exec_lo, exec_lo, s1
	v_dual_mov_b32 v4, 0 :: v_dual_mov_b32 v10, 0
	s_mov_b32 s1, exec_lo
	v_cmpx_gt_i32_e64 s10, v11
	s_cbranch_execnz .LBB19_28
; %bb.16:
	s_or_b32 exec_lo, exec_lo, s1
	s_delay_alu instid0(SALU_CYCLE_1)
	s_mov_b32 s1, exec_lo
	v_cmpx_gt_i32_e64 s10, v11
	s_cbranch_execnz .LBB19_29
.LBB19_17:
	s_or_b32 exec_lo, exec_lo, s1
	s_and_saveexec_b32 s0, vcc_lo
	s_cbranch_execz .LBB19_19
.LBB19_18:
	s_wait_loadcnt 0x0
	v_cmp_nge_f16_e64 s1, v7, -s3
	v_cmp_nge_f16_e32 vcc_lo, s3, v7
	v_mov_b32_e32 v0, v6
	s_or_b32 vcc_lo, s1, vcc_lo
	v_cndmask_b32_e32 v7, 0, v7, vcc_lo
	global_store_b16 v5, v7, s[4:5] scale_offset
.LBB19_19:
	s_wait_xcnt 0x0
	s_or_b32 exec_lo, exec_lo, s0
	s_xor_b32 s1, s3, 0x8000
	s_mov_b32 s2, exec_lo
	v_cmpx_gt_i32_e64 s10, v0
	s_cbranch_execnz .LBB19_30
; %bb.20:
	s_or_b32 exec_lo, exec_lo, s2
	s_delay_alu instid0(SALU_CYCLE_1)
	s_mov_b32 s2, exec_lo
	v_cmpx_gt_i32_e64 s10, v0
	s_cbranch_execnz .LBB19_31
.LBB19_21:
	s_or_b32 exec_lo, exec_lo, s2
	s_delay_alu instid0(SALU_CYCLE_1)
	s_mov_b32 s2, exec_lo
	v_cmpx_gt_i32_e64 s10, v0
	s_cbranch_execnz .LBB19_32
.LBB19_22:
	s_or_b32 exec_lo, exec_lo, s2
	s_delay_alu instid0(SALU_CYCLE_1)
	s_mov_b32 s2, exec_lo
	v_cmpx_gt_i32_e64 s10, v0
	s_cbranch_execnz .LBB19_33
.LBB19_23:
	s_or_b32 exec_lo, exec_lo, s2
	s_delay_alu instid0(SALU_CYCLE_1)
	s_mov_b32 s2, exec_lo
	v_cmpx_gt_i32_e64 s10, v0
	s_cbranch_execnz .LBB19_34
.LBB19_24:
	s_or_b32 exec_lo, exec_lo, s2
	s_delay_alu instid0(SALU_CYCLE_1)
	s_mov_b32 s2, exec_lo
	v_cmpx_gt_i32_e64 s10, v0
	s_cbranch_execnz .LBB19_35
.LBB19_25:
	s_or_b32 exec_lo, exec_lo, s2
	s_delay_alu instid0(SALU_CYCLE_1)
	s_mov_b32 s0, exec_lo
	v_cmpx_gt_i32_e64 s10, v0
	s_cbranch_execz .LBB19_27
.LBB19_26:
	s_wait_loadcnt 0x0
	v_cmp_nle_f16_e32 vcc_lo, s1, v4
	v_cmp_nge_f16_e64 s0, s3, v4
	v_add_nc_u32_e32 v0, s8, v0
	s_or_b32 vcc_lo, vcc_lo, s0
	v_cndmask_b32_e32 v1, 0, v4, vcc_lo
	global_store_b16 v0, v1, s[4:5] scale_offset
.LBB19_27:
	s_endpgm
.LBB19_28:
	v_add_nc_u32_e32 v10, s8, v11
	v_add_nc_u32_e32 v11, 0x100, v11
	global_load_u16 v10, v10, s[6:7] scale_offset
	s_wait_xcnt 0x0
	s_or_b32 exec_lo, exec_lo, s1
	s_delay_alu instid0(SALU_CYCLE_1)
	s_mov_b32 s1, exec_lo
	v_cmpx_gt_i32_e64 s10, v11
	s_cbranch_execz .LBB19_17
.LBB19_29:
	v_add_nc_u32_e32 v4, s8, v11
	global_load_u16 v4, v4, s[6:7] scale_offset
	s_wait_xcnt 0x0
	s_or_b32 exec_lo, exec_lo, s1
	s_and_saveexec_b32 s0, vcc_lo
	s_cbranch_execnz .LBB19_18
	s_branch .LBB19_19
.LBB19_30:
	s_wait_loadcnt 0x0
	v_cmp_nle_f16_e32 vcc_lo, s1, v1
	v_cmp_nge_f16_e64 s0, s3, v1
	v_add_nc_u32_e32 v5, s8, v0
	v_add_nc_u32_e32 v0, 0x100, v0
	s_or_b32 vcc_lo, vcc_lo, s0
	v_cndmask_b32_e32 v1, 0, v1, vcc_lo
	global_store_b16 v5, v1, s[4:5] scale_offset
	s_wait_xcnt 0x0
	s_or_b32 exec_lo, exec_lo, s2
	s_delay_alu instid0(SALU_CYCLE_1)
	s_mov_b32 s2, exec_lo
	v_cmpx_gt_i32_e64 s10, v0
	s_cbranch_execz .LBB19_21
.LBB19_31:
	s_wait_loadcnt 0x0
	v_cmp_nle_f16_e32 vcc_lo, s1, v8
	v_cmp_nge_f16_e64 s0, s3, v8
	v_add_nc_u32_e32 v5, s8, v0
	v_add_nc_u32_e32 v0, 0x100, v0
	s_or_b32 vcc_lo, vcc_lo, s0
	v_cndmask_b32_e32 v1, 0, v8, vcc_lo
	global_store_b16 v5, v1, s[4:5] scale_offset
	s_wait_xcnt 0x0
	s_or_b32 exec_lo, exec_lo, s2
	s_delay_alu instid0(SALU_CYCLE_1)
	s_mov_b32 s2, exec_lo
	v_cmpx_gt_i32_e64 s10, v0
	s_cbranch_execz .LBB19_22
.LBB19_32:
	s_wait_loadcnt 0x0
	v_cmp_nle_f16_e32 vcc_lo, s1, v2
	v_cmp_nge_f16_e64 s0, s3, v2
	s_or_b32 vcc_lo, vcc_lo, s0
	v_dual_cndmask_b32 v1, 0, v2 :: v_dual_add_nc_u32 v2, s8, v0
	v_add_nc_u32_e32 v0, 0x100, v0
	global_store_b16 v2, v1, s[4:5] scale_offset
	s_wait_xcnt 0x0
	s_or_b32 exec_lo, exec_lo, s2
	s_delay_alu instid0(SALU_CYCLE_1)
	s_mov_b32 s2, exec_lo
	v_cmpx_gt_i32_e64 s10, v0
	s_cbranch_execz .LBB19_23
.LBB19_33:
	s_wait_loadcnt 0x0
	v_cmp_nle_f16_e32 vcc_lo, s1, v9
	v_cmp_nge_f16_e64 s0, s3, v9
	v_add_nc_u32_e32 v2, s8, v0
	v_add_nc_u32_e32 v0, 0x100, v0
	s_or_b32 vcc_lo, vcc_lo, s0
	v_cndmask_b32_e32 v1, 0, v9, vcc_lo
	global_store_b16 v2, v1, s[4:5] scale_offset
	s_wait_xcnt 0x0
	s_or_b32 exec_lo, exec_lo, s2
	s_delay_alu instid0(SALU_CYCLE_1)
	s_mov_b32 s2, exec_lo
	v_cmpx_gt_i32_e64 s10, v0
	s_cbranch_execz .LBB19_24
.LBB19_34:
	s_wait_loadcnt 0x0
	v_cmp_nle_f16_e32 vcc_lo, s1, v3
	v_cmp_nge_f16_e64 s0, s3, v3
	v_add_nc_u32_e32 v2, s8, v0
	v_add_nc_u32_e32 v0, 0x100, v0
	s_or_b32 vcc_lo, vcc_lo, s0
	v_cndmask_b32_e32 v1, 0, v3, vcc_lo
	global_store_b16 v2, v1, s[4:5] scale_offset
	s_wait_xcnt 0x0
	s_or_b32 exec_lo, exec_lo, s2
	s_delay_alu instid0(SALU_CYCLE_1)
	s_mov_b32 s2, exec_lo
	v_cmpx_gt_i32_e64 s10, v0
	s_cbranch_execz .LBB19_25
.LBB19_35:
	s_wait_loadcnt 0x0
	v_cmp_nle_f16_e32 vcc_lo, s1, v10
	v_cmp_nge_f16_e64 s0, s3, v10
	v_add_nc_u32_e32 v2, s8, v0
	v_add_nc_u32_e32 v0, 0x100, v0
	s_or_b32 vcc_lo, vcc_lo, s0
	v_cndmask_b32_e32 v1, 0, v10, vcc_lo
	global_store_b16 v2, v1, s[4:5] scale_offset
	s_wait_xcnt 0x0
	s_or_b32 exec_lo, exec_lo, s2
	s_delay_alu instid0(SALU_CYCLE_1)
	s_mov_b32 s0, exec_lo
	v_cmpx_gt_i32_e64 s10, v0
	s_cbranch_execnz .LBB19_26
	s_branch .LBB19_27
	.section	.rodata,"a",@progbits
	.p2align	6, 0x0
	.amdhsa_kernel _ZN2at6native29vectorized_elementwise_kernelILi2EZZZNS0_12_GLOBAL__N_117hardshrink_kernelERNS_18TensorIteratorBaseERKN3c106ScalarEENKUlvE_clEvENKUlvE1_clEvEUlNS5_4HalfEE_St5arrayIPcLm2EEEEviT0_T1_
		.amdhsa_group_segment_fixed_size 0
		.amdhsa_private_segment_fixed_size 0
		.amdhsa_kernarg_size 24
		.amdhsa_user_sgpr_count 2
		.amdhsa_user_sgpr_dispatch_ptr 0
		.amdhsa_user_sgpr_queue_ptr 0
		.amdhsa_user_sgpr_kernarg_segment_ptr 1
		.amdhsa_user_sgpr_dispatch_id 0
		.amdhsa_user_sgpr_kernarg_preload_length 0
		.amdhsa_user_sgpr_kernarg_preload_offset 0
		.amdhsa_user_sgpr_private_segment_size 0
		.amdhsa_wavefront_size32 1
		.amdhsa_uses_dynamic_stack 0
		.amdhsa_enable_private_segment 0
		.amdhsa_system_sgpr_workgroup_id_x 1
		.amdhsa_system_sgpr_workgroup_id_y 0
		.amdhsa_system_sgpr_workgroup_id_z 0
		.amdhsa_system_sgpr_workgroup_info 0
		.amdhsa_system_vgpr_workitem_id 0
		.amdhsa_next_free_vgpr 13
		.amdhsa_next_free_sgpr 16
		.amdhsa_named_barrier_count 0
		.amdhsa_reserve_vcc 1
		.amdhsa_float_round_mode_32 0
		.amdhsa_float_round_mode_16_64 0
		.amdhsa_float_denorm_mode_32 3
		.amdhsa_float_denorm_mode_16_64 3
		.amdhsa_fp16_overflow 0
		.amdhsa_memory_ordered 1
		.amdhsa_forward_progress 1
		.amdhsa_inst_pref_size 15
		.amdhsa_round_robin_scheduling 0
		.amdhsa_exception_fp_ieee_invalid_op 0
		.amdhsa_exception_fp_denorm_src 0
		.amdhsa_exception_fp_ieee_div_zero 0
		.amdhsa_exception_fp_ieee_overflow 0
		.amdhsa_exception_fp_ieee_underflow 0
		.amdhsa_exception_fp_ieee_inexact 0
		.amdhsa_exception_int_div_zero 0
	.end_amdhsa_kernel
	.section	.text._ZN2at6native29vectorized_elementwise_kernelILi2EZZZNS0_12_GLOBAL__N_117hardshrink_kernelERNS_18TensorIteratorBaseERKN3c106ScalarEENKUlvE_clEvENKUlvE1_clEvEUlNS5_4HalfEE_St5arrayIPcLm2EEEEviT0_T1_,"axG",@progbits,_ZN2at6native29vectorized_elementwise_kernelILi2EZZZNS0_12_GLOBAL__N_117hardshrink_kernelERNS_18TensorIteratorBaseERKN3c106ScalarEENKUlvE_clEvENKUlvE1_clEvEUlNS5_4HalfEE_St5arrayIPcLm2EEEEviT0_T1_,comdat
.Lfunc_end19:
	.size	_ZN2at6native29vectorized_elementwise_kernelILi2EZZZNS0_12_GLOBAL__N_117hardshrink_kernelERNS_18TensorIteratorBaseERKN3c106ScalarEENKUlvE_clEvENKUlvE1_clEvEUlNS5_4HalfEE_St5arrayIPcLm2EEEEviT0_T1_, .Lfunc_end19-_ZN2at6native29vectorized_elementwise_kernelILi2EZZZNS0_12_GLOBAL__N_117hardshrink_kernelERNS_18TensorIteratorBaseERKN3c106ScalarEENKUlvE_clEvENKUlvE1_clEvEUlNS5_4HalfEE_St5arrayIPcLm2EEEEviT0_T1_
                                        ; -- End function
	.set _ZN2at6native29vectorized_elementwise_kernelILi2EZZZNS0_12_GLOBAL__N_117hardshrink_kernelERNS_18TensorIteratorBaseERKN3c106ScalarEENKUlvE_clEvENKUlvE1_clEvEUlNS5_4HalfEE_St5arrayIPcLm2EEEEviT0_T1_.num_vgpr, 13
	.set _ZN2at6native29vectorized_elementwise_kernelILi2EZZZNS0_12_GLOBAL__N_117hardshrink_kernelERNS_18TensorIteratorBaseERKN3c106ScalarEENKUlvE_clEvENKUlvE1_clEvEUlNS5_4HalfEE_St5arrayIPcLm2EEEEviT0_T1_.num_agpr, 0
	.set _ZN2at6native29vectorized_elementwise_kernelILi2EZZZNS0_12_GLOBAL__N_117hardshrink_kernelERNS_18TensorIteratorBaseERKN3c106ScalarEENKUlvE_clEvENKUlvE1_clEvEUlNS5_4HalfEE_St5arrayIPcLm2EEEEviT0_T1_.numbered_sgpr, 16
	.set _ZN2at6native29vectorized_elementwise_kernelILi2EZZZNS0_12_GLOBAL__N_117hardshrink_kernelERNS_18TensorIteratorBaseERKN3c106ScalarEENKUlvE_clEvENKUlvE1_clEvEUlNS5_4HalfEE_St5arrayIPcLm2EEEEviT0_T1_.num_named_barrier, 0
	.set _ZN2at6native29vectorized_elementwise_kernelILi2EZZZNS0_12_GLOBAL__N_117hardshrink_kernelERNS_18TensorIteratorBaseERKN3c106ScalarEENKUlvE_clEvENKUlvE1_clEvEUlNS5_4HalfEE_St5arrayIPcLm2EEEEviT0_T1_.private_seg_size, 0
	.set _ZN2at6native29vectorized_elementwise_kernelILi2EZZZNS0_12_GLOBAL__N_117hardshrink_kernelERNS_18TensorIteratorBaseERKN3c106ScalarEENKUlvE_clEvENKUlvE1_clEvEUlNS5_4HalfEE_St5arrayIPcLm2EEEEviT0_T1_.uses_vcc, 1
	.set _ZN2at6native29vectorized_elementwise_kernelILi2EZZZNS0_12_GLOBAL__N_117hardshrink_kernelERNS_18TensorIteratorBaseERKN3c106ScalarEENKUlvE_clEvENKUlvE1_clEvEUlNS5_4HalfEE_St5arrayIPcLm2EEEEviT0_T1_.uses_flat_scratch, 0
	.set _ZN2at6native29vectorized_elementwise_kernelILi2EZZZNS0_12_GLOBAL__N_117hardshrink_kernelERNS_18TensorIteratorBaseERKN3c106ScalarEENKUlvE_clEvENKUlvE1_clEvEUlNS5_4HalfEE_St5arrayIPcLm2EEEEviT0_T1_.has_dyn_sized_stack, 0
	.set _ZN2at6native29vectorized_elementwise_kernelILi2EZZZNS0_12_GLOBAL__N_117hardshrink_kernelERNS_18TensorIteratorBaseERKN3c106ScalarEENKUlvE_clEvENKUlvE1_clEvEUlNS5_4HalfEE_St5arrayIPcLm2EEEEviT0_T1_.has_recursion, 0
	.set _ZN2at6native29vectorized_elementwise_kernelILi2EZZZNS0_12_GLOBAL__N_117hardshrink_kernelERNS_18TensorIteratorBaseERKN3c106ScalarEENKUlvE_clEvENKUlvE1_clEvEUlNS5_4HalfEE_St5arrayIPcLm2EEEEviT0_T1_.has_indirect_call, 0
	.section	.AMDGPU.csdata,"",@progbits
; Kernel info:
; codeLenInByte = 1800
; TotalNumSgprs: 18
; NumVgprs: 13
; ScratchSize: 0
; MemoryBound: 0
; FloatMode: 240
; IeeeMode: 1
; LDSByteSize: 0 bytes/workgroup (compile time only)
; SGPRBlocks: 0
; VGPRBlocks: 0
; NumSGPRsForWavesPerEU: 18
; NumVGPRsForWavesPerEU: 13
; NamedBarCnt: 0
; Occupancy: 16
; WaveLimiterHint : 1
; COMPUTE_PGM_RSRC2:SCRATCH_EN: 0
; COMPUTE_PGM_RSRC2:USER_SGPR: 2
; COMPUTE_PGM_RSRC2:TRAP_HANDLER: 0
; COMPUTE_PGM_RSRC2:TGID_X_EN: 1
; COMPUTE_PGM_RSRC2:TGID_Y_EN: 0
; COMPUTE_PGM_RSRC2:TGID_Z_EN: 0
; COMPUTE_PGM_RSRC2:TIDIG_COMP_CNT: 0
	.section	.text._ZN2at6native27unrolled_elementwise_kernelIZZZNS0_12_GLOBAL__N_117hardshrink_kernelERNS_18TensorIteratorBaseERKN3c106ScalarEENKUlvE_clEvENKUlvE1_clEvEUlNS5_4HalfEE_St5arrayIPcLm2EELi4E23TrivialOffsetCalculatorILi1EjESH_NS0_6memory15LoadWithoutCastENSI_16StoreWithoutCastEEEviT_T0_T2_T3_T4_T5_,"axG",@progbits,_ZN2at6native27unrolled_elementwise_kernelIZZZNS0_12_GLOBAL__N_117hardshrink_kernelERNS_18TensorIteratorBaseERKN3c106ScalarEENKUlvE_clEvENKUlvE1_clEvEUlNS5_4HalfEE_St5arrayIPcLm2EELi4E23TrivialOffsetCalculatorILi1EjESH_NS0_6memory15LoadWithoutCastENSI_16StoreWithoutCastEEEviT_T0_T2_T3_T4_T5_,comdat
	.globl	_ZN2at6native27unrolled_elementwise_kernelIZZZNS0_12_GLOBAL__N_117hardshrink_kernelERNS_18TensorIteratorBaseERKN3c106ScalarEENKUlvE_clEvENKUlvE1_clEvEUlNS5_4HalfEE_St5arrayIPcLm2EELi4E23TrivialOffsetCalculatorILi1EjESH_NS0_6memory15LoadWithoutCastENSI_16StoreWithoutCastEEEviT_T0_T2_T3_T4_T5_ ; -- Begin function _ZN2at6native27unrolled_elementwise_kernelIZZZNS0_12_GLOBAL__N_117hardshrink_kernelERNS_18TensorIteratorBaseERKN3c106ScalarEENKUlvE_clEvENKUlvE1_clEvEUlNS5_4HalfEE_St5arrayIPcLm2EELi4E23TrivialOffsetCalculatorILi1EjESH_NS0_6memory15LoadWithoutCastENSI_16StoreWithoutCastEEEviT_T0_T2_T3_T4_T5_
	.p2align	8
	.type	_ZN2at6native27unrolled_elementwise_kernelIZZZNS0_12_GLOBAL__N_117hardshrink_kernelERNS_18TensorIteratorBaseERKN3c106ScalarEENKUlvE_clEvENKUlvE1_clEvEUlNS5_4HalfEE_St5arrayIPcLm2EELi4E23TrivialOffsetCalculatorILi1EjESH_NS0_6memory15LoadWithoutCastENSI_16StoreWithoutCastEEEviT_T0_T2_T3_T4_T5_,@function
_ZN2at6native27unrolled_elementwise_kernelIZZZNS0_12_GLOBAL__N_117hardshrink_kernelERNS_18TensorIteratorBaseERKN3c106ScalarEENKUlvE_clEvENKUlvE1_clEvEUlNS5_4HalfEE_St5arrayIPcLm2EELi4E23TrivialOffsetCalculatorILi1EjESH_NS0_6memory15LoadWithoutCastENSI_16StoreWithoutCastEEEviT_T0_T2_T3_T4_T5_: ; @_ZN2at6native27unrolled_elementwise_kernelIZZZNS0_12_GLOBAL__N_117hardshrink_kernelERNS_18TensorIteratorBaseERKN3c106ScalarEENKUlvE_clEvENKUlvE1_clEvEUlNS5_4HalfEE_St5arrayIPcLm2EELi4E23TrivialOffsetCalculatorILi1EjESH_NS0_6memory15LoadWithoutCastENSI_16StoreWithoutCastEEEviT_T0_T2_T3_T4_T5_
; %bb.0:
	s_clause 0x1
	s_load_b64 s[2:3], s[0:1], 0x0
	s_load_b128 s[4:7], s[0:1], 0x8
	s_bfe_u32 s8, ttmp6, 0x4000c
	s_wait_xcnt 0x0
	s_and_b32 s0, ttmp6, 15
	s_add_co_i32 s8, s8, 1
	v_dual_mov_b32 v1, 0 :: v_dual_mov_b32 v6, 0
	s_mul_i32 s1, ttmp9, s8
	s_getreg_b32 s8, hwreg(HW_REG_IB_STS2, 6, 4)
	s_add_co_i32 s0, s0, s1
	s_cmp_eq_u32 s8, 0
	v_or_b32_e32 v3, 0x100, v0
	s_cselect_b32 s0, ttmp9, s0
	v_mov_b32_e32 v7, v0
	s_lshl_b32 s1, s0, 10
	s_delay_alu instid0(SALU_CYCLE_1) | instskip(SKIP_2) | instid1(SALU_CYCLE_1)
	v_or_b32_e32 v4, s1, v0
	s_wait_kmcnt 0x0
	s_sub_co_i32 s2, s2, s1
	v_cmp_gt_i32_e32 vcc_lo, s2, v0
	s_and_saveexec_b32 s0, vcc_lo
	s_cbranch_execz .LBB20_2
; %bb.1:
	global_load_u16 v6, v4, s[6:7] scale_offset
	v_or_b32_e32 v7, 0x100, v0
.LBB20_2:
	s_wait_xcnt 0x0
	s_or_b32 exec_lo, exec_lo, s0
	s_delay_alu instid0(SALU_CYCLE_1) | instskip(NEXT) | instid1(VALU_DEP_1)
	s_mov_b32 s8, exec_lo
	v_cmpx_gt_i32_e64 s2, v7
	s_cbranch_execz .LBB20_4
; %bb.3:
	v_add_nc_u32_e32 v1, s1, v7
	v_add_nc_u32_e32 v7, 0x100, v7
	global_load_u16 v1, v1, s[6:7] scale_offset
.LBB20_4:
	s_wait_xcnt 0x0
	s_or_b32 exec_lo, exec_lo, s8
	v_dual_mov_b32 v2, 0 :: v_dual_mov_b32 v5, 0
	s_mov_b32 s8, exec_lo
	v_cmpx_gt_i32_e64 s2, v7
	s_cbranch_execnz .LBB20_12
; %bb.5:
	s_or_b32 exec_lo, exec_lo, s8
	s_delay_alu instid0(SALU_CYCLE_1)
	s_mov_b32 s8, exec_lo
	v_cmpx_gt_i32_e64 s2, v7
	s_cbranch_execnz .LBB20_13
.LBB20_6:
	s_or_b32 exec_lo, exec_lo, s8
	s_and_saveexec_b32 s0, vcc_lo
	s_cbranch_execz .LBB20_8
.LBB20_7:
	s_wait_loadcnt 0x0
	v_cmp_nge_f16_e64 s6, v6, -s3
	v_cmp_nge_f16_e32 vcc_lo, s3, v6
	v_mov_b32_e32 v0, v3
	s_or_b32 vcc_lo, s6, vcc_lo
	v_cndmask_b32_e32 v6, 0, v6, vcc_lo
	global_store_b16 v4, v6, s[4:5] scale_offset
.LBB20_8:
	s_wait_xcnt 0x0
	s_or_b32 exec_lo, exec_lo, s0
	s_xor_b32 s6, s3, 0x8000
	s_mov_b32 s7, exec_lo
	v_cmpx_gt_i32_e64 s2, v0
	s_cbranch_execnz .LBB20_14
; %bb.9:
	s_or_b32 exec_lo, exec_lo, s7
	s_delay_alu instid0(SALU_CYCLE_1)
	s_mov_b32 s7, exec_lo
	v_cmpx_gt_i32_e64 s2, v0
	s_cbranch_execnz .LBB20_15
.LBB20_10:
	s_or_b32 exec_lo, exec_lo, s7
	s_delay_alu instid0(SALU_CYCLE_1)
	s_mov_b32 s0, exec_lo
	v_cmpx_gt_i32_e64 s2, v0
	s_cbranch_execnz .LBB20_16
.LBB20_11:
	s_endpgm
.LBB20_12:
	v_add_nc_u32_e32 v5, s1, v7
	v_add_nc_u32_e32 v7, 0x100, v7
	global_load_u16 v5, v5, s[6:7] scale_offset
	s_wait_xcnt 0x0
	s_or_b32 exec_lo, exec_lo, s8
	s_delay_alu instid0(SALU_CYCLE_1)
	s_mov_b32 s8, exec_lo
	v_cmpx_gt_i32_e64 s2, v7
	s_cbranch_execz .LBB20_6
.LBB20_13:
	v_add_nc_u32_e32 v2, s1, v7
	global_load_u16 v2, v2, s[6:7] scale_offset
	s_wait_xcnt 0x0
	s_or_b32 exec_lo, exec_lo, s8
	s_and_saveexec_b32 s0, vcc_lo
	s_cbranch_execnz .LBB20_7
	s_branch .LBB20_8
.LBB20_14:
	s_wait_loadcnt 0x0
	v_cmp_nle_f16_e32 vcc_lo, s6, v1
	v_cmp_nge_f16_e64 s0, s3, v1
	v_add_nc_u32_e32 v3, 0x100, v0
	v_add_nc_u32_e32 v4, s1, v0
	s_or_b32 vcc_lo, vcc_lo, s0
	s_delay_alu instid0(VALU_DEP_2) | instskip(SKIP_3) | instid1(SALU_CYCLE_1)
	v_dual_mov_b32 v0, v3 :: v_dual_cndmask_b32 v1, 0, v1
	global_store_b16 v4, v1, s[4:5] scale_offset
	s_wait_xcnt 0x0
	s_or_b32 exec_lo, exec_lo, s7
	s_mov_b32 s7, exec_lo
	v_cmpx_gt_i32_e64 s2, v0
	s_cbranch_execz .LBB20_10
.LBB20_15:
	s_wait_loadcnt 0x0
	v_cmp_nle_f16_e32 vcc_lo, s6, v5
	v_cmp_nge_f16_e64 s0, s3, v5
	v_add_nc_u32_e32 v1, 0x100, v0
	v_add_nc_u32_e32 v4, s1, v0
	s_or_b32 vcc_lo, vcc_lo, s0
	s_delay_alu instid0(VALU_DEP_2) | instskip(SKIP_3) | instid1(SALU_CYCLE_1)
	v_dual_mov_b32 v0, v1 :: v_dual_cndmask_b32 v3, 0, v5
	global_store_b16 v4, v3, s[4:5] scale_offset
	s_wait_xcnt 0x0
	s_or_b32 exec_lo, exec_lo, s7
	s_mov_b32 s0, exec_lo
	v_cmpx_gt_i32_e64 s2, v0
	s_cbranch_execz .LBB20_11
.LBB20_16:
	s_wait_loadcnt 0x0
	v_cmp_nle_f16_e32 vcc_lo, s6, v2
	v_cmp_nge_f16_e64 s0, s3, v2
	v_add_nc_u32_e32 v0, s1, v0
	s_or_b32 vcc_lo, vcc_lo, s0
	v_cndmask_b32_e32 v1, 0, v2, vcc_lo
	global_store_b16 v0, v1, s[4:5] scale_offset
	s_endpgm
	.section	.rodata,"a",@progbits
	.p2align	6, 0x0
	.amdhsa_kernel _ZN2at6native27unrolled_elementwise_kernelIZZZNS0_12_GLOBAL__N_117hardshrink_kernelERNS_18TensorIteratorBaseERKN3c106ScalarEENKUlvE_clEvENKUlvE1_clEvEUlNS5_4HalfEE_St5arrayIPcLm2EELi4E23TrivialOffsetCalculatorILi1EjESH_NS0_6memory15LoadWithoutCastENSI_16StoreWithoutCastEEEviT_T0_T2_T3_T4_T5_
		.amdhsa_group_segment_fixed_size 0
		.amdhsa_private_segment_fixed_size 0
		.amdhsa_kernarg_size 28
		.amdhsa_user_sgpr_count 2
		.amdhsa_user_sgpr_dispatch_ptr 0
		.amdhsa_user_sgpr_queue_ptr 0
		.amdhsa_user_sgpr_kernarg_segment_ptr 1
		.amdhsa_user_sgpr_dispatch_id 0
		.amdhsa_user_sgpr_kernarg_preload_length 0
		.amdhsa_user_sgpr_kernarg_preload_offset 0
		.amdhsa_user_sgpr_private_segment_size 0
		.amdhsa_wavefront_size32 1
		.amdhsa_uses_dynamic_stack 0
		.amdhsa_enable_private_segment 0
		.amdhsa_system_sgpr_workgroup_id_x 1
		.amdhsa_system_sgpr_workgroup_id_y 0
		.amdhsa_system_sgpr_workgroup_id_z 0
		.amdhsa_system_sgpr_workgroup_info 0
		.amdhsa_system_vgpr_workitem_id 0
		.amdhsa_next_free_vgpr 8
		.amdhsa_next_free_sgpr 9
		.amdhsa_named_barrier_count 0
		.amdhsa_reserve_vcc 1
		.amdhsa_float_round_mode_32 0
		.amdhsa_float_round_mode_16_64 0
		.amdhsa_float_denorm_mode_32 3
		.amdhsa_float_denorm_mode_16_64 3
		.amdhsa_fp16_overflow 0
		.amdhsa_memory_ordered 1
		.amdhsa_forward_progress 1
		.amdhsa_inst_pref_size 6
		.amdhsa_round_robin_scheduling 0
		.amdhsa_exception_fp_ieee_invalid_op 0
		.amdhsa_exception_fp_denorm_src 0
		.amdhsa_exception_fp_ieee_div_zero 0
		.amdhsa_exception_fp_ieee_overflow 0
		.amdhsa_exception_fp_ieee_underflow 0
		.amdhsa_exception_fp_ieee_inexact 0
		.amdhsa_exception_int_div_zero 0
	.end_amdhsa_kernel
	.section	.text._ZN2at6native27unrolled_elementwise_kernelIZZZNS0_12_GLOBAL__N_117hardshrink_kernelERNS_18TensorIteratorBaseERKN3c106ScalarEENKUlvE_clEvENKUlvE1_clEvEUlNS5_4HalfEE_St5arrayIPcLm2EELi4E23TrivialOffsetCalculatorILi1EjESH_NS0_6memory15LoadWithoutCastENSI_16StoreWithoutCastEEEviT_T0_T2_T3_T4_T5_,"axG",@progbits,_ZN2at6native27unrolled_elementwise_kernelIZZZNS0_12_GLOBAL__N_117hardshrink_kernelERNS_18TensorIteratorBaseERKN3c106ScalarEENKUlvE_clEvENKUlvE1_clEvEUlNS5_4HalfEE_St5arrayIPcLm2EELi4E23TrivialOffsetCalculatorILi1EjESH_NS0_6memory15LoadWithoutCastENSI_16StoreWithoutCastEEEviT_T0_T2_T3_T4_T5_,comdat
.Lfunc_end20:
	.size	_ZN2at6native27unrolled_elementwise_kernelIZZZNS0_12_GLOBAL__N_117hardshrink_kernelERNS_18TensorIteratorBaseERKN3c106ScalarEENKUlvE_clEvENKUlvE1_clEvEUlNS5_4HalfEE_St5arrayIPcLm2EELi4E23TrivialOffsetCalculatorILi1EjESH_NS0_6memory15LoadWithoutCastENSI_16StoreWithoutCastEEEviT_T0_T2_T3_T4_T5_, .Lfunc_end20-_ZN2at6native27unrolled_elementwise_kernelIZZZNS0_12_GLOBAL__N_117hardshrink_kernelERNS_18TensorIteratorBaseERKN3c106ScalarEENKUlvE_clEvENKUlvE1_clEvEUlNS5_4HalfEE_St5arrayIPcLm2EELi4E23TrivialOffsetCalculatorILi1EjESH_NS0_6memory15LoadWithoutCastENSI_16StoreWithoutCastEEEviT_T0_T2_T3_T4_T5_
                                        ; -- End function
	.set _ZN2at6native27unrolled_elementwise_kernelIZZZNS0_12_GLOBAL__N_117hardshrink_kernelERNS_18TensorIteratorBaseERKN3c106ScalarEENKUlvE_clEvENKUlvE1_clEvEUlNS5_4HalfEE_St5arrayIPcLm2EELi4E23TrivialOffsetCalculatorILi1EjESH_NS0_6memory15LoadWithoutCastENSI_16StoreWithoutCastEEEviT_T0_T2_T3_T4_T5_.num_vgpr, 8
	.set _ZN2at6native27unrolled_elementwise_kernelIZZZNS0_12_GLOBAL__N_117hardshrink_kernelERNS_18TensorIteratorBaseERKN3c106ScalarEENKUlvE_clEvENKUlvE1_clEvEUlNS5_4HalfEE_St5arrayIPcLm2EELi4E23TrivialOffsetCalculatorILi1EjESH_NS0_6memory15LoadWithoutCastENSI_16StoreWithoutCastEEEviT_T0_T2_T3_T4_T5_.num_agpr, 0
	.set _ZN2at6native27unrolled_elementwise_kernelIZZZNS0_12_GLOBAL__N_117hardshrink_kernelERNS_18TensorIteratorBaseERKN3c106ScalarEENKUlvE_clEvENKUlvE1_clEvEUlNS5_4HalfEE_St5arrayIPcLm2EELi4E23TrivialOffsetCalculatorILi1EjESH_NS0_6memory15LoadWithoutCastENSI_16StoreWithoutCastEEEviT_T0_T2_T3_T4_T5_.numbered_sgpr, 9
	.set _ZN2at6native27unrolled_elementwise_kernelIZZZNS0_12_GLOBAL__N_117hardshrink_kernelERNS_18TensorIteratorBaseERKN3c106ScalarEENKUlvE_clEvENKUlvE1_clEvEUlNS5_4HalfEE_St5arrayIPcLm2EELi4E23TrivialOffsetCalculatorILi1EjESH_NS0_6memory15LoadWithoutCastENSI_16StoreWithoutCastEEEviT_T0_T2_T3_T4_T5_.num_named_barrier, 0
	.set _ZN2at6native27unrolled_elementwise_kernelIZZZNS0_12_GLOBAL__N_117hardshrink_kernelERNS_18TensorIteratorBaseERKN3c106ScalarEENKUlvE_clEvENKUlvE1_clEvEUlNS5_4HalfEE_St5arrayIPcLm2EELi4E23TrivialOffsetCalculatorILi1EjESH_NS0_6memory15LoadWithoutCastENSI_16StoreWithoutCastEEEviT_T0_T2_T3_T4_T5_.private_seg_size, 0
	.set _ZN2at6native27unrolled_elementwise_kernelIZZZNS0_12_GLOBAL__N_117hardshrink_kernelERNS_18TensorIteratorBaseERKN3c106ScalarEENKUlvE_clEvENKUlvE1_clEvEUlNS5_4HalfEE_St5arrayIPcLm2EELi4E23TrivialOffsetCalculatorILi1EjESH_NS0_6memory15LoadWithoutCastENSI_16StoreWithoutCastEEEviT_T0_T2_T3_T4_T5_.uses_vcc, 1
	.set _ZN2at6native27unrolled_elementwise_kernelIZZZNS0_12_GLOBAL__N_117hardshrink_kernelERNS_18TensorIteratorBaseERKN3c106ScalarEENKUlvE_clEvENKUlvE1_clEvEUlNS5_4HalfEE_St5arrayIPcLm2EELi4E23TrivialOffsetCalculatorILi1EjESH_NS0_6memory15LoadWithoutCastENSI_16StoreWithoutCastEEEviT_T0_T2_T3_T4_T5_.uses_flat_scratch, 0
	.set _ZN2at6native27unrolled_elementwise_kernelIZZZNS0_12_GLOBAL__N_117hardshrink_kernelERNS_18TensorIteratorBaseERKN3c106ScalarEENKUlvE_clEvENKUlvE1_clEvEUlNS5_4HalfEE_St5arrayIPcLm2EELi4E23TrivialOffsetCalculatorILi1EjESH_NS0_6memory15LoadWithoutCastENSI_16StoreWithoutCastEEEviT_T0_T2_T3_T4_T5_.has_dyn_sized_stack, 0
	.set _ZN2at6native27unrolled_elementwise_kernelIZZZNS0_12_GLOBAL__N_117hardshrink_kernelERNS_18TensorIteratorBaseERKN3c106ScalarEENKUlvE_clEvENKUlvE1_clEvEUlNS5_4HalfEE_St5arrayIPcLm2EELi4E23TrivialOffsetCalculatorILi1EjESH_NS0_6memory15LoadWithoutCastENSI_16StoreWithoutCastEEEviT_T0_T2_T3_T4_T5_.has_recursion, 0
	.set _ZN2at6native27unrolled_elementwise_kernelIZZZNS0_12_GLOBAL__N_117hardshrink_kernelERNS_18TensorIteratorBaseERKN3c106ScalarEENKUlvE_clEvENKUlvE1_clEvEUlNS5_4HalfEE_St5arrayIPcLm2EELi4E23TrivialOffsetCalculatorILi1EjESH_NS0_6memory15LoadWithoutCastENSI_16StoreWithoutCastEEEviT_T0_T2_T3_T4_T5_.has_indirect_call, 0
	.section	.AMDGPU.csdata,"",@progbits
; Kernel info:
; codeLenInByte = 668
; TotalNumSgprs: 11
; NumVgprs: 8
; ScratchSize: 0
; MemoryBound: 0
; FloatMode: 240
; IeeeMode: 1
; LDSByteSize: 0 bytes/workgroup (compile time only)
; SGPRBlocks: 0
; VGPRBlocks: 0
; NumSGPRsForWavesPerEU: 11
; NumVGPRsForWavesPerEU: 8
; NamedBarCnt: 0
; Occupancy: 16
; WaveLimiterHint : 0
; COMPUTE_PGM_RSRC2:SCRATCH_EN: 0
; COMPUTE_PGM_RSRC2:USER_SGPR: 2
; COMPUTE_PGM_RSRC2:TRAP_HANDLER: 0
; COMPUTE_PGM_RSRC2:TGID_X_EN: 1
; COMPUTE_PGM_RSRC2:TGID_Y_EN: 0
; COMPUTE_PGM_RSRC2:TGID_Z_EN: 0
; COMPUTE_PGM_RSRC2:TIDIG_COMP_CNT: 0
	.section	.text._ZN2at6native32elementwise_kernel_manual_unrollILi128ELi8EZNS0_22gpu_kernel_impl_nocastIZZZNS0_12_GLOBAL__N_117hardshrink_kernelERNS_18TensorIteratorBaseERKN3c106ScalarEENKUlvE_clEvENKUlvE1_clEvEUlNS6_4HalfEE_EEvS5_RKT_EUlibE_EEviT1_,"axG",@progbits,_ZN2at6native32elementwise_kernel_manual_unrollILi128ELi8EZNS0_22gpu_kernel_impl_nocastIZZZNS0_12_GLOBAL__N_117hardshrink_kernelERNS_18TensorIteratorBaseERKN3c106ScalarEENKUlvE_clEvENKUlvE1_clEvEUlNS6_4HalfEE_EEvS5_RKT_EUlibE_EEviT1_,comdat
	.globl	_ZN2at6native32elementwise_kernel_manual_unrollILi128ELi8EZNS0_22gpu_kernel_impl_nocastIZZZNS0_12_GLOBAL__N_117hardshrink_kernelERNS_18TensorIteratorBaseERKN3c106ScalarEENKUlvE_clEvENKUlvE1_clEvEUlNS6_4HalfEE_EEvS5_RKT_EUlibE_EEviT1_ ; -- Begin function _ZN2at6native32elementwise_kernel_manual_unrollILi128ELi8EZNS0_22gpu_kernel_impl_nocastIZZZNS0_12_GLOBAL__N_117hardshrink_kernelERNS_18TensorIteratorBaseERKN3c106ScalarEENKUlvE_clEvENKUlvE1_clEvEUlNS6_4HalfEE_EEvS5_RKT_EUlibE_EEviT1_
	.p2align	8
	.type	_ZN2at6native32elementwise_kernel_manual_unrollILi128ELi8EZNS0_22gpu_kernel_impl_nocastIZZZNS0_12_GLOBAL__N_117hardshrink_kernelERNS_18TensorIteratorBaseERKN3c106ScalarEENKUlvE_clEvENKUlvE1_clEvEUlNS6_4HalfEE_EEvS5_RKT_EUlibE_EEviT1_,@function
_ZN2at6native32elementwise_kernel_manual_unrollILi128ELi8EZNS0_22gpu_kernel_impl_nocastIZZZNS0_12_GLOBAL__N_117hardshrink_kernelERNS_18TensorIteratorBaseERKN3c106ScalarEENKUlvE_clEvENKUlvE1_clEvEUlNS6_4HalfEE_EEvS5_RKT_EUlibE_EEviT1_: ; @_ZN2at6native32elementwise_kernel_manual_unrollILi128ELi8EZNS0_22gpu_kernel_impl_nocastIZZZNS0_12_GLOBAL__N_117hardshrink_kernelERNS_18TensorIteratorBaseERKN3c106ScalarEENKUlvE_clEvENKUlvE1_clEvEUlNS6_4HalfEE_EEvS5_RKT_EUlibE_EEviT1_
; %bb.0:
	s_clause 0x1
	s_load_b32 s28, s[0:1], 0x8
	s_load_b32 s35, s[0:1], 0x0
	s_bfe_u32 s2, ttmp6, 0x4000c
	s_and_b32 s3, ttmp6, 15
	s_add_co_i32 s2, s2, 1
	s_getreg_b32 s4, hwreg(HW_REG_IB_STS2, 6, 4)
	s_mul_i32 s2, ttmp9, s2
	s_add_nc_u64 s[12:13], s[0:1], 8
	s_add_co_i32 s3, s3, s2
	s_cmp_eq_u32 s4, 0
	s_mov_b32 s17, 0
	s_cselect_b32 s2, ttmp9, s3
	s_wait_xcnt 0x0
	s_mov_b32 s0, exec_lo
	v_lshl_or_b32 v0, s2, 10, v0
	s_delay_alu instid0(VALU_DEP_1) | instskip(SKIP_2) | instid1(SALU_CYCLE_1)
	v_or_b32_e32 v16, 0x380, v0
	s_wait_kmcnt 0x0
	s_add_co_i32 s29, s28, -1
	s_cmp_gt_u32 s29, 1
	s_cselect_b32 s30, -1, 0
	v_cmpx_le_i32_e64 s35, v16
	s_xor_b32 s31, exec_lo, s0
	s_cbranch_execz .LBB21_7
; %bb.1:
	s_clause 0x4
	s_load_b128 s[4:7], s[12:13], 0x4
	s_load_b64 s[14:15], s[12:13], 0x14
	s_load_b128 s[8:11], s[12:13], 0xc4
	s_load_b128 s[0:3], s[12:13], 0x148
	s_load_b32 s33, s[12:13], 0x158
	s_cmp_lg_u32 s28, 0
	s_add_nc_u64 s[20:21], s[12:13], 0xc4
	s_cselect_b32 s37, -1, 0
	s_min_u32 s36, s29, 15
	s_cmp_gt_u32 s28, 1
	s_mov_b32 s19, s17
	s_cselect_b32 s34, -1, 0
	s_wait_kmcnt 0x0
	s_mov_b32 s16, s5
	s_mov_b32 s18, s14
	s_mov_b32 s5, exec_lo
	v_cmpx_gt_i32_e64 s35, v0
	s_cbranch_execz .LBB21_14
; %bb.2:
	s_and_not1_b32 vcc_lo, exec_lo, s30
	s_cbranch_vccnz .LBB21_21
; %bb.3:
	s_and_not1_b32 vcc_lo, exec_lo, s37
	s_cbranch_vccnz .LBB21_129
; %bb.4:
	s_add_co_i32 s14, s36, 1
	s_cmp_eq_u32 s29, 2
	s_cbranch_scc1 .LBB21_131
; %bb.5:
	v_dual_mov_b32 v2, 0 :: v_dual_mov_b32 v3, 0
	v_mov_b32_e32 v1, v0
	s_and_b32 s22, s14, 28
	s_mov_b32 s23, 0
	s_mov_b64 s[24:25], s[12:13]
	s_mov_b64 s[26:27], s[20:21]
.LBB21_6:                               ; =>This Inner Loop Header: Depth=1
	s_clause 0x1
	s_load_b256 s[40:47], s[24:25], 0x4
	s_load_b128 s[56:59], s[24:25], 0x24
	s_load_b256 s[48:55], s[26:27], 0x0
	s_add_co_i32 s23, s23, 4
	s_wait_xcnt 0x0
	s_add_nc_u64 s[24:25], s[24:25], 48
	s_cmp_lg_u32 s22, s23
	s_add_nc_u64 s[26:27], s[26:27], 32
	s_wait_kmcnt 0x0
	v_mul_hi_u32 v4, s41, v1
	s_delay_alu instid0(VALU_DEP_1) | instskip(NEXT) | instid1(VALU_DEP_1)
	v_add_nc_u32_e32 v4, v1, v4
	v_lshrrev_b32_e32 v4, s42, v4
	s_delay_alu instid0(VALU_DEP_1) | instskip(NEXT) | instid1(VALU_DEP_1)
	v_mul_hi_u32 v5, s44, v4
	v_add_nc_u32_e32 v5, v4, v5
	s_delay_alu instid0(VALU_DEP_1) | instskip(NEXT) | instid1(VALU_DEP_1)
	v_lshrrev_b32_e32 v5, s45, v5
	v_mul_hi_u32 v6, s47, v5
	s_delay_alu instid0(VALU_DEP_1) | instskip(SKIP_1) | instid1(VALU_DEP_1)
	v_add_nc_u32_e32 v6, v5, v6
	v_mul_lo_u32 v7, v4, s40
	v_sub_nc_u32_e32 v1, v1, v7
	v_mul_lo_u32 v7, v5, s43
	s_delay_alu instid0(VALU_DEP_4) | instskip(NEXT) | instid1(VALU_DEP_3)
	v_lshrrev_b32_e32 v6, s56, v6
	v_mad_u32 v3, v1, s49, v3
	v_mad_u32 v1, v1, s48, v2
	s_delay_alu instid0(VALU_DEP_4) | instskip(NEXT) | instid1(VALU_DEP_4)
	v_sub_nc_u32_e32 v2, v4, v7
	v_mul_hi_u32 v8, s58, v6
	v_mul_lo_u32 v4, v6, s46
	s_delay_alu instid0(VALU_DEP_3) | instskip(SKIP_1) | instid1(VALU_DEP_4)
	v_mad_u32 v3, v2, s51, v3
	v_mad_u32 v2, v2, s50, v1
	v_add_nc_u32_e32 v7, v6, v8
	s_delay_alu instid0(VALU_DEP_1) | instskip(NEXT) | instid1(VALU_DEP_1)
	v_dual_sub_nc_u32 v4, v5, v4 :: v_dual_lshrrev_b32 v1, s59, v7
	v_mad_u32 v3, v4, s53, v3
	s_delay_alu instid0(VALU_DEP_4) | instskip(NEXT) | instid1(VALU_DEP_3)
	v_mad_u32 v2, v4, s52, v2
	v_mul_lo_u32 v5, v1, s57
	s_delay_alu instid0(VALU_DEP_1) | instskip(NEXT) | instid1(VALU_DEP_1)
	v_sub_nc_u32_e32 v4, v6, v5
	v_mad_u32 v3, v4, s55, v3
	s_delay_alu instid0(VALU_DEP_4)
	v_mad_u32 v2, v4, s54, v2
	s_cbranch_scc1 .LBB21_6
	s_branch .LBB21_132
.LBB21_7:
	s_and_not1_saveexec_b32 s0, s31
	s_cbranch_execz .LBB21_221
.LBB21_8:
	v_cndmask_b32_e64 v14, 0, 1, s30
	s_and_not1_b32 vcc_lo, exec_lo, s30
	s_cbranch_vccnz .LBB21_20
; %bb.9:
	s_cmp_lg_u32 s28, 0
	s_mov_b32 s6, 0
	s_cbranch_scc0 .LBB21_23
; %bb.10:
	s_min_u32 s1, s29, 15
	s_delay_alu instid0(SALU_CYCLE_1)
	s_add_co_i32 s1, s1, 1
	s_cmp_eq_u32 s29, 2
	s_cbranch_scc1 .LBB21_24
; %bb.11:
	v_dual_mov_b32 v2, 0 :: v_dual_mov_b32 v3, 0
	v_mov_b32_e32 v1, v0
	s_and_b32 s0, s1, 28
	s_add_nc_u64 s[2:3], s[12:13], 0xc4
	s_mov_b32 s7, 0
	s_mov_b64 s[4:5], s[12:13]
.LBB21_12:                              ; =>This Inner Loop Header: Depth=1
	s_clause 0x1
	s_load_b256 s[16:23], s[4:5], 0x4
	s_load_b128 s[8:11], s[4:5], 0x24
	s_load_b256 s[36:43], s[2:3], 0x0
	s_add_co_i32 s7, s7, 4
	s_wait_xcnt 0x0
	s_add_nc_u64 s[4:5], s[4:5], 48
	s_cmp_lg_u32 s0, s7
	s_add_nc_u64 s[2:3], s[2:3], 32
	s_wait_kmcnt 0x0
	v_mul_hi_u32 v4, s17, v1
	s_delay_alu instid0(VALU_DEP_1) | instskip(NEXT) | instid1(VALU_DEP_1)
	v_add_nc_u32_e32 v4, v1, v4
	v_lshrrev_b32_e32 v4, s18, v4
	s_delay_alu instid0(VALU_DEP_1) | instskip(NEXT) | instid1(VALU_DEP_1)
	v_mul_hi_u32 v5, s20, v4
	v_add_nc_u32_e32 v5, v4, v5
	s_delay_alu instid0(VALU_DEP_1) | instskip(NEXT) | instid1(VALU_DEP_1)
	v_lshrrev_b32_e32 v5, s21, v5
	v_mul_hi_u32 v6, s23, v5
	s_delay_alu instid0(VALU_DEP_1) | instskip(SKIP_1) | instid1(VALU_DEP_1)
	v_add_nc_u32_e32 v6, v5, v6
	v_mul_lo_u32 v7, v4, s16
	v_sub_nc_u32_e32 v1, v1, v7
	v_mul_lo_u32 v7, v5, s19
	s_delay_alu instid0(VALU_DEP_4) | instskip(NEXT) | instid1(VALU_DEP_3)
	v_lshrrev_b32_e32 v6, s8, v6
	v_mad_u32 v3, v1, s37, v3
	v_mad_u32 v1, v1, s36, v2
	s_delay_alu instid0(VALU_DEP_4) | instskip(NEXT) | instid1(VALU_DEP_4)
	v_sub_nc_u32_e32 v2, v4, v7
	v_mul_hi_u32 v8, s10, v6
	v_mul_lo_u32 v4, v6, s22
	s_delay_alu instid0(VALU_DEP_3) | instskip(SKIP_1) | instid1(VALU_DEP_4)
	v_mad_u32 v3, v2, s39, v3
	v_mad_u32 v2, v2, s38, v1
	v_add_nc_u32_e32 v7, v6, v8
	s_delay_alu instid0(VALU_DEP_1) | instskip(NEXT) | instid1(VALU_DEP_1)
	v_dual_sub_nc_u32 v4, v5, v4 :: v_dual_lshrrev_b32 v1, s11, v7
	v_mad_u32 v3, v4, s41, v3
	s_delay_alu instid0(VALU_DEP_4) | instskip(NEXT) | instid1(VALU_DEP_3)
	v_mad_u32 v2, v4, s40, v2
	v_mul_lo_u32 v5, v1, s9
	s_delay_alu instid0(VALU_DEP_1) | instskip(NEXT) | instid1(VALU_DEP_1)
	v_sub_nc_u32_e32 v4, v6, v5
	v_mad_u32 v3, v4, s43, v3
	s_delay_alu instid0(VALU_DEP_4)
	v_mad_u32 v2, v4, s42, v2
	s_cbranch_scc1 .LBB21_12
; %bb.13:
	s_and_b32 s4, s1, 3
	s_mov_b32 s1, 0
	s_cmp_eq_u32 s4, 0
	s_cbranch_scc0 .LBB21_25
	s_branch .LBB21_27
.LBB21_14:
	s_or_b32 exec_lo, exec_lo, s5
	s_delay_alu instid0(SALU_CYCLE_1)
	s_mov_b32 s5, exec_lo
	v_cmpx_gt_i32_e64 s35, v0
	s_cbranch_execz .LBB21_139
.LBB21_15:
	s_and_not1_b32 vcc_lo, exec_lo, s30
	s_cbranch_vccnz .LBB21_22
; %bb.16:
	s_and_not1_b32 vcc_lo, exec_lo, s37
	s_cbranch_vccnz .LBB21_130
; %bb.17:
	s_add_co_i32 s14, s36, 1
	s_cmp_eq_u32 s29, 2
	s_cbranch_scc1 .LBB21_147
; %bb.18:
	v_dual_mov_b32 v2, 0 :: v_dual_mov_b32 v3, 0
	v_mov_b32_e32 v1, v0
	s_and_b32 s22, s14, 28
	s_mov_b32 s23, 0
	s_mov_b64 s[24:25], s[12:13]
	s_mov_b64 s[26:27], s[20:21]
.LBB21_19:                              ; =>This Inner Loop Header: Depth=1
	s_clause 0x1
	s_load_b256 s[40:47], s[24:25], 0x4
	s_load_b128 s[56:59], s[24:25], 0x24
	s_load_b256 s[48:55], s[26:27], 0x0
	s_add_co_i32 s23, s23, 4
	s_wait_xcnt 0x0
	s_add_nc_u64 s[24:25], s[24:25], 48
	s_cmp_eq_u32 s22, s23
	s_add_nc_u64 s[26:27], s[26:27], 32
	s_wait_kmcnt 0x0
	v_mul_hi_u32 v4, s41, v1
	s_delay_alu instid0(VALU_DEP_1) | instskip(NEXT) | instid1(VALU_DEP_1)
	v_add_nc_u32_e32 v4, v1, v4
	v_lshrrev_b32_e32 v4, s42, v4
	s_delay_alu instid0(VALU_DEP_1) | instskip(NEXT) | instid1(VALU_DEP_1)
	v_mul_hi_u32 v5, s44, v4
	v_add_nc_u32_e32 v5, v4, v5
	s_delay_alu instid0(VALU_DEP_1) | instskip(NEXT) | instid1(VALU_DEP_1)
	v_lshrrev_b32_e32 v5, s45, v5
	v_mul_hi_u32 v6, s47, v5
	s_delay_alu instid0(VALU_DEP_1) | instskip(SKIP_1) | instid1(VALU_DEP_1)
	v_add_nc_u32_e32 v6, v5, v6
	v_mul_lo_u32 v7, v4, s40
	v_sub_nc_u32_e32 v1, v1, v7
	v_mul_lo_u32 v7, v5, s43
	s_delay_alu instid0(VALU_DEP_4) | instskip(NEXT) | instid1(VALU_DEP_3)
	v_lshrrev_b32_e32 v6, s56, v6
	v_mad_u32 v3, v1, s49, v3
	v_mad_u32 v1, v1, s48, v2
	s_delay_alu instid0(VALU_DEP_4) | instskip(NEXT) | instid1(VALU_DEP_4)
	v_sub_nc_u32_e32 v2, v4, v7
	v_mul_hi_u32 v8, s58, v6
	v_mul_lo_u32 v4, v6, s46
	s_delay_alu instid0(VALU_DEP_3) | instskip(SKIP_1) | instid1(VALU_DEP_4)
	v_mad_u32 v3, v2, s51, v3
	v_mad_u32 v2, v2, s50, v1
	v_add_nc_u32_e32 v7, v6, v8
	s_delay_alu instid0(VALU_DEP_1) | instskip(NEXT) | instid1(VALU_DEP_1)
	v_dual_sub_nc_u32 v4, v5, v4 :: v_dual_lshrrev_b32 v1, s59, v7
	v_mad_u32 v3, v4, s53, v3
	s_delay_alu instid0(VALU_DEP_4) | instskip(NEXT) | instid1(VALU_DEP_3)
	v_mad_u32 v2, v4, s52, v2
	v_mul_lo_u32 v5, v1, s57
	s_delay_alu instid0(VALU_DEP_1) | instskip(NEXT) | instid1(VALU_DEP_1)
	v_sub_nc_u32_e32 v4, v6, v5
	v_mad_u32 v3, v4, s55, v3
	s_delay_alu instid0(VALU_DEP_4)
	v_mad_u32 v2, v4, s54, v2
	s_cbranch_scc0 .LBB21_19
	s_branch .LBB21_148
.LBB21_20:
	s_mov_b32 s6, -1
                                        ; implicit-def: $vgpr3
	s_branch .LBB21_27
.LBB21_21:
                                        ; implicit-def: $vgpr3
	s_branch .LBB21_136
.LBB21_22:
                                        ; implicit-def: $vgpr3
	s_branch .LBB21_152
.LBB21_23:
	v_dual_mov_b32 v3, 0 :: v_dual_mov_b32 v2, 0
	s_branch .LBB21_27
.LBB21_24:
	v_mov_b64_e32 v[2:3], 0
	v_mov_b32_e32 v1, v0
	s_mov_b32 s0, 0
	s_and_b32 s4, s1, 3
	s_mov_b32 s1, 0
	s_cmp_eq_u32 s4, 0
	s_cbranch_scc1 .LBB21_27
.LBB21_25:
	s_lshl_b32 s2, s0, 3
	s_mov_b32 s3, s1
	s_mul_u64 s[8:9], s[0:1], 12
	s_add_nc_u64 s[2:3], s[12:13], s[2:3]
	s_delay_alu instid0(SALU_CYCLE_1)
	s_add_nc_u64 s[0:1], s[2:3], 0xc4
	s_add_nc_u64 s[2:3], s[12:13], s[8:9]
.LBB21_26:                              ; =>This Inner Loop Header: Depth=1
	s_load_b96 s[8:10], s[2:3], 0x4
	s_add_co_i32 s4, s4, -1
	s_wait_xcnt 0x0
	s_add_nc_u64 s[2:3], s[2:3], 12
	s_cmp_lg_u32 s4, 0
	s_wait_kmcnt 0x0
	v_mul_hi_u32 v4, s9, v1
	s_delay_alu instid0(VALU_DEP_1) | instskip(NEXT) | instid1(VALU_DEP_1)
	v_add_nc_u32_e32 v4, v1, v4
	v_lshrrev_b32_e32 v4, s10, v4
	s_load_b64 s[10:11], s[0:1], 0x0
	s_wait_xcnt 0x0
	s_add_nc_u64 s[0:1], s[0:1], 8
	s_delay_alu instid0(VALU_DEP_1) | instskip(NEXT) | instid1(VALU_DEP_1)
	v_mul_lo_u32 v5, v4, s8
	v_sub_nc_u32_e32 v1, v1, v5
	s_wait_kmcnt 0x0
	s_delay_alu instid0(VALU_DEP_1)
	v_mad_u32 v3, v1, s11, v3
	v_mad_u32 v2, v1, s10, v2
	v_mov_b32_e32 v1, v4
	s_cbranch_scc1 .LBB21_26
.LBB21_27:
	s_and_not1_b32 vcc_lo, exec_lo, s6
	s_cbranch_vccnz .LBB21_30
; %bb.28:
	s_clause 0x1
	s_load_b96 s[0:2], s[12:13], 0x4
	s_load_b64 s[4:5], s[12:13], 0xc4
	s_cmp_lt_u32 s28, 2
	s_wait_kmcnt 0x0
	v_mul_hi_u32 v1, s1, v0
	s_delay_alu instid0(VALU_DEP_1) | instskip(NEXT) | instid1(VALU_DEP_1)
	v_add_nc_u32_e32 v1, v0, v1
	v_lshrrev_b32_e32 v1, s2, v1
	s_delay_alu instid0(VALU_DEP_1) | instskip(NEXT) | instid1(VALU_DEP_1)
	v_mul_lo_u32 v2, v1, s0
	v_sub_nc_u32_e32 v2, v0, v2
	s_delay_alu instid0(VALU_DEP_1)
	v_mul_lo_u32 v3, v2, s5
	v_mul_lo_u32 v2, v2, s4
	s_cbranch_scc1 .LBB21_30
; %bb.29:
	s_clause 0x1
	s_load_b96 s[0:2], s[12:13], 0x10
	s_load_b64 s[4:5], s[12:13], 0xcc
	s_wait_kmcnt 0x0
	v_mul_hi_u32 v4, s1, v1
	s_delay_alu instid0(VALU_DEP_1) | instskip(NEXT) | instid1(VALU_DEP_1)
	v_add_nc_u32_e32 v4, v1, v4
	v_lshrrev_b32_e32 v4, s2, v4
	s_delay_alu instid0(VALU_DEP_1) | instskip(NEXT) | instid1(VALU_DEP_1)
	v_mul_lo_u32 v4, v4, s0
	v_sub_nc_u32_e32 v1, v1, v4
	s_delay_alu instid0(VALU_DEP_1)
	v_mad_u32 v2, v1, s4, v2
	v_mad_u32 v3, v1, s5, v3
.LBB21_30:
	v_cmp_ne_u32_e32 vcc_lo, 1, v14
	v_add_nc_u32_e32 v1, 0x80, v0
	s_cbranch_vccnz .LBB21_36
; %bb.31:
	s_cmp_lg_u32 s28, 0
	s_mov_b32 s6, 0
	s_cbranch_scc0 .LBB21_37
; %bb.32:
	s_min_u32 s1, s29, 15
	s_delay_alu instid0(SALU_CYCLE_1)
	s_add_co_i32 s1, s1, 1
	s_cmp_eq_u32 s29, 2
	s_cbranch_scc1 .LBB21_38
; %bb.33:
	v_dual_mov_b32 v4, 0 :: v_dual_mov_b32 v5, 0
	v_mov_b32_e32 v6, v1
	s_and_b32 s0, s1, 28
	s_add_nc_u64 s[2:3], s[12:13], 0xc4
	s_mov_b32 s7, 0
	s_mov_b64 s[4:5], s[12:13]
.LBB21_34:                              ; =>This Inner Loop Header: Depth=1
	s_clause 0x1
	s_load_b256 s[16:23], s[4:5], 0x4
	s_load_b128 s[8:11], s[4:5], 0x24
	s_load_b256 s[36:43], s[2:3], 0x0
	s_add_co_i32 s7, s7, 4
	s_wait_xcnt 0x0
	s_add_nc_u64 s[4:5], s[4:5], 48
	s_cmp_lg_u32 s0, s7
	s_add_nc_u64 s[2:3], s[2:3], 32
	s_wait_kmcnt 0x0
	v_mul_hi_u32 v7, s17, v6
	s_delay_alu instid0(VALU_DEP_1) | instskip(NEXT) | instid1(VALU_DEP_1)
	v_add_nc_u32_e32 v7, v6, v7
	v_lshrrev_b32_e32 v7, s18, v7
	s_delay_alu instid0(VALU_DEP_1) | instskip(NEXT) | instid1(VALU_DEP_1)
	v_mul_hi_u32 v8, s20, v7
	v_add_nc_u32_e32 v8, v7, v8
	s_delay_alu instid0(VALU_DEP_1) | instskip(NEXT) | instid1(VALU_DEP_1)
	v_lshrrev_b32_e32 v8, s21, v8
	v_mul_hi_u32 v9, s23, v8
	s_delay_alu instid0(VALU_DEP_1) | instskip(SKIP_1) | instid1(VALU_DEP_1)
	v_add_nc_u32_e32 v9, v8, v9
	v_mul_lo_u32 v10, v7, s16
	v_sub_nc_u32_e32 v6, v6, v10
	v_mul_lo_u32 v10, v8, s19
	s_delay_alu instid0(VALU_DEP_4) | instskip(NEXT) | instid1(VALU_DEP_3)
	v_lshrrev_b32_e32 v9, s8, v9
	v_mad_u32 v5, v6, s37, v5
	v_mad_u32 v4, v6, s36, v4
	s_delay_alu instid0(VALU_DEP_4) | instskip(NEXT) | instid1(VALU_DEP_4)
	v_sub_nc_u32_e32 v6, v7, v10
	v_mul_hi_u32 v11, s10, v9
	v_mul_lo_u32 v7, v9, s22
	s_delay_alu instid0(VALU_DEP_3) | instskip(SKIP_1) | instid1(VALU_DEP_4)
	v_mad_u32 v5, v6, s39, v5
	v_mad_u32 v4, v6, s38, v4
	v_add_nc_u32_e32 v10, v9, v11
	s_delay_alu instid0(VALU_DEP_1) | instskip(NEXT) | instid1(VALU_DEP_1)
	v_dual_sub_nc_u32 v7, v8, v7 :: v_dual_lshrrev_b32 v6, s11, v10
	v_mad_u32 v5, v7, s41, v5
	s_delay_alu instid0(VALU_DEP_4) | instskip(NEXT) | instid1(VALU_DEP_3)
	v_mad_u32 v4, v7, s40, v4
	v_mul_lo_u32 v8, v6, s9
	s_delay_alu instid0(VALU_DEP_1) | instskip(NEXT) | instid1(VALU_DEP_1)
	v_sub_nc_u32_e32 v7, v9, v8
	v_mad_u32 v5, v7, s43, v5
	s_delay_alu instid0(VALU_DEP_4)
	v_mad_u32 v4, v7, s42, v4
	s_cbranch_scc1 .LBB21_34
; %bb.35:
	s_and_b32 s4, s1, 3
	s_mov_b32 s1, 0
	s_cmp_eq_u32 s4, 0
	s_cbranch_scc0 .LBB21_39
	s_branch .LBB21_41
.LBB21_36:
	s_mov_b32 s6, -1
                                        ; implicit-def: $vgpr5
	s_branch .LBB21_41
.LBB21_37:
	v_dual_mov_b32 v5, 0 :: v_dual_mov_b32 v4, 0
	s_branch .LBB21_41
.LBB21_38:
	v_mov_b64_e32 v[4:5], 0
	v_mov_b32_e32 v6, v1
	s_mov_b32 s0, 0
	s_and_b32 s4, s1, 3
	s_mov_b32 s1, 0
	s_cmp_eq_u32 s4, 0
	s_cbranch_scc1 .LBB21_41
.LBB21_39:
	s_lshl_b32 s2, s0, 3
	s_mov_b32 s3, s1
	s_mul_u64 s[8:9], s[0:1], 12
	s_add_nc_u64 s[2:3], s[12:13], s[2:3]
	s_delay_alu instid0(SALU_CYCLE_1)
	s_add_nc_u64 s[0:1], s[2:3], 0xc4
	s_add_nc_u64 s[2:3], s[12:13], s[8:9]
.LBB21_40:                              ; =>This Inner Loop Header: Depth=1
	s_load_b96 s[8:10], s[2:3], 0x4
	s_add_co_i32 s4, s4, -1
	s_wait_xcnt 0x0
	s_add_nc_u64 s[2:3], s[2:3], 12
	s_cmp_lg_u32 s4, 0
	s_wait_kmcnt 0x0
	v_mul_hi_u32 v7, s9, v6
	s_delay_alu instid0(VALU_DEP_1) | instskip(NEXT) | instid1(VALU_DEP_1)
	v_add_nc_u32_e32 v7, v6, v7
	v_lshrrev_b32_e32 v7, s10, v7
	s_load_b64 s[10:11], s[0:1], 0x0
	s_wait_xcnt 0x0
	s_add_nc_u64 s[0:1], s[0:1], 8
	s_delay_alu instid0(VALU_DEP_1) | instskip(NEXT) | instid1(VALU_DEP_1)
	v_mul_lo_u32 v8, v7, s8
	v_sub_nc_u32_e32 v6, v6, v8
	s_wait_kmcnt 0x0
	s_delay_alu instid0(VALU_DEP_1)
	v_mad_u32 v5, v6, s11, v5
	v_mad_u32 v4, v6, s10, v4
	v_mov_b32_e32 v6, v7
	s_cbranch_scc1 .LBB21_40
.LBB21_41:
	s_and_not1_b32 vcc_lo, exec_lo, s6
	s_cbranch_vccnz .LBB21_44
; %bb.42:
	s_clause 0x1
	s_load_b96 s[0:2], s[12:13], 0x4
	s_load_b64 s[4:5], s[12:13], 0xc4
	s_cmp_lt_u32 s28, 2
	s_wait_kmcnt 0x0
	v_mul_hi_u32 v4, s1, v1
	s_delay_alu instid0(VALU_DEP_1) | instskip(NEXT) | instid1(VALU_DEP_1)
	v_add_nc_u32_e32 v4, v1, v4
	v_lshrrev_b32_e32 v6, s2, v4
	s_delay_alu instid0(VALU_DEP_1) | instskip(NEXT) | instid1(VALU_DEP_1)
	v_mul_lo_u32 v4, v6, s0
	v_sub_nc_u32_e32 v1, v1, v4
	s_delay_alu instid0(VALU_DEP_1)
	v_mul_lo_u32 v5, v1, s5
	v_mul_lo_u32 v4, v1, s4
	s_cbranch_scc1 .LBB21_44
; %bb.43:
	s_clause 0x1
	s_load_b96 s[0:2], s[12:13], 0x10
	s_load_b64 s[4:5], s[12:13], 0xcc
	s_wait_kmcnt 0x0
	v_mul_hi_u32 v1, s1, v6
	s_delay_alu instid0(VALU_DEP_1) | instskip(NEXT) | instid1(VALU_DEP_1)
	v_add_nc_u32_e32 v1, v6, v1
	v_lshrrev_b32_e32 v1, s2, v1
	s_delay_alu instid0(VALU_DEP_1) | instskip(NEXT) | instid1(VALU_DEP_1)
	v_mul_lo_u32 v1, v1, s0
	v_sub_nc_u32_e32 v1, v6, v1
	s_delay_alu instid0(VALU_DEP_1)
	v_mad_u32 v4, v1, s4, v4
	v_mad_u32 v5, v1, s5, v5
.LBB21_44:
	v_cmp_ne_u32_e32 vcc_lo, 1, v14
	v_add_nc_u32_e32 v1, 0x100, v0
	s_cbranch_vccnz .LBB21_50
; %bb.45:
	s_cmp_lg_u32 s28, 0
	s_mov_b32 s6, 0
	s_cbranch_scc0 .LBB21_51
; %bb.46:
	s_min_u32 s1, s29, 15
	s_delay_alu instid0(SALU_CYCLE_1)
	s_add_co_i32 s1, s1, 1
	s_cmp_eq_u32 s29, 2
	s_cbranch_scc1 .LBB21_52
; %bb.47:
	v_dual_mov_b32 v6, 0 :: v_dual_mov_b32 v7, 0
	v_mov_b32_e32 v8, v1
	s_and_b32 s0, s1, 28
	s_add_nc_u64 s[2:3], s[12:13], 0xc4
	s_mov_b32 s7, 0
	s_mov_b64 s[4:5], s[12:13]
.LBB21_48:                              ; =>This Inner Loop Header: Depth=1
	s_clause 0x1
	s_load_b256 s[16:23], s[4:5], 0x4
	s_load_b128 s[8:11], s[4:5], 0x24
	s_load_b256 s[36:43], s[2:3], 0x0
	s_add_co_i32 s7, s7, 4
	s_wait_xcnt 0x0
	s_add_nc_u64 s[4:5], s[4:5], 48
	s_cmp_lg_u32 s0, s7
	s_add_nc_u64 s[2:3], s[2:3], 32
	s_wait_kmcnt 0x0
	v_mul_hi_u32 v9, s17, v8
	s_delay_alu instid0(VALU_DEP_1) | instskip(NEXT) | instid1(VALU_DEP_1)
	v_add_nc_u32_e32 v9, v8, v9
	v_lshrrev_b32_e32 v9, s18, v9
	s_delay_alu instid0(VALU_DEP_1) | instskip(NEXT) | instid1(VALU_DEP_1)
	v_mul_hi_u32 v10, s20, v9
	v_add_nc_u32_e32 v10, v9, v10
	s_delay_alu instid0(VALU_DEP_1) | instskip(NEXT) | instid1(VALU_DEP_1)
	v_lshrrev_b32_e32 v10, s21, v10
	v_mul_hi_u32 v11, s23, v10
	s_delay_alu instid0(VALU_DEP_1) | instskip(SKIP_1) | instid1(VALU_DEP_1)
	v_add_nc_u32_e32 v11, v10, v11
	v_mul_lo_u32 v12, v9, s16
	v_sub_nc_u32_e32 v8, v8, v12
	v_mul_lo_u32 v12, v10, s19
	s_delay_alu instid0(VALU_DEP_4) | instskip(NEXT) | instid1(VALU_DEP_3)
	v_lshrrev_b32_e32 v11, s8, v11
	v_mad_u32 v7, v8, s37, v7
	v_mad_u32 v6, v8, s36, v6
	s_delay_alu instid0(VALU_DEP_4) | instskip(NEXT) | instid1(VALU_DEP_4)
	v_sub_nc_u32_e32 v8, v9, v12
	v_mul_hi_u32 v13, s10, v11
	v_mul_lo_u32 v9, v11, s22
	s_delay_alu instid0(VALU_DEP_3) | instskip(SKIP_1) | instid1(VALU_DEP_4)
	v_mad_u32 v7, v8, s39, v7
	v_mad_u32 v6, v8, s38, v6
	v_add_nc_u32_e32 v12, v11, v13
	s_delay_alu instid0(VALU_DEP_1) | instskip(NEXT) | instid1(VALU_DEP_1)
	v_dual_sub_nc_u32 v9, v10, v9 :: v_dual_lshrrev_b32 v8, s11, v12
	v_mad_u32 v7, v9, s41, v7
	s_delay_alu instid0(VALU_DEP_4) | instskip(NEXT) | instid1(VALU_DEP_3)
	v_mad_u32 v6, v9, s40, v6
	v_mul_lo_u32 v10, v8, s9
	s_delay_alu instid0(VALU_DEP_1) | instskip(NEXT) | instid1(VALU_DEP_1)
	v_sub_nc_u32_e32 v9, v11, v10
	v_mad_u32 v7, v9, s43, v7
	s_delay_alu instid0(VALU_DEP_4)
	v_mad_u32 v6, v9, s42, v6
	s_cbranch_scc1 .LBB21_48
; %bb.49:
	s_and_b32 s4, s1, 3
	s_mov_b32 s1, 0
	s_cmp_eq_u32 s4, 0
	s_cbranch_scc0 .LBB21_53
	s_branch .LBB21_55
.LBB21_50:
	s_mov_b32 s6, -1
                                        ; implicit-def: $vgpr7
	s_branch .LBB21_55
.LBB21_51:
	v_dual_mov_b32 v7, 0 :: v_dual_mov_b32 v6, 0
	s_branch .LBB21_55
.LBB21_52:
	v_mov_b64_e32 v[6:7], 0
	v_mov_b32_e32 v8, v1
	s_mov_b32 s0, 0
	s_and_b32 s4, s1, 3
	s_mov_b32 s1, 0
	s_cmp_eq_u32 s4, 0
	s_cbranch_scc1 .LBB21_55
.LBB21_53:
	s_lshl_b32 s2, s0, 3
	s_mov_b32 s3, s1
	s_mul_u64 s[8:9], s[0:1], 12
	s_add_nc_u64 s[2:3], s[12:13], s[2:3]
	s_delay_alu instid0(SALU_CYCLE_1)
	s_add_nc_u64 s[0:1], s[2:3], 0xc4
	s_add_nc_u64 s[2:3], s[12:13], s[8:9]
.LBB21_54:                              ; =>This Inner Loop Header: Depth=1
	s_load_b96 s[8:10], s[2:3], 0x4
	s_add_co_i32 s4, s4, -1
	s_wait_xcnt 0x0
	s_add_nc_u64 s[2:3], s[2:3], 12
	s_cmp_lg_u32 s4, 0
	s_wait_kmcnt 0x0
	v_mul_hi_u32 v9, s9, v8
	s_delay_alu instid0(VALU_DEP_1) | instskip(NEXT) | instid1(VALU_DEP_1)
	v_add_nc_u32_e32 v9, v8, v9
	v_lshrrev_b32_e32 v9, s10, v9
	s_load_b64 s[10:11], s[0:1], 0x0
	s_wait_xcnt 0x0
	s_add_nc_u64 s[0:1], s[0:1], 8
	s_delay_alu instid0(VALU_DEP_1) | instskip(NEXT) | instid1(VALU_DEP_1)
	v_mul_lo_u32 v10, v9, s8
	v_sub_nc_u32_e32 v8, v8, v10
	s_wait_kmcnt 0x0
	s_delay_alu instid0(VALU_DEP_1)
	v_mad_u32 v7, v8, s11, v7
	v_mad_u32 v6, v8, s10, v6
	v_mov_b32_e32 v8, v9
	s_cbranch_scc1 .LBB21_54
.LBB21_55:
	s_and_not1_b32 vcc_lo, exec_lo, s6
	s_cbranch_vccnz .LBB21_58
; %bb.56:
	s_clause 0x1
	s_load_b96 s[0:2], s[12:13], 0x4
	s_load_b64 s[4:5], s[12:13], 0xc4
	s_cmp_lt_u32 s28, 2
	s_wait_kmcnt 0x0
	v_mul_hi_u32 v6, s1, v1
	s_delay_alu instid0(VALU_DEP_1) | instskip(NEXT) | instid1(VALU_DEP_1)
	v_add_nc_u32_e32 v6, v1, v6
	v_lshrrev_b32_e32 v8, s2, v6
	s_delay_alu instid0(VALU_DEP_1) | instskip(NEXT) | instid1(VALU_DEP_1)
	v_mul_lo_u32 v6, v8, s0
	v_sub_nc_u32_e32 v1, v1, v6
	s_delay_alu instid0(VALU_DEP_1)
	v_mul_lo_u32 v7, v1, s5
	v_mul_lo_u32 v6, v1, s4
	s_cbranch_scc1 .LBB21_58
; %bb.57:
	s_clause 0x1
	s_load_b96 s[0:2], s[12:13], 0x10
	s_load_b64 s[4:5], s[12:13], 0xcc
	s_wait_kmcnt 0x0
	v_mul_hi_u32 v1, s1, v8
	s_delay_alu instid0(VALU_DEP_1) | instskip(NEXT) | instid1(VALU_DEP_1)
	v_add_nc_u32_e32 v1, v8, v1
	v_lshrrev_b32_e32 v1, s2, v1
	s_delay_alu instid0(VALU_DEP_1) | instskip(NEXT) | instid1(VALU_DEP_1)
	v_mul_lo_u32 v1, v1, s0
	v_sub_nc_u32_e32 v1, v8, v1
	s_delay_alu instid0(VALU_DEP_1)
	v_mad_u32 v6, v1, s4, v6
	v_mad_u32 v7, v1, s5, v7
.LBB21_58:
	v_cmp_ne_u32_e32 vcc_lo, 1, v14
	v_add_nc_u32_e32 v1, 0x180, v0
	s_cbranch_vccnz .LBB21_64
; %bb.59:
	s_cmp_lg_u32 s28, 0
	s_mov_b32 s6, 0
	s_cbranch_scc0 .LBB21_65
; %bb.60:
	s_min_u32 s1, s29, 15
	s_delay_alu instid0(SALU_CYCLE_1)
	s_add_co_i32 s1, s1, 1
	s_cmp_eq_u32 s29, 2
	s_cbranch_scc1 .LBB21_66
; %bb.61:
	v_dual_mov_b32 v8, 0 :: v_dual_mov_b32 v9, 0
	v_mov_b32_e32 v10, v1
	s_and_b32 s0, s1, 28
	s_add_nc_u64 s[2:3], s[12:13], 0xc4
	s_mov_b32 s7, 0
	s_mov_b64 s[4:5], s[12:13]
.LBB21_62:                              ; =>This Inner Loop Header: Depth=1
	s_clause 0x1
	s_load_b256 s[16:23], s[4:5], 0x4
	s_load_b128 s[8:11], s[4:5], 0x24
	s_load_b256 s[36:43], s[2:3], 0x0
	s_add_co_i32 s7, s7, 4
	s_wait_xcnt 0x0
	s_add_nc_u64 s[4:5], s[4:5], 48
	s_cmp_lg_u32 s0, s7
	s_add_nc_u64 s[2:3], s[2:3], 32
	s_wait_kmcnt 0x0
	v_mul_hi_u32 v11, s17, v10
	s_delay_alu instid0(VALU_DEP_1) | instskip(NEXT) | instid1(VALU_DEP_1)
	v_add_nc_u32_e32 v11, v10, v11
	v_lshrrev_b32_e32 v11, s18, v11
	s_delay_alu instid0(VALU_DEP_1) | instskip(NEXT) | instid1(VALU_DEP_1)
	v_mul_hi_u32 v12, s20, v11
	v_add_nc_u32_e32 v12, v11, v12
	s_delay_alu instid0(VALU_DEP_1) | instskip(NEXT) | instid1(VALU_DEP_1)
	v_lshrrev_b32_e32 v12, s21, v12
	v_mul_hi_u32 v13, s23, v12
	s_delay_alu instid0(VALU_DEP_1) | instskip(SKIP_1) | instid1(VALU_DEP_1)
	v_add_nc_u32_e32 v13, v12, v13
	v_mul_lo_u32 v15, v11, s16
	v_sub_nc_u32_e32 v10, v10, v15
	v_mul_lo_u32 v15, v12, s19
	s_delay_alu instid0(VALU_DEP_4) | instskip(NEXT) | instid1(VALU_DEP_3)
	v_lshrrev_b32_e32 v13, s8, v13
	v_mad_u32 v9, v10, s37, v9
	v_mad_u32 v8, v10, s36, v8
	s_delay_alu instid0(VALU_DEP_4) | instskip(NEXT) | instid1(VALU_DEP_4)
	v_sub_nc_u32_e32 v10, v11, v15
	v_mul_hi_u32 v17, s10, v13
	v_mul_lo_u32 v11, v13, s22
	s_delay_alu instid0(VALU_DEP_3) | instskip(SKIP_1) | instid1(VALU_DEP_3)
	v_mad_u32 v9, v10, s39, v9
	v_mad_u32 v8, v10, s38, v8
	v_dual_add_nc_u32 v15, v13, v17 :: v_dual_sub_nc_u32 v11, v12, v11
	s_delay_alu instid0(VALU_DEP_1) | instskip(NEXT) | instid1(VALU_DEP_2)
	v_lshrrev_b32_e32 v10, s11, v15
	v_mad_u32 v9, v11, s41, v9
	s_delay_alu instid0(VALU_DEP_4) | instskip(NEXT) | instid1(VALU_DEP_3)
	v_mad_u32 v8, v11, s40, v8
	v_mul_lo_u32 v12, v10, s9
	s_delay_alu instid0(VALU_DEP_1) | instskip(NEXT) | instid1(VALU_DEP_1)
	v_sub_nc_u32_e32 v11, v13, v12
	v_mad_u32 v9, v11, s43, v9
	s_delay_alu instid0(VALU_DEP_4)
	v_mad_u32 v8, v11, s42, v8
	s_cbranch_scc1 .LBB21_62
; %bb.63:
	s_and_b32 s4, s1, 3
	s_mov_b32 s1, 0
	s_cmp_eq_u32 s4, 0
	s_cbranch_scc0 .LBB21_67
	s_branch .LBB21_69
.LBB21_64:
	s_mov_b32 s6, -1
                                        ; implicit-def: $vgpr9
	s_branch .LBB21_69
.LBB21_65:
	v_dual_mov_b32 v9, 0 :: v_dual_mov_b32 v8, 0
	s_branch .LBB21_69
.LBB21_66:
	v_mov_b64_e32 v[8:9], 0
	v_mov_b32_e32 v10, v1
	s_mov_b32 s0, 0
	s_and_b32 s4, s1, 3
	s_mov_b32 s1, 0
	s_cmp_eq_u32 s4, 0
	s_cbranch_scc1 .LBB21_69
.LBB21_67:
	s_lshl_b32 s2, s0, 3
	s_mov_b32 s3, s1
	s_mul_u64 s[8:9], s[0:1], 12
	s_add_nc_u64 s[2:3], s[12:13], s[2:3]
	s_delay_alu instid0(SALU_CYCLE_1)
	s_add_nc_u64 s[0:1], s[2:3], 0xc4
	s_add_nc_u64 s[2:3], s[12:13], s[8:9]
.LBB21_68:                              ; =>This Inner Loop Header: Depth=1
	s_load_b96 s[8:10], s[2:3], 0x4
	s_add_co_i32 s4, s4, -1
	s_wait_xcnt 0x0
	s_add_nc_u64 s[2:3], s[2:3], 12
	s_cmp_lg_u32 s4, 0
	s_wait_kmcnt 0x0
	v_mul_hi_u32 v11, s9, v10
	s_delay_alu instid0(VALU_DEP_1) | instskip(NEXT) | instid1(VALU_DEP_1)
	v_add_nc_u32_e32 v11, v10, v11
	v_lshrrev_b32_e32 v11, s10, v11
	s_load_b64 s[10:11], s[0:1], 0x0
	s_wait_xcnt 0x0
	s_add_nc_u64 s[0:1], s[0:1], 8
	s_delay_alu instid0(VALU_DEP_1) | instskip(NEXT) | instid1(VALU_DEP_1)
	v_mul_lo_u32 v12, v11, s8
	v_sub_nc_u32_e32 v10, v10, v12
	s_wait_kmcnt 0x0
	s_delay_alu instid0(VALU_DEP_1)
	v_mad_u32 v9, v10, s11, v9
	v_mad_u32 v8, v10, s10, v8
	v_mov_b32_e32 v10, v11
	s_cbranch_scc1 .LBB21_68
.LBB21_69:
	s_and_not1_b32 vcc_lo, exec_lo, s6
	s_cbranch_vccnz .LBB21_72
; %bb.70:
	s_clause 0x1
	s_load_b96 s[0:2], s[12:13], 0x4
	s_load_b64 s[4:5], s[12:13], 0xc4
	s_cmp_lt_u32 s28, 2
	s_wait_kmcnt 0x0
	v_mul_hi_u32 v8, s1, v1
	s_delay_alu instid0(VALU_DEP_1) | instskip(NEXT) | instid1(VALU_DEP_1)
	v_add_nc_u32_e32 v8, v1, v8
	v_lshrrev_b32_e32 v10, s2, v8
	s_delay_alu instid0(VALU_DEP_1) | instskip(NEXT) | instid1(VALU_DEP_1)
	v_mul_lo_u32 v8, v10, s0
	v_sub_nc_u32_e32 v1, v1, v8
	s_delay_alu instid0(VALU_DEP_1)
	v_mul_lo_u32 v9, v1, s5
	v_mul_lo_u32 v8, v1, s4
	s_cbranch_scc1 .LBB21_72
; %bb.71:
	s_clause 0x1
	s_load_b96 s[0:2], s[12:13], 0x10
	s_load_b64 s[4:5], s[12:13], 0xcc
	s_wait_kmcnt 0x0
	v_mul_hi_u32 v1, s1, v10
	s_delay_alu instid0(VALU_DEP_1) | instskip(NEXT) | instid1(VALU_DEP_1)
	v_add_nc_u32_e32 v1, v10, v1
	v_lshrrev_b32_e32 v1, s2, v1
	s_delay_alu instid0(VALU_DEP_1) | instskip(NEXT) | instid1(VALU_DEP_1)
	v_mul_lo_u32 v1, v1, s0
	v_sub_nc_u32_e32 v1, v10, v1
	s_delay_alu instid0(VALU_DEP_1)
	v_mad_u32 v8, v1, s4, v8
	v_mad_u32 v9, v1, s5, v9
.LBB21_72:
	v_cmp_ne_u32_e32 vcc_lo, 1, v14
	v_add_nc_u32_e32 v1, 0x200, v0
	s_cbranch_vccnz .LBB21_78
; %bb.73:
	s_cmp_lg_u32 s28, 0
	s_mov_b32 s6, 0
	s_cbranch_scc0 .LBB21_79
; %bb.74:
	s_min_u32 s1, s29, 15
	s_delay_alu instid0(SALU_CYCLE_1)
	s_add_co_i32 s1, s1, 1
	s_cmp_eq_u32 s29, 2
	s_cbranch_scc1 .LBB21_80
; %bb.75:
	v_dual_mov_b32 v10, 0 :: v_dual_mov_b32 v11, 0
	v_mov_b32_e32 v12, v1
	s_and_b32 s0, s1, 28
	s_add_nc_u64 s[2:3], s[12:13], 0xc4
	s_mov_b32 s7, 0
	s_mov_b64 s[4:5], s[12:13]
.LBB21_76:                              ; =>This Inner Loop Header: Depth=1
	s_clause 0x1
	s_load_b256 s[16:23], s[4:5], 0x4
	s_load_b128 s[8:11], s[4:5], 0x24
	s_load_b256 s[36:43], s[2:3], 0x0
	s_add_co_i32 s7, s7, 4
	s_wait_xcnt 0x0
	s_add_nc_u64 s[4:5], s[4:5], 48
	s_cmp_lg_u32 s0, s7
	s_add_nc_u64 s[2:3], s[2:3], 32
	s_wait_kmcnt 0x0
	v_mul_hi_u32 v13, s17, v12
	s_delay_alu instid0(VALU_DEP_1) | instskip(NEXT) | instid1(VALU_DEP_1)
	v_add_nc_u32_e32 v13, v12, v13
	v_lshrrev_b32_e32 v13, s18, v13
	s_delay_alu instid0(VALU_DEP_1) | instskip(NEXT) | instid1(VALU_DEP_1)
	v_mul_lo_u32 v18, v13, s16
	v_sub_nc_u32_e32 v12, v12, v18
	v_mul_hi_u32 v15, s20, v13
	s_delay_alu instid0(VALU_DEP_2) | instskip(SKIP_1) | instid1(VALU_DEP_3)
	v_mad_u32 v11, v12, s37, v11
	v_mad_u32 v10, v12, s36, v10
	v_add_nc_u32_e32 v15, v13, v15
	s_delay_alu instid0(VALU_DEP_1) | instskip(NEXT) | instid1(VALU_DEP_1)
	v_lshrrev_b32_e32 v15, s21, v15
	v_mul_hi_u32 v17, s23, v15
	v_mul_lo_u32 v18, v15, s19
	s_delay_alu instid0(VALU_DEP_1) | instskip(NEXT) | instid1(VALU_DEP_1)
	v_dual_add_nc_u32 v17, v15, v17 :: v_dual_sub_nc_u32 v12, v13, v18
	v_lshrrev_b32_e32 v17, s8, v17
	s_delay_alu instid0(VALU_DEP_2) | instskip(SKIP_1) | instid1(VALU_DEP_3)
	v_mad_u32 v11, v12, s39, v11
	v_mad_u32 v10, v12, s38, v10
	v_mul_hi_u32 v19, s10, v17
	v_mul_lo_u32 v13, v17, s22
	s_delay_alu instid0(VALU_DEP_1) | instskip(NEXT) | instid1(VALU_DEP_1)
	v_dual_add_nc_u32 v18, v17, v19 :: v_dual_sub_nc_u32 v13, v15, v13
	v_lshrrev_b32_e32 v12, s11, v18
	s_delay_alu instid0(VALU_DEP_2) | instskip(SKIP_1) | instid1(VALU_DEP_3)
	v_mad_u32 v11, v13, s41, v11
	v_mad_u32 v10, v13, s40, v10
	v_mul_lo_u32 v15, v12, s9
	s_delay_alu instid0(VALU_DEP_1) | instskip(NEXT) | instid1(VALU_DEP_1)
	v_sub_nc_u32_e32 v13, v17, v15
	v_mad_u32 v11, v13, s43, v11
	s_delay_alu instid0(VALU_DEP_4)
	v_mad_u32 v10, v13, s42, v10
	s_cbranch_scc1 .LBB21_76
; %bb.77:
	s_and_b32 s4, s1, 3
	s_mov_b32 s1, 0
	s_cmp_eq_u32 s4, 0
	s_cbranch_scc0 .LBB21_81
	s_branch .LBB21_83
.LBB21_78:
	s_mov_b32 s6, -1
                                        ; implicit-def: $vgpr11
	s_branch .LBB21_83
.LBB21_79:
	v_dual_mov_b32 v11, 0 :: v_dual_mov_b32 v10, 0
	s_branch .LBB21_83
.LBB21_80:
	v_mov_b64_e32 v[10:11], 0
	v_mov_b32_e32 v12, v1
	s_mov_b32 s0, 0
	s_and_b32 s4, s1, 3
	s_mov_b32 s1, 0
	s_cmp_eq_u32 s4, 0
	s_cbranch_scc1 .LBB21_83
.LBB21_81:
	s_lshl_b32 s2, s0, 3
	s_mov_b32 s3, s1
	s_mul_u64 s[8:9], s[0:1], 12
	s_add_nc_u64 s[2:3], s[12:13], s[2:3]
	s_delay_alu instid0(SALU_CYCLE_1)
	s_add_nc_u64 s[0:1], s[2:3], 0xc4
	s_add_nc_u64 s[2:3], s[12:13], s[8:9]
.LBB21_82:                              ; =>This Inner Loop Header: Depth=1
	s_load_b96 s[8:10], s[2:3], 0x4
	s_add_co_i32 s4, s4, -1
	s_wait_xcnt 0x0
	s_add_nc_u64 s[2:3], s[2:3], 12
	s_cmp_lg_u32 s4, 0
	s_wait_kmcnt 0x0
	v_mul_hi_u32 v13, s9, v12
	s_delay_alu instid0(VALU_DEP_1) | instskip(NEXT) | instid1(VALU_DEP_1)
	v_add_nc_u32_e32 v13, v12, v13
	v_lshrrev_b32_e32 v13, s10, v13
	s_load_b64 s[10:11], s[0:1], 0x0
	s_wait_xcnt 0x0
	s_add_nc_u64 s[0:1], s[0:1], 8
	s_delay_alu instid0(VALU_DEP_1) | instskip(NEXT) | instid1(VALU_DEP_1)
	v_mul_lo_u32 v15, v13, s8
	v_sub_nc_u32_e32 v12, v12, v15
	s_wait_kmcnt 0x0
	s_delay_alu instid0(VALU_DEP_1)
	v_mad_u32 v11, v12, s11, v11
	v_mad_u32 v10, v12, s10, v10
	v_mov_b32_e32 v12, v13
	s_cbranch_scc1 .LBB21_82
.LBB21_83:
	s_and_not1_b32 vcc_lo, exec_lo, s6
	s_cbranch_vccnz .LBB21_86
; %bb.84:
	s_clause 0x1
	s_load_b96 s[0:2], s[12:13], 0x4
	s_load_b64 s[4:5], s[12:13], 0xc4
	s_cmp_lt_u32 s28, 2
	s_wait_kmcnt 0x0
	v_mul_hi_u32 v10, s1, v1
	s_delay_alu instid0(VALU_DEP_1) | instskip(NEXT) | instid1(VALU_DEP_1)
	v_add_nc_u32_e32 v10, v1, v10
	v_lshrrev_b32_e32 v12, s2, v10
	s_delay_alu instid0(VALU_DEP_1) | instskip(NEXT) | instid1(VALU_DEP_1)
	v_mul_lo_u32 v10, v12, s0
	v_sub_nc_u32_e32 v1, v1, v10
	s_delay_alu instid0(VALU_DEP_1)
	v_mul_lo_u32 v11, v1, s5
	v_mul_lo_u32 v10, v1, s4
	s_cbranch_scc1 .LBB21_86
; %bb.85:
	s_clause 0x1
	s_load_b96 s[0:2], s[12:13], 0x10
	s_load_b64 s[4:5], s[12:13], 0xcc
	s_wait_kmcnt 0x0
	v_mul_hi_u32 v1, s1, v12
	s_delay_alu instid0(VALU_DEP_1) | instskip(NEXT) | instid1(VALU_DEP_1)
	v_add_nc_u32_e32 v1, v12, v1
	v_lshrrev_b32_e32 v1, s2, v1
	s_delay_alu instid0(VALU_DEP_1) | instskip(NEXT) | instid1(VALU_DEP_1)
	v_mul_lo_u32 v1, v1, s0
	v_sub_nc_u32_e32 v1, v12, v1
	s_delay_alu instid0(VALU_DEP_1)
	v_mad_u32 v10, v1, s4, v10
	v_mad_u32 v11, v1, s5, v11
.LBB21_86:
	v_cmp_ne_u32_e32 vcc_lo, 1, v14
	v_add_nc_u32_e32 v1, 0x280, v0
	s_cbranch_vccnz .LBB21_92
; %bb.87:
	s_cmp_lg_u32 s28, 0
	s_mov_b32 s6, 0
	s_cbranch_scc0 .LBB21_93
; %bb.88:
	s_min_u32 s1, s29, 15
	s_delay_alu instid0(SALU_CYCLE_1)
	s_add_co_i32 s1, s1, 1
	s_cmp_eq_u32 s29, 2
	s_cbranch_scc1 .LBB21_94
; %bb.89:
	v_dual_mov_b32 v12, 0 :: v_dual_mov_b32 v13, 0
	v_mov_b32_e32 v15, v1
	s_and_b32 s0, s1, 28
	s_add_nc_u64 s[2:3], s[12:13], 0xc4
	s_mov_b32 s7, 0
	s_mov_b64 s[4:5], s[12:13]
.LBB21_90:                              ; =>This Inner Loop Header: Depth=1
	s_clause 0x1
	s_load_b256 s[16:23], s[4:5], 0x4
	s_load_b128 s[8:11], s[4:5], 0x24
	s_load_b256 s[36:43], s[2:3], 0x0
	s_add_co_i32 s7, s7, 4
	s_wait_xcnt 0x0
	s_add_nc_u64 s[4:5], s[4:5], 48
	s_cmp_lg_u32 s0, s7
	s_add_nc_u64 s[2:3], s[2:3], 32
	s_wait_kmcnt 0x0
	v_mul_hi_u32 v17, s17, v15
	s_delay_alu instid0(VALU_DEP_1) | instskip(NEXT) | instid1(VALU_DEP_1)
	v_add_nc_u32_e32 v17, v15, v17
	v_lshrrev_b32_e32 v17, s18, v17
	s_delay_alu instid0(VALU_DEP_1) | instskip(NEXT) | instid1(VALU_DEP_1)
	v_mul_hi_u32 v18, s20, v17
	v_add_nc_u32_e32 v18, v17, v18
	s_delay_alu instid0(VALU_DEP_1) | instskip(NEXT) | instid1(VALU_DEP_1)
	v_lshrrev_b32_e32 v18, s21, v18
	v_mul_hi_u32 v19, s23, v18
	s_delay_alu instid0(VALU_DEP_1) | instskip(SKIP_1) | instid1(VALU_DEP_1)
	v_add_nc_u32_e32 v19, v18, v19
	v_mul_lo_u32 v20, v17, s16
	v_sub_nc_u32_e32 v15, v15, v20
	v_mul_lo_u32 v20, v18, s19
	s_delay_alu instid0(VALU_DEP_4) | instskip(NEXT) | instid1(VALU_DEP_3)
	v_lshrrev_b32_e32 v19, s8, v19
	v_mad_u32 v13, v15, s37, v13
	v_mad_u32 v12, v15, s36, v12
	s_delay_alu instid0(VALU_DEP_4) | instskip(NEXT) | instid1(VALU_DEP_4)
	v_sub_nc_u32_e32 v15, v17, v20
	v_mul_hi_u32 v21, s10, v19
	v_mul_lo_u32 v17, v19, s22
	s_delay_alu instid0(VALU_DEP_3) | instskip(SKIP_1) | instid1(VALU_DEP_4)
	v_mad_u32 v13, v15, s39, v13
	v_mad_u32 v12, v15, s38, v12
	v_add_nc_u32_e32 v20, v19, v21
	s_delay_alu instid0(VALU_DEP_1) | instskip(NEXT) | instid1(VALU_DEP_1)
	v_dual_sub_nc_u32 v17, v18, v17 :: v_dual_lshrrev_b32 v15, s11, v20
	v_mad_u32 v13, v17, s41, v13
	s_delay_alu instid0(VALU_DEP_4) | instskip(NEXT) | instid1(VALU_DEP_3)
	v_mad_u32 v12, v17, s40, v12
	v_mul_lo_u32 v18, v15, s9
	s_delay_alu instid0(VALU_DEP_1) | instskip(NEXT) | instid1(VALU_DEP_1)
	v_sub_nc_u32_e32 v17, v19, v18
	v_mad_u32 v13, v17, s43, v13
	s_delay_alu instid0(VALU_DEP_4)
	v_mad_u32 v12, v17, s42, v12
	s_cbranch_scc1 .LBB21_90
; %bb.91:
	s_and_b32 s4, s1, 3
	s_mov_b32 s1, 0
	s_cmp_eq_u32 s4, 0
	s_cbranch_scc0 .LBB21_95
	s_branch .LBB21_97
.LBB21_92:
	s_mov_b32 s6, -1
                                        ; implicit-def: $vgpr13
	s_branch .LBB21_97
.LBB21_93:
	v_dual_mov_b32 v13, 0 :: v_dual_mov_b32 v12, 0
	s_branch .LBB21_97
.LBB21_94:
	v_mov_b64_e32 v[12:13], 0
	v_mov_b32_e32 v15, v1
	s_mov_b32 s0, 0
	s_and_b32 s4, s1, 3
	s_mov_b32 s1, 0
	s_cmp_eq_u32 s4, 0
	s_cbranch_scc1 .LBB21_97
.LBB21_95:
	s_lshl_b32 s2, s0, 3
	s_mov_b32 s3, s1
	s_mul_u64 s[8:9], s[0:1], 12
	s_add_nc_u64 s[2:3], s[12:13], s[2:3]
	s_delay_alu instid0(SALU_CYCLE_1)
	s_add_nc_u64 s[0:1], s[2:3], 0xc4
	s_add_nc_u64 s[2:3], s[12:13], s[8:9]
.LBB21_96:                              ; =>This Inner Loop Header: Depth=1
	s_load_b96 s[8:10], s[2:3], 0x4
	s_add_co_i32 s4, s4, -1
	s_wait_xcnt 0x0
	s_add_nc_u64 s[2:3], s[2:3], 12
	s_cmp_lg_u32 s4, 0
	s_wait_kmcnt 0x0
	v_mul_hi_u32 v17, s9, v15
	s_delay_alu instid0(VALU_DEP_1) | instskip(NEXT) | instid1(VALU_DEP_1)
	v_add_nc_u32_e32 v17, v15, v17
	v_lshrrev_b32_e32 v17, s10, v17
	s_load_b64 s[10:11], s[0:1], 0x0
	s_wait_xcnt 0x0
	s_add_nc_u64 s[0:1], s[0:1], 8
	s_delay_alu instid0(VALU_DEP_1) | instskip(NEXT) | instid1(VALU_DEP_1)
	v_mul_lo_u32 v18, v17, s8
	v_sub_nc_u32_e32 v15, v15, v18
	s_wait_kmcnt 0x0
	s_delay_alu instid0(VALU_DEP_1)
	v_mad_u32 v13, v15, s11, v13
	v_mad_u32 v12, v15, s10, v12
	v_mov_b32_e32 v15, v17
	s_cbranch_scc1 .LBB21_96
.LBB21_97:
	s_and_not1_b32 vcc_lo, exec_lo, s6
	s_cbranch_vccnz .LBB21_100
; %bb.98:
	s_clause 0x1
	s_load_b96 s[0:2], s[12:13], 0x4
	s_load_b64 s[4:5], s[12:13], 0xc4
	s_cmp_lt_u32 s28, 2
	s_wait_kmcnt 0x0
	v_mul_hi_u32 v12, s1, v1
	s_delay_alu instid0(VALU_DEP_1) | instskip(NEXT) | instid1(VALU_DEP_1)
	v_add_nc_u32_e32 v12, v1, v12
	v_lshrrev_b32_e32 v15, s2, v12
	s_delay_alu instid0(VALU_DEP_1) | instskip(NEXT) | instid1(VALU_DEP_1)
	v_mul_lo_u32 v12, v15, s0
	v_sub_nc_u32_e32 v1, v1, v12
	s_delay_alu instid0(VALU_DEP_1)
	v_mul_lo_u32 v13, v1, s5
	v_mul_lo_u32 v12, v1, s4
	s_cbranch_scc1 .LBB21_100
; %bb.99:
	s_clause 0x1
	s_load_b96 s[0:2], s[12:13], 0x10
	s_load_b64 s[4:5], s[12:13], 0xcc
	s_wait_kmcnt 0x0
	v_mul_hi_u32 v1, s1, v15
	s_delay_alu instid0(VALU_DEP_1) | instskip(NEXT) | instid1(VALU_DEP_1)
	v_add_nc_u32_e32 v1, v15, v1
	v_lshrrev_b32_e32 v1, s2, v1
	s_delay_alu instid0(VALU_DEP_1) | instskip(NEXT) | instid1(VALU_DEP_1)
	v_mul_lo_u32 v1, v1, s0
	v_sub_nc_u32_e32 v1, v15, v1
	s_delay_alu instid0(VALU_DEP_1)
	v_mad_u32 v12, v1, s4, v12
	v_mad_u32 v13, v1, s5, v13
.LBB21_100:
	v_cmp_ne_u32_e32 vcc_lo, 1, v14
	v_add_nc_u32_e32 v15, 0x300, v0
	s_cbranch_vccnz .LBB21_106
; %bb.101:
	s_cmp_lg_u32 s28, 0
	s_mov_b32 s6, 0
	s_cbranch_scc0 .LBB21_107
; %bb.102:
	s_min_u32 s1, s29, 15
	s_delay_alu instid0(SALU_CYCLE_1)
	s_add_co_i32 s1, s1, 1
	s_cmp_eq_u32 s29, 2
	s_cbranch_scc1 .LBB21_108
; %bb.103:
	v_dual_mov_b32 v0, 0 :: v_dual_mov_b32 v1, 0
	v_mov_b32_e32 v17, v15
	s_and_b32 s0, s1, 28
	s_add_nc_u64 s[2:3], s[12:13], 0xc4
	s_mov_b32 s7, 0
	s_mov_b64 s[4:5], s[12:13]
.LBB21_104:                             ; =>This Inner Loop Header: Depth=1
	s_clause 0x1
	s_load_b256 s[16:23], s[4:5], 0x4
	s_load_b128 s[8:11], s[4:5], 0x24
	s_load_b256 s[36:43], s[2:3], 0x0
	s_add_co_i32 s7, s7, 4
	s_wait_xcnt 0x0
	s_add_nc_u64 s[4:5], s[4:5], 48
	s_cmp_lg_u32 s0, s7
	s_add_nc_u64 s[2:3], s[2:3], 32
	s_wait_kmcnt 0x0
	v_mul_hi_u32 v18, s17, v17
	s_delay_alu instid0(VALU_DEP_1) | instskip(NEXT) | instid1(VALU_DEP_1)
	v_add_nc_u32_e32 v18, v17, v18
	v_lshrrev_b32_e32 v18, s18, v18
	s_delay_alu instid0(VALU_DEP_1) | instskip(NEXT) | instid1(VALU_DEP_1)
	v_mul_hi_u32 v19, s20, v18
	v_add_nc_u32_e32 v19, v18, v19
	s_delay_alu instid0(VALU_DEP_1) | instskip(NEXT) | instid1(VALU_DEP_1)
	v_lshrrev_b32_e32 v19, s21, v19
	v_mul_hi_u32 v20, s23, v19
	s_delay_alu instid0(VALU_DEP_1) | instskip(SKIP_1) | instid1(VALU_DEP_1)
	v_add_nc_u32_e32 v20, v19, v20
	v_mul_lo_u32 v21, v18, s16
	v_sub_nc_u32_e32 v17, v17, v21
	v_mul_lo_u32 v21, v19, s19
	s_delay_alu instid0(VALU_DEP_4) | instskip(NEXT) | instid1(VALU_DEP_3)
	v_lshrrev_b32_e32 v20, s8, v20
	v_mad_u32 v1, v17, s37, v1
	v_mad_u32 v0, v17, s36, v0
	s_delay_alu instid0(VALU_DEP_4) | instskip(NEXT) | instid1(VALU_DEP_4)
	v_sub_nc_u32_e32 v17, v18, v21
	v_mul_hi_u32 v22, s10, v20
	v_mul_lo_u32 v18, v20, s22
	s_delay_alu instid0(VALU_DEP_3) | instskip(SKIP_1) | instid1(VALU_DEP_4)
	v_mad_u32 v1, v17, s39, v1
	v_mad_u32 v0, v17, s38, v0
	v_add_nc_u32_e32 v21, v20, v22
	s_delay_alu instid0(VALU_DEP_1) | instskip(NEXT) | instid1(VALU_DEP_1)
	v_dual_sub_nc_u32 v18, v19, v18 :: v_dual_lshrrev_b32 v17, s11, v21
	v_mad_u32 v1, v18, s41, v1
	s_delay_alu instid0(VALU_DEP_4) | instskip(NEXT) | instid1(VALU_DEP_3)
	v_mad_u32 v0, v18, s40, v0
	v_mul_lo_u32 v19, v17, s9
	s_delay_alu instid0(VALU_DEP_1) | instskip(NEXT) | instid1(VALU_DEP_1)
	v_sub_nc_u32_e32 v18, v20, v19
	v_mad_u32 v1, v18, s43, v1
	s_delay_alu instid0(VALU_DEP_4)
	v_mad_u32 v0, v18, s42, v0
	s_cbranch_scc1 .LBB21_104
; %bb.105:
	s_and_b32 s4, s1, 3
	s_mov_b32 s1, 0
	s_cmp_eq_u32 s4, 0
	s_cbranch_scc0 .LBB21_109
	s_branch .LBB21_111
.LBB21_106:
	s_mov_b32 s6, -1
                                        ; implicit-def: $vgpr1
	s_branch .LBB21_111
.LBB21_107:
	v_dual_mov_b32 v1, 0 :: v_dual_mov_b32 v0, 0
	s_branch .LBB21_111
.LBB21_108:
	v_mov_b64_e32 v[0:1], 0
	v_mov_b32_e32 v17, v15
	s_mov_b32 s0, 0
	s_and_b32 s4, s1, 3
	s_mov_b32 s1, 0
	s_cmp_eq_u32 s4, 0
	s_cbranch_scc1 .LBB21_111
.LBB21_109:
	s_lshl_b32 s2, s0, 3
	s_mov_b32 s3, s1
	s_mul_u64 s[8:9], s[0:1], 12
	s_add_nc_u64 s[2:3], s[12:13], s[2:3]
	s_delay_alu instid0(SALU_CYCLE_1)
	s_add_nc_u64 s[0:1], s[2:3], 0xc4
	s_add_nc_u64 s[2:3], s[12:13], s[8:9]
.LBB21_110:                             ; =>This Inner Loop Header: Depth=1
	s_load_b96 s[8:10], s[2:3], 0x4
	s_add_co_i32 s4, s4, -1
	s_wait_xcnt 0x0
	s_add_nc_u64 s[2:3], s[2:3], 12
	s_cmp_lg_u32 s4, 0
	s_wait_kmcnt 0x0
	v_mul_hi_u32 v18, s9, v17
	s_delay_alu instid0(VALU_DEP_1) | instskip(NEXT) | instid1(VALU_DEP_1)
	v_add_nc_u32_e32 v18, v17, v18
	v_lshrrev_b32_e32 v18, s10, v18
	s_load_b64 s[10:11], s[0:1], 0x0
	s_wait_xcnt 0x0
	s_add_nc_u64 s[0:1], s[0:1], 8
	s_delay_alu instid0(VALU_DEP_1) | instskip(NEXT) | instid1(VALU_DEP_1)
	v_mul_lo_u32 v19, v18, s8
	v_sub_nc_u32_e32 v17, v17, v19
	s_wait_kmcnt 0x0
	s_delay_alu instid0(VALU_DEP_1)
	v_mad_u32 v1, v17, s11, v1
	v_mad_u32 v0, v17, s10, v0
	v_mov_b32_e32 v17, v18
	s_cbranch_scc1 .LBB21_110
.LBB21_111:
	s_and_not1_b32 vcc_lo, exec_lo, s6
	s_cbranch_vccnz .LBB21_114
; %bb.112:
	s_clause 0x1
	s_load_b96 s[0:2], s[12:13], 0x4
	s_load_b64 s[4:5], s[12:13], 0xc4
	s_cmp_lt_u32 s28, 2
	s_wait_kmcnt 0x0
	v_mul_hi_u32 v0, s1, v15
	s_delay_alu instid0(VALU_DEP_1) | instskip(NEXT) | instid1(VALU_DEP_1)
	v_add_nc_u32_e32 v0, v15, v0
	v_lshrrev_b32_e32 v17, s2, v0
	s_delay_alu instid0(VALU_DEP_1) | instskip(NEXT) | instid1(VALU_DEP_1)
	v_mul_lo_u32 v0, v17, s0
	v_sub_nc_u32_e32 v0, v15, v0
	s_delay_alu instid0(VALU_DEP_1)
	v_mul_lo_u32 v1, v0, s5
	v_mul_lo_u32 v0, v0, s4
	s_cbranch_scc1 .LBB21_114
; %bb.113:
	s_clause 0x1
	s_load_b96 s[0:2], s[12:13], 0x10
	s_load_b64 s[4:5], s[12:13], 0xcc
	s_wait_kmcnt 0x0
	v_mul_hi_u32 v15, s1, v17
	s_delay_alu instid0(VALU_DEP_1) | instskip(NEXT) | instid1(VALU_DEP_1)
	v_add_nc_u32_e32 v15, v17, v15
	v_lshrrev_b32_e32 v15, s2, v15
	s_delay_alu instid0(VALU_DEP_1) | instskip(NEXT) | instid1(VALU_DEP_1)
	v_mul_lo_u32 v15, v15, s0
	v_sub_nc_u32_e32 v15, v17, v15
	s_delay_alu instid0(VALU_DEP_1)
	v_mad_u32 v0, v15, s4, v0
	v_mad_u32 v1, v15, s5, v1
.LBB21_114:
	v_cmp_ne_u32_e32 vcc_lo, 1, v14
	s_cbranch_vccnz .LBB21_120
; %bb.115:
	s_cmp_lg_u32 s28, 0
	s_mov_b32 s6, 0
	s_cbranch_scc0 .LBB21_121
; %bb.116:
	s_min_u32 s1, s29, 15
	s_delay_alu instid0(SALU_CYCLE_1)
	s_add_co_i32 s1, s1, 1
	s_cmp_eq_u32 s29, 2
	s_cbranch_scc1 .LBB21_122
; %bb.117:
	v_dual_mov_b32 v14, 0 :: v_dual_mov_b32 v15, 0
	v_mov_b32_e32 v17, v16
	s_and_b32 s0, s1, 28
	s_add_nc_u64 s[2:3], s[12:13], 0xc4
	s_mov_b32 s7, 0
	s_mov_b64 s[4:5], s[12:13]
.LBB21_118:                             ; =>This Inner Loop Header: Depth=1
	s_clause 0x1
	s_load_b256 s[16:23], s[4:5], 0x4
	s_load_b128 s[8:11], s[4:5], 0x24
	s_load_b256 s[36:43], s[2:3], 0x0
	s_add_co_i32 s7, s7, 4
	s_wait_xcnt 0x0
	s_add_nc_u64 s[4:5], s[4:5], 48
	s_cmp_lg_u32 s0, s7
	s_add_nc_u64 s[2:3], s[2:3], 32
	s_wait_kmcnt 0x0
	v_mul_hi_u32 v18, s17, v17
	s_delay_alu instid0(VALU_DEP_1) | instskip(NEXT) | instid1(VALU_DEP_1)
	v_add_nc_u32_e32 v18, v17, v18
	v_lshrrev_b32_e32 v18, s18, v18
	s_delay_alu instid0(VALU_DEP_1) | instskip(NEXT) | instid1(VALU_DEP_1)
	v_mul_hi_u32 v19, s20, v18
	v_add_nc_u32_e32 v19, v18, v19
	s_delay_alu instid0(VALU_DEP_1) | instskip(NEXT) | instid1(VALU_DEP_1)
	v_lshrrev_b32_e32 v19, s21, v19
	v_mul_hi_u32 v20, s23, v19
	s_delay_alu instid0(VALU_DEP_1) | instskip(SKIP_1) | instid1(VALU_DEP_1)
	v_add_nc_u32_e32 v20, v19, v20
	v_mul_lo_u32 v21, v18, s16
	v_sub_nc_u32_e32 v17, v17, v21
	v_mul_lo_u32 v21, v19, s19
	s_delay_alu instid0(VALU_DEP_4) | instskip(NEXT) | instid1(VALU_DEP_3)
	v_lshrrev_b32_e32 v20, s8, v20
	v_mad_u32 v15, v17, s37, v15
	v_mad_u32 v14, v17, s36, v14
	s_delay_alu instid0(VALU_DEP_4) | instskip(NEXT) | instid1(VALU_DEP_4)
	v_sub_nc_u32_e32 v17, v18, v21
	v_mul_hi_u32 v22, s10, v20
	v_mul_lo_u32 v18, v20, s22
	s_delay_alu instid0(VALU_DEP_3) | instskip(SKIP_1) | instid1(VALU_DEP_4)
	v_mad_u32 v15, v17, s39, v15
	v_mad_u32 v14, v17, s38, v14
	v_add_nc_u32_e32 v21, v20, v22
	s_delay_alu instid0(VALU_DEP_1) | instskip(NEXT) | instid1(VALU_DEP_1)
	v_dual_sub_nc_u32 v18, v19, v18 :: v_dual_lshrrev_b32 v17, s11, v21
	v_mad_u32 v15, v18, s41, v15
	s_delay_alu instid0(VALU_DEP_4) | instskip(NEXT) | instid1(VALU_DEP_3)
	v_mad_u32 v14, v18, s40, v14
	v_mul_lo_u32 v19, v17, s9
	s_delay_alu instid0(VALU_DEP_1) | instskip(NEXT) | instid1(VALU_DEP_1)
	v_sub_nc_u32_e32 v18, v20, v19
	v_mad_u32 v15, v18, s43, v15
	s_delay_alu instid0(VALU_DEP_4)
	v_mad_u32 v14, v18, s42, v14
	s_cbranch_scc1 .LBB21_118
; %bb.119:
	s_and_b32 s4, s1, 3
	s_mov_b32 s1, 0
	s_cmp_eq_u32 s4, 0
	s_cbranch_scc0 .LBB21_123
	s_branch .LBB21_125
.LBB21_120:
	s_mov_b32 s6, -1
                                        ; implicit-def: $vgpr15
	s_branch .LBB21_125
.LBB21_121:
	v_dual_mov_b32 v15, 0 :: v_dual_mov_b32 v14, 0
	s_branch .LBB21_125
.LBB21_122:
	v_mov_b64_e32 v[14:15], 0
	v_mov_b32_e32 v17, v16
	s_mov_b32 s0, 0
	s_and_b32 s4, s1, 3
	s_mov_b32 s1, 0
	s_cmp_eq_u32 s4, 0
	s_cbranch_scc1 .LBB21_125
.LBB21_123:
	s_lshl_b32 s2, s0, 3
	s_mov_b32 s3, s1
	s_mul_u64 s[8:9], s[0:1], 12
	s_add_nc_u64 s[2:3], s[12:13], s[2:3]
	s_delay_alu instid0(SALU_CYCLE_1)
	s_add_nc_u64 s[0:1], s[2:3], 0xc4
	s_add_nc_u64 s[2:3], s[12:13], s[8:9]
.LBB21_124:                             ; =>This Inner Loop Header: Depth=1
	s_load_b96 s[8:10], s[2:3], 0x4
	s_add_co_i32 s4, s4, -1
	s_wait_xcnt 0x0
	s_add_nc_u64 s[2:3], s[2:3], 12
	s_cmp_lg_u32 s4, 0
	s_wait_kmcnt 0x0
	v_mul_hi_u32 v18, s9, v17
	s_delay_alu instid0(VALU_DEP_1) | instskip(NEXT) | instid1(VALU_DEP_1)
	v_add_nc_u32_e32 v18, v17, v18
	v_lshrrev_b32_e32 v18, s10, v18
	s_load_b64 s[10:11], s[0:1], 0x0
	s_wait_xcnt 0x0
	s_add_nc_u64 s[0:1], s[0:1], 8
	s_delay_alu instid0(VALU_DEP_1) | instskip(NEXT) | instid1(VALU_DEP_1)
	v_mul_lo_u32 v19, v18, s8
	v_sub_nc_u32_e32 v17, v17, v19
	s_wait_kmcnt 0x0
	s_delay_alu instid0(VALU_DEP_1)
	v_mad_u32 v15, v17, s11, v15
	v_mad_u32 v14, v17, s10, v14
	v_mov_b32_e32 v17, v18
	s_cbranch_scc1 .LBB21_124
.LBB21_125:
	s_and_not1_b32 vcc_lo, exec_lo, s6
	s_cbranch_vccnz .LBB21_128
; %bb.126:
	s_clause 0x1
	s_load_b96 s[0:2], s[12:13], 0x4
	s_load_b64 s[4:5], s[12:13], 0xc4
	s_cmp_lt_u32 s28, 2
	s_wait_kmcnt 0x0
	v_mul_hi_u32 v14, s1, v16
	s_delay_alu instid0(VALU_DEP_1) | instskip(NEXT) | instid1(VALU_DEP_1)
	v_add_nc_u32_e32 v14, v16, v14
	v_lshrrev_b32_e32 v17, s2, v14
	s_delay_alu instid0(VALU_DEP_1) | instskip(NEXT) | instid1(VALU_DEP_1)
	v_mul_lo_u32 v14, v17, s0
	v_sub_nc_u32_e32 v14, v16, v14
	s_delay_alu instid0(VALU_DEP_1)
	v_mul_lo_u32 v15, v14, s5
	v_mul_lo_u32 v14, v14, s4
	s_cbranch_scc1 .LBB21_128
; %bb.127:
	s_clause 0x1
	s_load_b96 s[0:2], s[12:13], 0x10
	s_load_b64 s[4:5], s[12:13], 0xcc
	s_wait_kmcnt 0x0
	v_mul_hi_u32 v16, s1, v17
	s_delay_alu instid0(VALU_DEP_1) | instskip(NEXT) | instid1(VALU_DEP_1)
	v_add_nc_u32_e32 v16, v17, v16
	v_lshrrev_b32_e32 v16, s2, v16
	s_delay_alu instid0(VALU_DEP_1) | instskip(NEXT) | instid1(VALU_DEP_1)
	v_mul_lo_u32 v16, v16, s0
	v_sub_nc_u32_e32 v16, v17, v16
	s_delay_alu instid0(VALU_DEP_1)
	v_mad_u32 v14, v16, s4, v14
	v_mad_u32 v15, v16, s5, v15
.LBB21_128:
	s_clause 0x1
	s_load_b128 s[8:11], s[12:13], 0x148
	s_load_b32 s6, s[12:13], 0x158
	s_wait_kmcnt 0x0
	s_clause 0x7
	global_load_u16 v16, v3, s[10:11]
	global_load_u16 v17, v5, s[10:11]
	;; [unrolled: 1-line block ×8, first 2 shown]
	s_wait_loadcnt 0x7
	v_cmp_nge_f16_e64 s7, v16, -s6
	v_cmp_nge_f16_e32 vcc_lo, s6, v16
	s_wait_loadcnt 0x6
	s_wait_xcnt 0x0
	v_cmp_nge_f16_e64 s10, v17, -s6
	v_cmp_nge_f16_e64 s0, s6, v17
	s_wait_loadcnt 0x5
	v_cmp_nge_f16_e64 s11, v18, -s6
	v_cmp_nge_f16_e64 s1, s6, v18
	s_or_b32 vcc_lo, s7, vcc_lo
	s_wait_loadcnt 0x4
	v_cmp_nge_f16_e64 s12, v19, -s6
	v_cmp_nge_f16_e64 s2, s6, v19
	v_cndmask_b32_e32 v1, 0, v16, vcc_lo
	s_or_b32 vcc_lo, s10, s0
	s_wait_loadcnt 0x3
	v_cmp_nge_f16_e64 s13, v20, -s6
	v_cmp_nge_f16_e64 s3, s6, v20
	v_cndmask_b32_e32 v3, 0, v17, vcc_lo
	s_or_b32 vcc_lo, s11, s1
	;; [unrolled: 5-line block ×5, first 2 shown]
	v_cndmask_b32_e32 v11, 0, v21, vcc_lo
	s_or_b32 vcc_lo, s15, s5
	v_cndmask_b32_e32 v13, 0, v22, vcc_lo
	s_or_b32 vcc_lo, s16, s6
	v_cndmask_b32_e32 v15, 0, v23, vcc_lo
	s_clause 0x7
	global_store_b16 v2, v1, s[8:9]
	global_store_b16 v4, v3, s[8:9]
	;; [unrolled: 1-line block ×8, first 2 shown]
	s_endpgm
.LBB21_129:
	v_dual_mov_b32 v3, 0 :: v_dual_mov_b32 v2, 0
	s_branch .LBB21_135
.LBB21_130:
	v_dual_mov_b32 v3, 0 :: v_dual_mov_b32 v2, 0
	s_branch .LBB21_151
.LBB21_131:
	v_mov_b64_e32 v[2:3], 0
	v_mov_b32_e32 v1, v0
	s_mov_b32 s22, 0
.LBB21_132:
	s_and_b32 s14, s14, 3
	s_mov_b32 s23, 0
	s_cmp_eq_u32 s14, 0
	s_cbranch_scc1 .LBB21_135
; %bb.133:
	s_lshl_b32 s24, s22, 3
	s_mov_b32 s25, s23
	s_mul_u64 s[26:27], s[22:23], 12
	s_add_nc_u64 s[24:25], s[12:13], s[24:25]
	s_delay_alu instid0(SALU_CYCLE_1)
	s_add_nc_u64 s[22:23], s[24:25], 0xc4
	s_add_nc_u64 s[24:25], s[12:13], s[26:27]
.LBB21_134:                             ; =>This Inner Loop Header: Depth=1
	s_load_b96 s[40:42], s[24:25], 0x4
	s_load_b64 s[26:27], s[22:23], 0x0
	s_add_co_i32 s14, s14, -1
	s_wait_xcnt 0x0
	s_add_nc_u64 s[24:25], s[24:25], 12
	s_cmp_lg_u32 s14, 0
	s_add_nc_u64 s[22:23], s[22:23], 8
	s_wait_kmcnt 0x0
	v_mul_hi_u32 v4, s41, v1
	s_delay_alu instid0(VALU_DEP_1) | instskip(NEXT) | instid1(VALU_DEP_1)
	v_add_nc_u32_e32 v4, v1, v4
	v_lshrrev_b32_e32 v4, s42, v4
	s_delay_alu instid0(VALU_DEP_1) | instskip(NEXT) | instid1(VALU_DEP_1)
	v_mul_lo_u32 v5, v4, s40
	v_sub_nc_u32_e32 v1, v1, v5
	s_delay_alu instid0(VALU_DEP_1)
	v_mad_u32 v3, v1, s27, v3
	v_mad_u32 v2, v1, s26, v2
	v_mov_b32_e32 v1, v4
	s_cbranch_scc1 .LBB21_134
.LBB21_135:
	s_cbranch_execnz .LBB21_138
.LBB21_136:
	v_mov_b32_e32 v1, 0
	s_and_not1_b32 vcc_lo, exec_lo, s34
	s_delay_alu instid0(VALU_DEP_1) | instskip(NEXT) | instid1(VALU_DEP_1)
	v_mul_u64_e32 v[2:3], s[16:17], v[0:1]
	v_add_nc_u32_e32 v2, v0, v3
	s_delay_alu instid0(VALU_DEP_1) | instskip(NEXT) | instid1(VALU_DEP_1)
	v_lshrrev_b32_e32 v4, s6, v2
	v_mul_lo_u32 v2, v4, s4
	s_delay_alu instid0(VALU_DEP_1) | instskip(NEXT) | instid1(VALU_DEP_1)
	v_sub_nc_u32_e32 v2, v0, v2
	v_mul_lo_u32 v3, v2, s9
	v_mul_lo_u32 v2, v2, s8
	s_cbranch_vccnz .LBB21_138
; %bb.137:
	v_mov_b32_e32 v5, v1
	s_delay_alu instid0(VALU_DEP_1) | instskip(NEXT) | instid1(VALU_DEP_1)
	v_mul_u64_e32 v[6:7], s[18:19], v[4:5]
	v_add_nc_u32_e32 v1, v4, v7
	s_delay_alu instid0(VALU_DEP_1) | instskip(NEXT) | instid1(VALU_DEP_1)
	v_lshrrev_b32_e32 v1, s15, v1
	v_mul_lo_u32 v1, v1, s7
	s_delay_alu instid0(VALU_DEP_1) | instskip(NEXT) | instid1(VALU_DEP_1)
	v_sub_nc_u32_e32 v1, v4, v1
	v_mad_u32 v2, v1, s10, v2
	v_mad_u32 v3, v1, s11, v3
.LBB21_138:
	global_load_u16 v1, v3, s[2:3]
	v_add_nc_u32_e32 v0, 0x80, v0
	s_wait_loadcnt 0x0
	v_cmp_nge_f16_e64 s14, v1, -s33
	v_cmp_nge_f16_e32 vcc_lo, s33, v1
	s_or_b32 vcc_lo, s14, vcc_lo
	v_cndmask_b32_e32 v1, 0, v1, vcc_lo
	global_store_b16 v2, v1, s[0:1]
	s_wait_xcnt 0x0
	s_or_b32 exec_lo, exec_lo, s5
	s_delay_alu instid0(SALU_CYCLE_1)
	s_mov_b32 s5, exec_lo
	v_cmpx_gt_i32_e64 s35, v0
	s_cbranch_execnz .LBB21_15
.LBB21_139:
	s_or_b32 exec_lo, exec_lo, s5
	s_delay_alu instid0(SALU_CYCLE_1)
	s_mov_b32 s5, exec_lo
	v_cmpx_gt_i32_e64 s35, v0
	s_cbranch_execz .LBB21_155
.LBB21_140:
	s_and_not1_b32 vcc_lo, exec_lo, s30
	s_cbranch_vccnz .LBB21_145
; %bb.141:
	s_and_not1_b32 vcc_lo, exec_lo, s37
	s_cbranch_vccnz .LBB21_146
; %bb.142:
	s_add_co_i32 s14, s36, 1
	s_cmp_eq_u32 s29, 2
	s_cbranch_scc1 .LBB21_163
; %bb.143:
	v_dual_mov_b32 v2, 0 :: v_dual_mov_b32 v3, 0
	v_mov_b32_e32 v1, v0
	s_and_b32 s22, s14, 28
	s_mov_b32 s23, 0
	s_mov_b64 s[24:25], s[12:13]
	s_mov_b64 s[26:27], s[20:21]
.LBB21_144:                             ; =>This Inner Loop Header: Depth=1
	s_clause 0x1
	s_load_b256 s[40:47], s[24:25], 0x4
	s_load_b128 s[56:59], s[24:25], 0x24
	s_load_b256 s[48:55], s[26:27], 0x0
	s_add_co_i32 s23, s23, 4
	s_wait_xcnt 0x0
	s_add_nc_u64 s[24:25], s[24:25], 48
	s_cmp_eq_u32 s22, s23
	s_add_nc_u64 s[26:27], s[26:27], 32
	s_wait_kmcnt 0x0
	v_mul_hi_u32 v4, s41, v1
	s_delay_alu instid0(VALU_DEP_1) | instskip(NEXT) | instid1(VALU_DEP_1)
	v_add_nc_u32_e32 v4, v1, v4
	v_lshrrev_b32_e32 v4, s42, v4
	s_delay_alu instid0(VALU_DEP_1) | instskip(NEXT) | instid1(VALU_DEP_1)
	v_mul_hi_u32 v5, s44, v4
	v_add_nc_u32_e32 v5, v4, v5
	s_delay_alu instid0(VALU_DEP_1) | instskip(NEXT) | instid1(VALU_DEP_1)
	v_lshrrev_b32_e32 v5, s45, v5
	v_mul_hi_u32 v6, s47, v5
	s_delay_alu instid0(VALU_DEP_1) | instskip(SKIP_1) | instid1(VALU_DEP_1)
	v_add_nc_u32_e32 v6, v5, v6
	v_mul_lo_u32 v7, v4, s40
	v_sub_nc_u32_e32 v1, v1, v7
	v_mul_lo_u32 v7, v5, s43
	s_delay_alu instid0(VALU_DEP_4) | instskip(NEXT) | instid1(VALU_DEP_3)
	v_lshrrev_b32_e32 v6, s56, v6
	v_mad_u32 v3, v1, s49, v3
	v_mad_u32 v1, v1, s48, v2
	s_delay_alu instid0(VALU_DEP_4) | instskip(NEXT) | instid1(VALU_DEP_4)
	v_sub_nc_u32_e32 v2, v4, v7
	v_mul_hi_u32 v8, s58, v6
	v_mul_lo_u32 v4, v6, s46
	s_delay_alu instid0(VALU_DEP_3) | instskip(SKIP_1) | instid1(VALU_DEP_4)
	v_mad_u32 v3, v2, s51, v3
	v_mad_u32 v2, v2, s50, v1
	v_add_nc_u32_e32 v7, v6, v8
	s_delay_alu instid0(VALU_DEP_1) | instskip(NEXT) | instid1(VALU_DEP_1)
	v_dual_sub_nc_u32 v4, v5, v4 :: v_dual_lshrrev_b32 v1, s59, v7
	v_mad_u32 v3, v4, s53, v3
	s_delay_alu instid0(VALU_DEP_4) | instskip(NEXT) | instid1(VALU_DEP_3)
	v_mad_u32 v2, v4, s52, v2
	v_mul_lo_u32 v5, v1, s57
	s_delay_alu instid0(VALU_DEP_1) | instskip(NEXT) | instid1(VALU_DEP_1)
	v_sub_nc_u32_e32 v4, v6, v5
	v_mad_u32 v3, v4, s55, v3
	s_delay_alu instid0(VALU_DEP_4)
	v_mad_u32 v2, v4, s54, v2
	s_cbranch_scc0 .LBB21_144
	s_branch .LBB21_164
.LBB21_145:
                                        ; implicit-def: $vgpr3
	s_branch .LBB21_168
.LBB21_146:
	v_dual_mov_b32 v3, 0 :: v_dual_mov_b32 v2, 0
	s_branch .LBB21_167
.LBB21_147:
	v_mov_b64_e32 v[2:3], 0
	v_mov_b32_e32 v1, v0
	s_mov_b32 s22, 0
.LBB21_148:
	s_and_b32 s14, s14, 3
	s_mov_b32 s23, 0
	s_cmp_eq_u32 s14, 0
	s_cbranch_scc1 .LBB21_151
; %bb.149:
	s_lshl_b32 s24, s22, 3
	s_mov_b32 s25, s23
	s_mul_u64 s[26:27], s[22:23], 12
	s_add_nc_u64 s[24:25], s[12:13], s[24:25]
	s_delay_alu instid0(SALU_CYCLE_1)
	s_add_nc_u64 s[22:23], s[24:25], 0xc4
	s_add_nc_u64 s[24:25], s[12:13], s[26:27]
.LBB21_150:                             ; =>This Inner Loop Header: Depth=1
	s_load_b96 s[40:42], s[24:25], 0x4
	s_load_b64 s[26:27], s[22:23], 0x0
	s_add_co_i32 s14, s14, -1
	s_wait_xcnt 0x0
	s_add_nc_u64 s[24:25], s[24:25], 12
	s_cmp_lg_u32 s14, 0
	s_add_nc_u64 s[22:23], s[22:23], 8
	s_wait_kmcnt 0x0
	v_mul_hi_u32 v4, s41, v1
	s_delay_alu instid0(VALU_DEP_1) | instskip(NEXT) | instid1(VALU_DEP_1)
	v_add_nc_u32_e32 v4, v1, v4
	v_lshrrev_b32_e32 v4, s42, v4
	s_delay_alu instid0(VALU_DEP_1) | instskip(NEXT) | instid1(VALU_DEP_1)
	v_mul_lo_u32 v5, v4, s40
	v_sub_nc_u32_e32 v1, v1, v5
	s_delay_alu instid0(VALU_DEP_1)
	v_mad_u32 v3, v1, s27, v3
	v_mad_u32 v2, v1, s26, v2
	v_mov_b32_e32 v1, v4
	s_cbranch_scc1 .LBB21_150
.LBB21_151:
	s_cbranch_execnz .LBB21_154
.LBB21_152:
	v_mov_b32_e32 v1, 0
	s_and_not1_b32 vcc_lo, exec_lo, s34
	s_delay_alu instid0(VALU_DEP_1) | instskip(NEXT) | instid1(VALU_DEP_1)
	v_mul_u64_e32 v[2:3], s[16:17], v[0:1]
	v_add_nc_u32_e32 v2, v0, v3
	s_delay_alu instid0(VALU_DEP_1) | instskip(NEXT) | instid1(VALU_DEP_1)
	v_lshrrev_b32_e32 v4, s6, v2
	v_mul_lo_u32 v2, v4, s4
	s_delay_alu instid0(VALU_DEP_1) | instskip(NEXT) | instid1(VALU_DEP_1)
	v_sub_nc_u32_e32 v2, v0, v2
	v_mul_lo_u32 v3, v2, s9
	v_mul_lo_u32 v2, v2, s8
	s_cbranch_vccnz .LBB21_154
; %bb.153:
	v_mov_b32_e32 v5, v1
	s_delay_alu instid0(VALU_DEP_1) | instskip(NEXT) | instid1(VALU_DEP_1)
	v_mul_u64_e32 v[6:7], s[18:19], v[4:5]
	v_add_nc_u32_e32 v1, v4, v7
	s_delay_alu instid0(VALU_DEP_1) | instskip(NEXT) | instid1(VALU_DEP_1)
	v_lshrrev_b32_e32 v1, s15, v1
	v_mul_lo_u32 v1, v1, s7
	s_delay_alu instid0(VALU_DEP_1) | instskip(NEXT) | instid1(VALU_DEP_1)
	v_sub_nc_u32_e32 v1, v4, v1
	v_mad_u32 v2, v1, s10, v2
	v_mad_u32 v3, v1, s11, v3
.LBB21_154:
	global_load_u16 v1, v3, s[2:3]
	v_add_nc_u32_e32 v0, 0x80, v0
	s_wait_loadcnt 0x0
	v_cmp_nge_f16_e64 s14, v1, -s33
	v_cmp_nge_f16_e32 vcc_lo, s33, v1
	s_or_b32 vcc_lo, s14, vcc_lo
	v_cndmask_b32_e32 v1, 0, v1, vcc_lo
	global_store_b16 v2, v1, s[0:1]
	s_wait_xcnt 0x0
	s_or_b32 exec_lo, exec_lo, s5
	s_delay_alu instid0(SALU_CYCLE_1)
	s_mov_b32 s5, exec_lo
	v_cmpx_gt_i32_e64 s35, v0
	s_cbranch_execnz .LBB21_140
.LBB21_155:
	s_or_b32 exec_lo, exec_lo, s5
	s_delay_alu instid0(SALU_CYCLE_1)
	s_mov_b32 s5, exec_lo
	v_cmpx_gt_i32_e64 s35, v0
	s_cbranch_execz .LBB21_171
.LBB21_156:
	s_and_not1_b32 vcc_lo, exec_lo, s30
	s_cbranch_vccnz .LBB21_161
; %bb.157:
	s_and_not1_b32 vcc_lo, exec_lo, s37
	s_cbranch_vccnz .LBB21_162
; %bb.158:
	s_add_co_i32 s14, s36, 1
	s_cmp_eq_u32 s29, 2
	s_cbranch_scc1 .LBB21_179
; %bb.159:
	v_dual_mov_b32 v2, 0 :: v_dual_mov_b32 v3, 0
	v_mov_b32_e32 v1, v0
	s_and_b32 s22, s14, 28
	s_mov_b32 s23, 0
	s_mov_b64 s[24:25], s[12:13]
	s_mov_b64 s[26:27], s[20:21]
.LBB21_160:                             ; =>This Inner Loop Header: Depth=1
	s_clause 0x1
	s_load_b256 s[40:47], s[24:25], 0x4
	s_load_b128 s[56:59], s[24:25], 0x24
	s_load_b256 s[48:55], s[26:27], 0x0
	s_add_co_i32 s23, s23, 4
	s_wait_xcnt 0x0
	s_add_nc_u64 s[24:25], s[24:25], 48
	s_cmp_eq_u32 s22, s23
	s_add_nc_u64 s[26:27], s[26:27], 32
	s_wait_kmcnt 0x0
	v_mul_hi_u32 v4, s41, v1
	s_delay_alu instid0(VALU_DEP_1) | instskip(NEXT) | instid1(VALU_DEP_1)
	v_add_nc_u32_e32 v4, v1, v4
	v_lshrrev_b32_e32 v4, s42, v4
	s_delay_alu instid0(VALU_DEP_1) | instskip(NEXT) | instid1(VALU_DEP_1)
	v_mul_hi_u32 v5, s44, v4
	v_add_nc_u32_e32 v5, v4, v5
	s_delay_alu instid0(VALU_DEP_1) | instskip(NEXT) | instid1(VALU_DEP_1)
	v_lshrrev_b32_e32 v5, s45, v5
	v_mul_hi_u32 v6, s47, v5
	s_delay_alu instid0(VALU_DEP_1) | instskip(SKIP_1) | instid1(VALU_DEP_1)
	v_add_nc_u32_e32 v6, v5, v6
	v_mul_lo_u32 v7, v4, s40
	v_sub_nc_u32_e32 v1, v1, v7
	v_mul_lo_u32 v7, v5, s43
	s_delay_alu instid0(VALU_DEP_4) | instskip(NEXT) | instid1(VALU_DEP_3)
	v_lshrrev_b32_e32 v6, s56, v6
	v_mad_u32 v3, v1, s49, v3
	v_mad_u32 v1, v1, s48, v2
	s_delay_alu instid0(VALU_DEP_4) | instskip(NEXT) | instid1(VALU_DEP_4)
	v_sub_nc_u32_e32 v2, v4, v7
	v_mul_hi_u32 v8, s58, v6
	v_mul_lo_u32 v4, v6, s46
	s_delay_alu instid0(VALU_DEP_3) | instskip(SKIP_1) | instid1(VALU_DEP_4)
	v_mad_u32 v3, v2, s51, v3
	v_mad_u32 v2, v2, s50, v1
	v_add_nc_u32_e32 v7, v6, v8
	s_delay_alu instid0(VALU_DEP_1) | instskip(NEXT) | instid1(VALU_DEP_1)
	v_dual_sub_nc_u32 v4, v5, v4 :: v_dual_lshrrev_b32 v1, s59, v7
	v_mad_u32 v3, v4, s53, v3
	s_delay_alu instid0(VALU_DEP_4) | instskip(NEXT) | instid1(VALU_DEP_3)
	v_mad_u32 v2, v4, s52, v2
	v_mul_lo_u32 v5, v1, s57
	s_delay_alu instid0(VALU_DEP_1) | instskip(NEXT) | instid1(VALU_DEP_1)
	v_sub_nc_u32_e32 v4, v6, v5
	v_mad_u32 v3, v4, s55, v3
	s_delay_alu instid0(VALU_DEP_4)
	v_mad_u32 v2, v4, s54, v2
	s_cbranch_scc0 .LBB21_160
	s_branch .LBB21_180
.LBB21_161:
                                        ; implicit-def: $vgpr3
	s_branch .LBB21_184
.LBB21_162:
	v_dual_mov_b32 v3, 0 :: v_dual_mov_b32 v2, 0
	s_branch .LBB21_183
.LBB21_163:
	v_mov_b64_e32 v[2:3], 0
	v_mov_b32_e32 v1, v0
	s_mov_b32 s22, 0
.LBB21_164:
	s_and_b32 s14, s14, 3
	s_mov_b32 s23, 0
	s_cmp_eq_u32 s14, 0
	s_cbranch_scc1 .LBB21_167
; %bb.165:
	s_lshl_b32 s24, s22, 3
	s_mov_b32 s25, s23
	s_mul_u64 s[26:27], s[22:23], 12
	s_add_nc_u64 s[24:25], s[12:13], s[24:25]
	s_delay_alu instid0(SALU_CYCLE_1)
	s_add_nc_u64 s[22:23], s[24:25], 0xc4
	s_add_nc_u64 s[24:25], s[12:13], s[26:27]
.LBB21_166:                             ; =>This Inner Loop Header: Depth=1
	s_load_b96 s[40:42], s[24:25], 0x4
	s_load_b64 s[26:27], s[22:23], 0x0
	s_add_co_i32 s14, s14, -1
	s_wait_xcnt 0x0
	s_add_nc_u64 s[24:25], s[24:25], 12
	s_cmp_lg_u32 s14, 0
	s_add_nc_u64 s[22:23], s[22:23], 8
	s_wait_kmcnt 0x0
	v_mul_hi_u32 v4, s41, v1
	s_delay_alu instid0(VALU_DEP_1) | instskip(NEXT) | instid1(VALU_DEP_1)
	v_add_nc_u32_e32 v4, v1, v4
	v_lshrrev_b32_e32 v4, s42, v4
	s_delay_alu instid0(VALU_DEP_1) | instskip(NEXT) | instid1(VALU_DEP_1)
	v_mul_lo_u32 v5, v4, s40
	v_sub_nc_u32_e32 v1, v1, v5
	s_delay_alu instid0(VALU_DEP_1)
	v_mad_u32 v3, v1, s27, v3
	v_mad_u32 v2, v1, s26, v2
	v_mov_b32_e32 v1, v4
	s_cbranch_scc1 .LBB21_166
.LBB21_167:
	s_cbranch_execnz .LBB21_170
.LBB21_168:
	v_mov_b32_e32 v1, 0
	s_and_not1_b32 vcc_lo, exec_lo, s34
	s_delay_alu instid0(VALU_DEP_1) | instskip(NEXT) | instid1(VALU_DEP_1)
	v_mul_u64_e32 v[2:3], s[16:17], v[0:1]
	v_add_nc_u32_e32 v2, v0, v3
	s_delay_alu instid0(VALU_DEP_1) | instskip(NEXT) | instid1(VALU_DEP_1)
	v_lshrrev_b32_e32 v4, s6, v2
	v_mul_lo_u32 v2, v4, s4
	s_delay_alu instid0(VALU_DEP_1) | instskip(NEXT) | instid1(VALU_DEP_1)
	v_sub_nc_u32_e32 v2, v0, v2
	v_mul_lo_u32 v3, v2, s9
	v_mul_lo_u32 v2, v2, s8
	s_cbranch_vccnz .LBB21_170
; %bb.169:
	v_mov_b32_e32 v5, v1
	s_delay_alu instid0(VALU_DEP_1) | instskip(NEXT) | instid1(VALU_DEP_1)
	v_mul_u64_e32 v[6:7], s[18:19], v[4:5]
	v_add_nc_u32_e32 v1, v4, v7
	s_delay_alu instid0(VALU_DEP_1) | instskip(NEXT) | instid1(VALU_DEP_1)
	v_lshrrev_b32_e32 v1, s15, v1
	v_mul_lo_u32 v1, v1, s7
	s_delay_alu instid0(VALU_DEP_1) | instskip(NEXT) | instid1(VALU_DEP_1)
	v_sub_nc_u32_e32 v1, v4, v1
	v_mad_u32 v2, v1, s10, v2
	v_mad_u32 v3, v1, s11, v3
.LBB21_170:
	global_load_u16 v1, v3, s[2:3]
	v_add_nc_u32_e32 v0, 0x80, v0
	s_wait_loadcnt 0x0
	v_cmp_nge_f16_e64 s14, v1, -s33
	v_cmp_nge_f16_e32 vcc_lo, s33, v1
	s_or_b32 vcc_lo, s14, vcc_lo
	v_cndmask_b32_e32 v1, 0, v1, vcc_lo
	global_store_b16 v2, v1, s[0:1]
	s_wait_xcnt 0x0
	s_or_b32 exec_lo, exec_lo, s5
	s_delay_alu instid0(SALU_CYCLE_1)
	s_mov_b32 s5, exec_lo
	v_cmpx_gt_i32_e64 s35, v0
	s_cbranch_execnz .LBB21_156
.LBB21_171:
	s_or_b32 exec_lo, exec_lo, s5
	s_delay_alu instid0(SALU_CYCLE_1)
	s_mov_b32 s5, exec_lo
	v_cmpx_gt_i32_e64 s35, v0
	s_cbranch_execz .LBB21_187
.LBB21_172:
	s_and_not1_b32 vcc_lo, exec_lo, s30
	s_cbranch_vccnz .LBB21_177
; %bb.173:
	s_and_not1_b32 vcc_lo, exec_lo, s37
	s_cbranch_vccnz .LBB21_178
; %bb.174:
	s_add_co_i32 s14, s36, 1
	s_cmp_eq_u32 s29, 2
	s_cbranch_scc1 .LBB21_195
; %bb.175:
	v_dual_mov_b32 v2, 0 :: v_dual_mov_b32 v3, 0
	v_mov_b32_e32 v1, v0
	s_and_b32 s22, s14, 28
	s_mov_b32 s23, 0
	s_mov_b64 s[24:25], s[12:13]
	s_mov_b64 s[26:27], s[20:21]
.LBB21_176:                             ; =>This Inner Loop Header: Depth=1
	s_clause 0x1
	s_load_b256 s[40:47], s[24:25], 0x4
	s_load_b128 s[56:59], s[24:25], 0x24
	s_load_b256 s[48:55], s[26:27], 0x0
	s_add_co_i32 s23, s23, 4
	s_wait_xcnt 0x0
	s_add_nc_u64 s[24:25], s[24:25], 48
	s_cmp_eq_u32 s22, s23
	s_add_nc_u64 s[26:27], s[26:27], 32
	s_wait_kmcnt 0x0
	v_mul_hi_u32 v4, s41, v1
	s_delay_alu instid0(VALU_DEP_1) | instskip(NEXT) | instid1(VALU_DEP_1)
	v_add_nc_u32_e32 v4, v1, v4
	v_lshrrev_b32_e32 v4, s42, v4
	s_delay_alu instid0(VALU_DEP_1) | instskip(NEXT) | instid1(VALU_DEP_1)
	v_mul_hi_u32 v5, s44, v4
	v_add_nc_u32_e32 v5, v4, v5
	s_delay_alu instid0(VALU_DEP_1) | instskip(NEXT) | instid1(VALU_DEP_1)
	v_lshrrev_b32_e32 v5, s45, v5
	v_mul_hi_u32 v6, s47, v5
	s_delay_alu instid0(VALU_DEP_1) | instskip(SKIP_1) | instid1(VALU_DEP_1)
	v_add_nc_u32_e32 v6, v5, v6
	v_mul_lo_u32 v7, v4, s40
	v_sub_nc_u32_e32 v1, v1, v7
	v_mul_lo_u32 v7, v5, s43
	s_delay_alu instid0(VALU_DEP_4) | instskip(NEXT) | instid1(VALU_DEP_3)
	v_lshrrev_b32_e32 v6, s56, v6
	v_mad_u32 v3, v1, s49, v3
	v_mad_u32 v1, v1, s48, v2
	s_delay_alu instid0(VALU_DEP_4) | instskip(NEXT) | instid1(VALU_DEP_4)
	v_sub_nc_u32_e32 v2, v4, v7
	v_mul_hi_u32 v8, s58, v6
	v_mul_lo_u32 v4, v6, s46
	s_delay_alu instid0(VALU_DEP_3) | instskip(SKIP_1) | instid1(VALU_DEP_4)
	v_mad_u32 v3, v2, s51, v3
	v_mad_u32 v2, v2, s50, v1
	v_add_nc_u32_e32 v7, v6, v8
	s_delay_alu instid0(VALU_DEP_1) | instskip(NEXT) | instid1(VALU_DEP_1)
	v_dual_sub_nc_u32 v4, v5, v4 :: v_dual_lshrrev_b32 v1, s59, v7
	v_mad_u32 v3, v4, s53, v3
	s_delay_alu instid0(VALU_DEP_4) | instskip(NEXT) | instid1(VALU_DEP_3)
	v_mad_u32 v2, v4, s52, v2
	v_mul_lo_u32 v5, v1, s57
	s_delay_alu instid0(VALU_DEP_1) | instskip(NEXT) | instid1(VALU_DEP_1)
	v_sub_nc_u32_e32 v4, v6, v5
	v_mad_u32 v3, v4, s55, v3
	s_delay_alu instid0(VALU_DEP_4)
	v_mad_u32 v2, v4, s54, v2
	s_cbranch_scc0 .LBB21_176
	s_branch .LBB21_196
.LBB21_177:
                                        ; implicit-def: $vgpr3
	s_branch .LBB21_200
.LBB21_178:
	v_dual_mov_b32 v3, 0 :: v_dual_mov_b32 v2, 0
	s_branch .LBB21_199
.LBB21_179:
	v_mov_b64_e32 v[2:3], 0
	v_mov_b32_e32 v1, v0
	s_mov_b32 s22, 0
.LBB21_180:
	s_and_b32 s14, s14, 3
	s_mov_b32 s23, 0
	s_cmp_eq_u32 s14, 0
	s_cbranch_scc1 .LBB21_183
; %bb.181:
	s_lshl_b32 s24, s22, 3
	s_mov_b32 s25, s23
	s_mul_u64 s[26:27], s[22:23], 12
	s_add_nc_u64 s[24:25], s[12:13], s[24:25]
	s_delay_alu instid0(SALU_CYCLE_1)
	s_add_nc_u64 s[22:23], s[24:25], 0xc4
	s_add_nc_u64 s[24:25], s[12:13], s[26:27]
.LBB21_182:                             ; =>This Inner Loop Header: Depth=1
	s_load_b96 s[40:42], s[24:25], 0x4
	s_load_b64 s[26:27], s[22:23], 0x0
	s_add_co_i32 s14, s14, -1
	s_wait_xcnt 0x0
	s_add_nc_u64 s[24:25], s[24:25], 12
	s_cmp_lg_u32 s14, 0
	s_add_nc_u64 s[22:23], s[22:23], 8
	s_wait_kmcnt 0x0
	v_mul_hi_u32 v4, s41, v1
	s_delay_alu instid0(VALU_DEP_1) | instskip(NEXT) | instid1(VALU_DEP_1)
	v_add_nc_u32_e32 v4, v1, v4
	v_lshrrev_b32_e32 v4, s42, v4
	s_delay_alu instid0(VALU_DEP_1) | instskip(NEXT) | instid1(VALU_DEP_1)
	v_mul_lo_u32 v5, v4, s40
	v_sub_nc_u32_e32 v1, v1, v5
	s_delay_alu instid0(VALU_DEP_1)
	v_mad_u32 v3, v1, s27, v3
	v_mad_u32 v2, v1, s26, v2
	v_mov_b32_e32 v1, v4
	s_cbranch_scc1 .LBB21_182
.LBB21_183:
	s_cbranch_execnz .LBB21_186
.LBB21_184:
	v_mov_b32_e32 v1, 0
	s_and_not1_b32 vcc_lo, exec_lo, s34
	s_delay_alu instid0(VALU_DEP_1) | instskip(NEXT) | instid1(VALU_DEP_1)
	v_mul_u64_e32 v[2:3], s[16:17], v[0:1]
	v_add_nc_u32_e32 v2, v0, v3
	s_delay_alu instid0(VALU_DEP_1) | instskip(NEXT) | instid1(VALU_DEP_1)
	v_lshrrev_b32_e32 v4, s6, v2
	v_mul_lo_u32 v2, v4, s4
	s_delay_alu instid0(VALU_DEP_1) | instskip(NEXT) | instid1(VALU_DEP_1)
	v_sub_nc_u32_e32 v2, v0, v2
	v_mul_lo_u32 v3, v2, s9
	v_mul_lo_u32 v2, v2, s8
	s_cbranch_vccnz .LBB21_186
; %bb.185:
	v_mov_b32_e32 v5, v1
	s_delay_alu instid0(VALU_DEP_1) | instskip(NEXT) | instid1(VALU_DEP_1)
	v_mul_u64_e32 v[6:7], s[18:19], v[4:5]
	v_add_nc_u32_e32 v1, v4, v7
	s_delay_alu instid0(VALU_DEP_1) | instskip(NEXT) | instid1(VALU_DEP_1)
	v_lshrrev_b32_e32 v1, s15, v1
	v_mul_lo_u32 v1, v1, s7
	s_delay_alu instid0(VALU_DEP_1) | instskip(NEXT) | instid1(VALU_DEP_1)
	v_sub_nc_u32_e32 v1, v4, v1
	v_mad_u32 v2, v1, s10, v2
	v_mad_u32 v3, v1, s11, v3
.LBB21_186:
	global_load_u16 v1, v3, s[2:3]
	v_add_nc_u32_e32 v0, 0x80, v0
	s_wait_loadcnt 0x0
	v_cmp_nge_f16_e64 s14, v1, -s33
	v_cmp_nge_f16_e32 vcc_lo, s33, v1
	s_or_b32 vcc_lo, s14, vcc_lo
	v_cndmask_b32_e32 v1, 0, v1, vcc_lo
	global_store_b16 v2, v1, s[0:1]
	s_wait_xcnt 0x0
	s_or_b32 exec_lo, exec_lo, s5
	s_delay_alu instid0(SALU_CYCLE_1)
	s_mov_b32 s5, exec_lo
	v_cmpx_gt_i32_e64 s35, v0
	s_cbranch_execnz .LBB21_172
.LBB21_187:
	s_or_b32 exec_lo, exec_lo, s5
	s_delay_alu instid0(SALU_CYCLE_1)
	s_mov_b32 s5, exec_lo
	v_cmpx_gt_i32_e64 s35, v0
	s_cbranch_execz .LBB21_203
.LBB21_188:
	s_and_not1_b32 vcc_lo, exec_lo, s30
	s_cbranch_vccnz .LBB21_193
; %bb.189:
	s_and_not1_b32 vcc_lo, exec_lo, s37
	s_cbranch_vccnz .LBB21_194
; %bb.190:
	s_add_co_i32 s14, s36, 1
	s_cmp_eq_u32 s29, 2
	s_cbranch_scc1 .LBB21_211
; %bb.191:
	v_dual_mov_b32 v2, 0 :: v_dual_mov_b32 v3, 0
	v_mov_b32_e32 v1, v0
	s_and_b32 s22, s14, 28
	s_mov_b32 s23, 0
	s_mov_b64 s[24:25], s[12:13]
	s_mov_b64 s[26:27], s[20:21]
.LBB21_192:                             ; =>This Inner Loop Header: Depth=1
	s_clause 0x1
	s_load_b256 s[40:47], s[24:25], 0x4
	s_load_b128 s[56:59], s[24:25], 0x24
	s_load_b256 s[48:55], s[26:27], 0x0
	s_add_co_i32 s23, s23, 4
	s_wait_xcnt 0x0
	s_add_nc_u64 s[24:25], s[24:25], 48
	s_cmp_eq_u32 s22, s23
	s_add_nc_u64 s[26:27], s[26:27], 32
	s_wait_kmcnt 0x0
	v_mul_hi_u32 v4, s41, v1
	s_delay_alu instid0(VALU_DEP_1) | instskip(NEXT) | instid1(VALU_DEP_1)
	v_add_nc_u32_e32 v4, v1, v4
	v_lshrrev_b32_e32 v4, s42, v4
	s_delay_alu instid0(VALU_DEP_1) | instskip(NEXT) | instid1(VALU_DEP_1)
	v_mul_hi_u32 v5, s44, v4
	v_add_nc_u32_e32 v5, v4, v5
	s_delay_alu instid0(VALU_DEP_1) | instskip(NEXT) | instid1(VALU_DEP_1)
	v_lshrrev_b32_e32 v5, s45, v5
	v_mul_hi_u32 v6, s47, v5
	s_delay_alu instid0(VALU_DEP_1) | instskip(SKIP_1) | instid1(VALU_DEP_1)
	v_add_nc_u32_e32 v6, v5, v6
	v_mul_lo_u32 v7, v4, s40
	v_sub_nc_u32_e32 v1, v1, v7
	v_mul_lo_u32 v7, v5, s43
	s_delay_alu instid0(VALU_DEP_4) | instskip(NEXT) | instid1(VALU_DEP_3)
	v_lshrrev_b32_e32 v6, s56, v6
	v_mad_u32 v3, v1, s49, v3
	v_mad_u32 v1, v1, s48, v2
	s_delay_alu instid0(VALU_DEP_4) | instskip(NEXT) | instid1(VALU_DEP_4)
	v_sub_nc_u32_e32 v2, v4, v7
	v_mul_hi_u32 v8, s58, v6
	v_mul_lo_u32 v4, v6, s46
	s_delay_alu instid0(VALU_DEP_3) | instskip(SKIP_1) | instid1(VALU_DEP_4)
	v_mad_u32 v3, v2, s51, v3
	v_mad_u32 v2, v2, s50, v1
	v_add_nc_u32_e32 v7, v6, v8
	s_delay_alu instid0(VALU_DEP_1) | instskip(NEXT) | instid1(VALU_DEP_1)
	v_dual_sub_nc_u32 v4, v5, v4 :: v_dual_lshrrev_b32 v1, s59, v7
	v_mad_u32 v3, v4, s53, v3
	s_delay_alu instid0(VALU_DEP_4) | instskip(NEXT) | instid1(VALU_DEP_3)
	v_mad_u32 v2, v4, s52, v2
	v_mul_lo_u32 v5, v1, s57
	s_delay_alu instid0(VALU_DEP_1) | instskip(NEXT) | instid1(VALU_DEP_1)
	v_sub_nc_u32_e32 v4, v6, v5
	v_mad_u32 v3, v4, s55, v3
	s_delay_alu instid0(VALU_DEP_4)
	v_mad_u32 v2, v4, s54, v2
	s_cbranch_scc0 .LBB21_192
	s_branch .LBB21_212
.LBB21_193:
                                        ; implicit-def: $vgpr3
	s_branch .LBB21_216
.LBB21_194:
	v_dual_mov_b32 v3, 0 :: v_dual_mov_b32 v2, 0
	s_branch .LBB21_215
.LBB21_195:
	v_mov_b64_e32 v[2:3], 0
	v_mov_b32_e32 v1, v0
	s_mov_b32 s22, 0
.LBB21_196:
	s_and_b32 s14, s14, 3
	s_mov_b32 s23, 0
	s_cmp_eq_u32 s14, 0
	s_cbranch_scc1 .LBB21_199
; %bb.197:
	s_lshl_b32 s24, s22, 3
	s_mov_b32 s25, s23
	s_mul_u64 s[26:27], s[22:23], 12
	s_add_nc_u64 s[24:25], s[12:13], s[24:25]
	s_delay_alu instid0(SALU_CYCLE_1)
	s_add_nc_u64 s[22:23], s[24:25], 0xc4
	s_add_nc_u64 s[24:25], s[12:13], s[26:27]
.LBB21_198:                             ; =>This Inner Loop Header: Depth=1
	s_load_b96 s[40:42], s[24:25], 0x4
	s_load_b64 s[26:27], s[22:23], 0x0
	s_add_co_i32 s14, s14, -1
	s_wait_xcnt 0x0
	s_add_nc_u64 s[24:25], s[24:25], 12
	s_cmp_lg_u32 s14, 0
	s_add_nc_u64 s[22:23], s[22:23], 8
	s_wait_kmcnt 0x0
	v_mul_hi_u32 v4, s41, v1
	s_delay_alu instid0(VALU_DEP_1) | instskip(NEXT) | instid1(VALU_DEP_1)
	v_add_nc_u32_e32 v4, v1, v4
	v_lshrrev_b32_e32 v4, s42, v4
	s_delay_alu instid0(VALU_DEP_1) | instskip(NEXT) | instid1(VALU_DEP_1)
	v_mul_lo_u32 v5, v4, s40
	v_sub_nc_u32_e32 v1, v1, v5
	s_delay_alu instid0(VALU_DEP_1)
	v_mad_u32 v3, v1, s27, v3
	v_mad_u32 v2, v1, s26, v2
	v_mov_b32_e32 v1, v4
	s_cbranch_scc1 .LBB21_198
.LBB21_199:
	s_cbranch_execnz .LBB21_202
.LBB21_200:
	v_mov_b32_e32 v1, 0
	s_and_not1_b32 vcc_lo, exec_lo, s34
	s_delay_alu instid0(VALU_DEP_1) | instskip(NEXT) | instid1(VALU_DEP_1)
	v_mul_u64_e32 v[2:3], s[16:17], v[0:1]
	v_add_nc_u32_e32 v2, v0, v3
	s_delay_alu instid0(VALU_DEP_1) | instskip(NEXT) | instid1(VALU_DEP_1)
	v_lshrrev_b32_e32 v4, s6, v2
	v_mul_lo_u32 v2, v4, s4
	s_delay_alu instid0(VALU_DEP_1) | instskip(NEXT) | instid1(VALU_DEP_1)
	v_sub_nc_u32_e32 v2, v0, v2
	v_mul_lo_u32 v3, v2, s9
	v_mul_lo_u32 v2, v2, s8
	s_cbranch_vccnz .LBB21_202
; %bb.201:
	v_mov_b32_e32 v5, v1
	s_delay_alu instid0(VALU_DEP_1) | instskip(NEXT) | instid1(VALU_DEP_1)
	v_mul_u64_e32 v[6:7], s[18:19], v[4:5]
	v_add_nc_u32_e32 v1, v4, v7
	s_delay_alu instid0(VALU_DEP_1) | instskip(NEXT) | instid1(VALU_DEP_1)
	v_lshrrev_b32_e32 v1, s15, v1
	v_mul_lo_u32 v1, v1, s7
	s_delay_alu instid0(VALU_DEP_1) | instskip(NEXT) | instid1(VALU_DEP_1)
	v_sub_nc_u32_e32 v1, v4, v1
	v_mad_u32 v2, v1, s10, v2
	v_mad_u32 v3, v1, s11, v3
.LBB21_202:
	global_load_u16 v1, v3, s[2:3]
	v_add_nc_u32_e32 v0, 0x80, v0
	s_wait_loadcnt 0x0
	v_cmp_nge_f16_e64 s14, v1, -s33
	v_cmp_nge_f16_e32 vcc_lo, s33, v1
	s_or_b32 vcc_lo, s14, vcc_lo
	v_cndmask_b32_e32 v1, 0, v1, vcc_lo
	global_store_b16 v2, v1, s[0:1]
	s_wait_xcnt 0x0
	s_or_b32 exec_lo, exec_lo, s5
	s_delay_alu instid0(SALU_CYCLE_1)
	s_mov_b32 s5, exec_lo
	v_cmpx_gt_i32_e64 s35, v0
	s_cbranch_execnz .LBB21_188
.LBB21_203:
	s_or_b32 exec_lo, exec_lo, s5
	s_delay_alu instid0(SALU_CYCLE_1)
	s_mov_b32 s5, exec_lo
	v_cmpx_gt_i32_e64 s35, v0
	s_cbranch_execz .LBB21_219
.LBB21_204:
	s_and_not1_b32 vcc_lo, exec_lo, s30
	s_cbranch_vccnz .LBB21_209
; %bb.205:
	s_and_not1_b32 vcc_lo, exec_lo, s37
	s_cbranch_vccnz .LBB21_210
; %bb.206:
	s_add_co_i32 s14, s36, 1
	s_cmp_eq_u32 s29, 2
	s_cbranch_scc1 .LBB21_222
; %bb.207:
	v_dual_mov_b32 v2, 0 :: v_dual_mov_b32 v3, 0
	v_mov_b32_e32 v1, v0
	s_and_b32 s22, s14, 28
	s_mov_b32 s23, 0
	s_mov_b64 s[24:25], s[12:13]
	s_mov_b64 s[26:27], s[20:21]
.LBB21_208:                             ; =>This Inner Loop Header: Depth=1
	s_clause 0x1
	s_load_b256 s[40:47], s[24:25], 0x4
	s_load_b128 s[56:59], s[24:25], 0x24
	s_load_b256 s[48:55], s[26:27], 0x0
	s_add_co_i32 s23, s23, 4
	s_wait_xcnt 0x0
	s_add_nc_u64 s[24:25], s[24:25], 48
	s_cmp_eq_u32 s22, s23
	s_add_nc_u64 s[26:27], s[26:27], 32
	s_wait_kmcnt 0x0
	v_mul_hi_u32 v4, s41, v1
	s_delay_alu instid0(VALU_DEP_1) | instskip(NEXT) | instid1(VALU_DEP_1)
	v_add_nc_u32_e32 v4, v1, v4
	v_lshrrev_b32_e32 v4, s42, v4
	s_delay_alu instid0(VALU_DEP_1) | instskip(NEXT) | instid1(VALU_DEP_1)
	v_mul_hi_u32 v5, s44, v4
	v_add_nc_u32_e32 v5, v4, v5
	s_delay_alu instid0(VALU_DEP_1) | instskip(NEXT) | instid1(VALU_DEP_1)
	v_lshrrev_b32_e32 v5, s45, v5
	v_mul_hi_u32 v6, s47, v5
	s_delay_alu instid0(VALU_DEP_1) | instskip(SKIP_1) | instid1(VALU_DEP_1)
	v_add_nc_u32_e32 v6, v5, v6
	v_mul_lo_u32 v7, v4, s40
	v_sub_nc_u32_e32 v1, v1, v7
	v_mul_lo_u32 v7, v5, s43
	s_delay_alu instid0(VALU_DEP_4) | instskip(NEXT) | instid1(VALU_DEP_3)
	v_lshrrev_b32_e32 v6, s56, v6
	v_mad_u32 v3, v1, s49, v3
	v_mad_u32 v1, v1, s48, v2
	s_delay_alu instid0(VALU_DEP_4) | instskip(NEXT) | instid1(VALU_DEP_4)
	v_sub_nc_u32_e32 v2, v4, v7
	v_mul_hi_u32 v8, s58, v6
	v_mul_lo_u32 v4, v6, s46
	s_delay_alu instid0(VALU_DEP_3) | instskip(SKIP_1) | instid1(VALU_DEP_4)
	v_mad_u32 v3, v2, s51, v3
	v_mad_u32 v2, v2, s50, v1
	v_add_nc_u32_e32 v7, v6, v8
	s_delay_alu instid0(VALU_DEP_1) | instskip(NEXT) | instid1(VALU_DEP_1)
	v_dual_sub_nc_u32 v4, v5, v4 :: v_dual_lshrrev_b32 v1, s59, v7
	v_mad_u32 v3, v4, s53, v3
	s_delay_alu instid0(VALU_DEP_4) | instskip(NEXT) | instid1(VALU_DEP_3)
	v_mad_u32 v2, v4, s52, v2
	v_mul_lo_u32 v5, v1, s57
	s_delay_alu instid0(VALU_DEP_1) | instskip(NEXT) | instid1(VALU_DEP_1)
	v_sub_nc_u32_e32 v4, v6, v5
	v_mad_u32 v3, v4, s55, v3
	s_delay_alu instid0(VALU_DEP_4)
	v_mad_u32 v2, v4, s54, v2
	s_cbranch_scc0 .LBB21_208
	s_branch .LBB21_223
.LBB21_209:
                                        ; implicit-def: $vgpr3
	s_branch .LBB21_227
.LBB21_210:
	v_dual_mov_b32 v3, 0 :: v_dual_mov_b32 v2, 0
	s_branch .LBB21_226
.LBB21_211:
	v_mov_b64_e32 v[2:3], 0
	v_mov_b32_e32 v1, v0
	s_mov_b32 s22, 0
.LBB21_212:
	s_and_b32 s14, s14, 3
	s_mov_b32 s23, 0
	s_cmp_eq_u32 s14, 0
	s_cbranch_scc1 .LBB21_215
; %bb.213:
	s_lshl_b32 s24, s22, 3
	s_mov_b32 s25, s23
	s_mul_u64 s[26:27], s[22:23], 12
	s_add_nc_u64 s[24:25], s[12:13], s[24:25]
	s_delay_alu instid0(SALU_CYCLE_1)
	s_add_nc_u64 s[22:23], s[24:25], 0xc4
	s_add_nc_u64 s[24:25], s[12:13], s[26:27]
.LBB21_214:                             ; =>This Inner Loop Header: Depth=1
	s_load_b96 s[40:42], s[24:25], 0x4
	s_load_b64 s[26:27], s[22:23], 0x0
	s_add_co_i32 s14, s14, -1
	s_wait_xcnt 0x0
	s_add_nc_u64 s[24:25], s[24:25], 12
	s_cmp_lg_u32 s14, 0
	s_add_nc_u64 s[22:23], s[22:23], 8
	s_wait_kmcnt 0x0
	v_mul_hi_u32 v4, s41, v1
	s_delay_alu instid0(VALU_DEP_1) | instskip(NEXT) | instid1(VALU_DEP_1)
	v_add_nc_u32_e32 v4, v1, v4
	v_lshrrev_b32_e32 v4, s42, v4
	s_delay_alu instid0(VALU_DEP_1) | instskip(NEXT) | instid1(VALU_DEP_1)
	v_mul_lo_u32 v5, v4, s40
	v_sub_nc_u32_e32 v1, v1, v5
	s_delay_alu instid0(VALU_DEP_1)
	v_mad_u32 v3, v1, s27, v3
	v_mad_u32 v2, v1, s26, v2
	v_mov_b32_e32 v1, v4
	s_cbranch_scc1 .LBB21_214
.LBB21_215:
	s_cbranch_execnz .LBB21_218
.LBB21_216:
	v_mov_b32_e32 v1, 0
	s_and_not1_b32 vcc_lo, exec_lo, s34
	s_delay_alu instid0(VALU_DEP_1) | instskip(NEXT) | instid1(VALU_DEP_1)
	v_mul_u64_e32 v[2:3], s[16:17], v[0:1]
	v_add_nc_u32_e32 v2, v0, v3
	s_delay_alu instid0(VALU_DEP_1) | instskip(NEXT) | instid1(VALU_DEP_1)
	v_lshrrev_b32_e32 v4, s6, v2
	v_mul_lo_u32 v2, v4, s4
	s_delay_alu instid0(VALU_DEP_1) | instskip(NEXT) | instid1(VALU_DEP_1)
	v_sub_nc_u32_e32 v2, v0, v2
	v_mul_lo_u32 v3, v2, s9
	v_mul_lo_u32 v2, v2, s8
	s_cbranch_vccnz .LBB21_218
; %bb.217:
	v_mov_b32_e32 v5, v1
	s_delay_alu instid0(VALU_DEP_1) | instskip(NEXT) | instid1(VALU_DEP_1)
	v_mul_u64_e32 v[6:7], s[18:19], v[4:5]
	v_add_nc_u32_e32 v1, v4, v7
	s_delay_alu instid0(VALU_DEP_1) | instskip(NEXT) | instid1(VALU_DEP_1)
	v_lshrrev_b32_e32 v1, s15, v1
	v_mul_lo_u32 v1, v1, s7
	s_delay_alu instid0(VALU_DEP_1) | instskip(NEXT) | instid1(VALU_DEP_1)
	v_sub_nc_u32_e32 v1, v4, v1
	v_mad_u32 v2, v1, s10, v2
	v_mad_u32 v3, v1, s11, v3
.LBB21_218:
	global_load_u16 v1, v3, s[2:3]
	v_add_nc_u32_e32 v0, 0x80, v0
	s_wait_loadcnt 0x0
	v_cmp_nge_f16_e64 s14, v1, -s33
	v_cmp_nge_f16_e32 vcc_lo, s33, v1
	s_or_b32 vcc_lo, s14, vcc_lo
	v_cndmask_b32_e32 v1, 0, v1, vcc_lo
	global_store_b16 v2, v1, s[0:1]
	s_wait_xcnt 0x0
	s_or_b32 exec_lo, exec_lo, s5
	s_delay_alu instid0(SALU_CYCLE_1)
	s_mov_b32 s5, exec_lo
	v_cmpx_gt_i32_e64 s35, v0
	s_cbranch_execnz .LBB21_204
.LBB21_219:
	s_or_b32 exec_lo, exec_lo, s5
	s_delay_alu instid0(SALU_CYCLE_1)
	s_mov_b32 s5, exec_lo
	v_cmpx_gt_i32_e64 s35, v0
	s_cbranch_execnz .LBB21_230
.LBB21_220:
	s_or_b32 exec_lo, exec_lo, s5
                                        ; implicit-def: $vgpr16
                                        ; implicit-def: $vgpr0
	s_and_not1_saveexec_b32 s0, s31
	s_cbranch_execnz .LBB21_8
.LBB21_221:
	s_endpgm
.LBB21_222:
	v_mov_b64_e32 v[2:3], 0
	v_mov_b32_e32 v1, v0
	s_mov_b32 s22, 0
.LBB21_223:
	s_and_b32 s14, s14, 3
	s_mov_b32 s23, 0
	s_cmp_eq_u32 s14, 0
	s_cbranch_scc1 .LBB21_226
; %bb.224:
	s_lshl_b32 s24, s22, 3
	s_mov_b32 s25, s23
	s_mul_u64 s[26:27], s[22:23], 12
	s_add_nc_u64 s[24:25], s[12:13], s[24:25]
	s_delay_alu instid0(SALU_CYCLE_1)
	s_add_nc_u64 s[22:23], s[24:25], 0xc4
	s_add_nc_u64 s[24:25], s[12:13], s[26:27]
.LBB21_225:                             ; =>This Inner Loop Header: Depth=1
	s_load_b96 s[40:42], s[24:25], 0x4
	s_load_b64 s[26:27], s[22:23], 0x0
	s_add_co_i32 s14, s14, -1
	s_wait_xcnt 0x0
	s_add_nc_u64 s[24:25], s[24:25], 12
	s_cmp_lg_u32 s14, 0
	s_add_nc_u64 s[22:23], s[22:23], 8
	s_wait_kmcnt 0x0
	v_mul_hi_u32 v4, s41, v1
	s_delay_alu instid0(VALU_DEP_1) | instskip(NEXT) | instid1(VALU_DEP_1)
	v_add_nc_u32_e32 v4, v1, v4
	v_lshrrev_b32_e32 v4, s42, v4
	s_delay_alu instid0(VALU_DEP_1) | instskip(NEXT) | instid1(VALU_DEP_1)
	v_mul_lo_u32 v5, v4, s40
	v_sub_nc_u32_e32 v1, v1, v5
	s_delay_alu instid0(VALU_DEP_1)
	v_mad_u32 v3, v1, s27, v3
	v_mad_u32 v2, v1, s26, v2
	v_mov_b32_e32 v1, v4
	s_cbranch_scc1 .LBB21_225
.LBB21_226:
	s_cbranch_execnz .LBB21_229
.LBB21_227:
	v_mov_b32_e32 v1, 0
	s_and_not1_b32 vcc_lo, exec_lo, s34
	s_delay_alu instid0(VALU_DEP_1) | instskip(NEXT) | instid1(VALU_DEP_1)
	v_mul_u64_e32 v[2:3], s[16:17], v[0:1]
	v_add_nc_u32_e32 v2, v0, v3
	s_delay_alu instid0(VALU_DEP_1) | instskip(NEXT) | instid1(VALU_DEP_1)
	v_lshrrev_b32_e32 v4, s6, v2
	v_mul_lo_u32 v2, v4, s4
	s_delay_alu instid0(VALU_DEP_1) | instskip(NEXT) | instid1(VALU_DEP_1)
	v_sub_nc_u32_e32 v2, v0, v2
	v_mul_lo_u32 v3, v2, s9
	v_mul_lo_u32 v2, v2, s8
	s_cbranch_vccnz .LBB21_229
; %bb.228:
	v_mov_b32_e32 v5, v1
	s_delay_alu instid0(VALU_DEP_1) | instskip(NEXT) | instid1(VALU_DEP_1)
	v_mul_u64_e32 v[6:7], s[18:19], v[4:5]
	v_add_nc_u32_e32 v1, v4, v7
	s_delay_alu instid0(VALU_DEP_1) | instskip(NEXT) | instid1(VALU_DEP_1)
	v_lshrrev_b32_e32 v1, s15, v1
	v_mul_lo_u32 v1, v1, s7
	s_delay_alu instid0(VALU_DEP_1) | instskip(NEXT) | instid1(VALU_DEP_1)
	v_sub_nc_u32_e32 v1, v4, v1
	v_mad_u32 v2, v1, s10, v2
	v_mad_u32 v3, v1, s11, v3
.LBB21_229:
	global_load_u16 v1, v3, s[2:3]
	v_add_nc_u32_e32 v0, 0x80, v0
	s_wait_loadcnt 0x0
	v_cmp_nge_f16_e64 s14, v1, -s33
	v_cmp_nge_f16_e32 vcc_lo, s33, v1
	s_or_b32 vcc_lo, s14, vcc_lo
	v_cndmask_b32_e32 v1, 0, v1, vcc_lo
	global_store_b16 v2, v1, s[0:1]
	s_wait_xcnt 0x0
	s_or_b32 exec_lo, exec_lo, s5
	s_delay_alu instid0(SALU_CYCLE_1)
	s_mov_b32 s5, exec_lo
	v_cmpx_gt_i32_e64 s35, v0
	s_cbranch_execz .LBB21_220
.LBB21_230:
	s_and_not1_b32 vcc_lo, exec_lo, s30
	s_cbranch_vccnz .LBB21_235
; %bb.231:
	s_and_not1_b32 vcc_lo, exec_lo, s37
	s_cbranch_vccnz .LBB21_236
; %bb.232:
	s_add_co_i32 s36, s36, 1
	s_cmp_eq_u32 s29, 2
	s_cbranch_scc1 .LBB21_237
; %bb.233:
	v_dual_mov_b32 v2, 0 :: v_dual_mov_b32 v3, 0
	v_mov_b32_e32 v1, v0
	s_and_b32 s22, s36, 28
	s_mov_b32 s14, 0
	s_mov_b64 s[24:25], s[12:13]
.LBB21_234:                             ; =>This Inner Loop Header: Depth=1
	s_clause 0x1
	s_load_b256 s[40:47], s[24:25], 0x4
	s_load_b128 s[56:59], s[24:25], 0x24
	s_load_b256 s[48:55], s[20:21], 0x0
	s_add_co_i32 s14, s14, 4
	s_wait_xcnt 0x0
	s_add_nc_u64 s[24:25], s[24:25], 48
	s_cmp_eq_u32 s22, s14
	s_add_nc_u64 s[20:21], s[20:21], 32
	s_wait_kmcnt 0x0
	v_mul_hi_u32 v4, s41, v1
	s_delay_alu instid0(VALU_DEP_1) | instskip(NEXT) | instid1(VALU_DEP_1)
	v_add_nc_u32_e32 v4, v1, v4
	v_lshrrev_b32_e32 v4, s42, v4
	s_delay_alu instid0(VALU_DEP_1) | instskip(NEXT) | instid1(VALU_DEP_1)
	v_mul_hi_u32 v5, s44, v4
	v_add_nc_u32_e32 v5, v4, v5
	s_delay_alu instid0(VALU_DEP_1) | instskip(NEXT) | instid1(VALU_DEP_1)
	v_lshrrev_b32_e32 v5, s45, v5
	v_mul_hi_u32 v6, s47, v5
	s_delay_alu instid0(VALU_DEP_1) | instskip(SKIP_1) | instid1(VALU_DEP_1)
	v_add_nc_u32_e32 v6, v5, v6
	v_mul_lo_u32 v7, v4, s40
	v_sub_nc_u32_e32 v1, v1, v7
	v_mul_lo_u32 v7, v5, s43
	s_delay_alu instid0(VALU_DEP_4) | instskip(NEXT) | instid1(VALU_DEP_3)
	v_lshrrev_b32_e32 v6, s56, v6
	v_mad_u32 v3, v1, s49, v3
	v_mad_u32 v1, v1, s48, v2
	s_delay_alu instid0(VALU_DEP_4) | instskip(NEXT) | instid1(VALU_DEP_4)
	v_sub_nc_u32_e32 v2, v4, v7
	v_mul_hi_u32 v8, s58, v6
	v_mul_lo_u32 v4, v6, s46
	s_delay_alu instid0(VALU_DEP_3) | instskip(SKIP_1) | instid1(VALU_DEP_4)
	v_mad_u32 v3, v2, s51, v3
	v_mad_u32 v2, v2, s50, v1
	v_add_nc_u32_e32 v7, v6, v8
	s_delay_alu instid0(VALU_DEP_1) | instskip(NEXT) | instid1(VALU_DEP_1)
	v_dual_sub_nc_u32 v4, v5, v4 :: v_dual_lshrrev_b32 v1, s59, v7
	v_mad_u32 v3, v4, s53, v3
	s_delay_alu instid0(VALU_DEP_4) | instskip(NEXT) | instid1(VALU_DEP_3)
	v_mad_u32 v2, v4, s52, v2
	v_mul_lo_u32 v5, v1, s57
	s_delay_alu instid0(VALU_DEP_1) | instskip(NEXT) | instid1(VALU_DEP_1)
	v_sub_nc_u32_e32 v4, v6, v5
	v_mad_u32 v3, v4, s55, v3
	s_delay_alu instid0(VALU_DEP_4)
	v_mad_u32 v2, v4, s54, v2
	s_cbranch_scc0 .LBB21_234
	s_branch .LBB21_238
.LBB21_235:
                                        ; implicit-def: $vgpr3
	s_branch .LBB21_242
.LBB21_236:
	v_dual_mov_b32 v3, 0 :: v_dual_mov_b32 v2, 0
	s_branch .LBB21_241
.LBB21_237:
	v_mov_b64_e32 v[2:3], 0
	v_mov_b32_e32 v1, v0
	s_mov_b32 s22, 0
.LBB21_238:
	s_and_b32 s14, s36, 3
	s_mov_b32 s23, 0
	s_cmp_eq_u32 s14, 0
	s_cbranch_scc1 .LBB21_241
; %bb.239:
	s_lshl_b32 s20, s22, 3
	s_mov_b32 s21, s23
	s_mul_u64 s[22:23], s[22:23], 12
	s_add_nc_u64 s[20:21], s[12:13], s[20:21]
	s_add_nc_u64 s[22:23], s[12:13], s[22:23]
	;; [unrolled: 1-line block ×3, first 2 shown]
.LBB21_240:                             ; =>This Inner Loop Header: Depth=1
	s_load_b96 s[24:26], s[22:23], 0x4
	s_add_co_i32 s14, s14, -1
	s_wait_xcnt 0x0
	s_add_nc_u64 s[22:23], s[22:23], 12
	s_cmp_lg_u32 s14, 0
	s_wait_kmcnt 0x0
	v_mul_hi_u32 v4, s25, v1
	s_delay_alu instid0(VALU_DEP_1) | instskip(NEXT) | instid1(VALU_DEP_1)
	v_add_nc_u32_e32 v4, v1, v4
	v_lshrrev_b32_e32 v4, s26, v4
	s_load_b64 s[26:27], s[20:21], 0x0
	s_wait_xcnt 0x0
	s_add_nc_u64 s[20:21], s[20:21], 8
	s_delay_alu instid0(VALU_DEP_1) | instskip(NEXT) | instid1(VALU_DEP_1)
	v_mul_lo_u32 v5, v4, s24
	v_sub_nc_u32_e32 v1, v1, v5
	s_wait_kmcnt 0x0
	s_delay_alu instid0(VALU_DEP_1)
	v_mad_u32 v3, v1, s27, v3
	v_mad_u32 v2, v1, s26, v2
	v_mov_b32_e32 v1, v4
	s_cbranch_scc1 .LBB21_240
.LBB21_241:
	s_cbranch_execnz .LBB21_244
.LBB21_242:
	v_mov_b32_e32 v1, 0
	s_and_not1_b32 vcc_lo, exec_lo, s34
	s_delay_alu instid0(VALU_DEP_1) | instskip(NEXT) | instid1(VALU_DEP_1)
	v_mul_u64_e32 v[2:3], s[16:17], v[0:1]
	v_add_nc_u32_e32 v2, v0, v3
	s_delay_alu instid0(VALU_DEP_1) | instskip(NEXT) | instid1(VALU_DEP_1)
	v_lshrrev_b32_e32 v4, s6, v2
	v_mul_lo_u32 v2, v4, s4
	s_delay_alu instid0(VALU_DEP_1) | instskip(NEXT) | instid1(VALU_DEP_1)
	v_sub_nc_u32_e32 v0, v0, v2
	v_mul_lo_u32 v3, v0, s9
	v_mul_lo_u32 v2, v0, s8
	s_cbranch_vccnz .LBB21_244
; %bb.243:
	v_mov_b32_e32 v5, v1
	s_delay_alu instid0(VALU_DEP_1) | instskip(NEXT) | instid1(VALU_DEP_1)
	v_mul_u64_e32 v[0:1], s[18:19], v[4:5]
	v_add_nc_u32_e32 v0, v4, v1
	s_delay_alu instid0(VALU_DEP_1) | instskip(NEXT) | instid1(VALU_DEP_1)
	v_lshrrev_b32_e32 v0, s15, v0
	v_mul_lo_u32 v0, v0, s7
	s_delay_alu instid0(VALU_DEP_1) | instskip(NEXT) | instid1(VALU_DEP_1)
	v_sub_nc_u32_e32 v0, v4, v0
	v_mad_u32 v2, v0, s10, v2
	v_mad_u32 v3, v0, s11, v3
.LBB21_244:
	global_load_u16 v0, v3, s[2:3]
	s_wait_loadcnt 0x0
	v_cmp_nge_f16_e64 s2, v0, -s33
	v_cmp_nge_f16_e32 vcc_lo, s33, v0
	s_or_b32 vcc_lo, s2, vcc_lo
	v_cndmask_b32_e32 v0, 0, v0, vcc_lo
	global_store_b16 v2, v0, s[0:1]
	s_wait_xcnt 0x0
	s_or_b32 exec_lo, exec_lo, s5
                                        ; implicit-def: $vgpr16
                                        ; implicit-def: $vgpr0
	s_and_not1_saveexec_b32 s0, s31
	s_cbranch_execz .LBB21_221
	s_branch .LBB21_8
	.section	.rodata,"a",@progbits
	.p2align	6, 0x0
	.amdhsa_kernel _ZN2at6native32elementwise_kernel_manual_unrollILi128ELi8EZNS0_22gpu_kernel_impl_nocastIZZZNS0_12_GLOBAL__N_117hardshrink_kernelERNS_18TensorIteratorBaseERKN3c106ScalarEENKUlvE_clEvENKUlvE1_clEvEUlNS6_4HalfEE_EEvS5_RKT_EUlibE_EEviT1_
		.amdhsa_group_segment_fixed_size 0
		.amdhsa_private_segment_fixed_size 0
		.amdhsa_kernarg_size 360
		.amdhsa_user_sgpr_count 2
		.amdhsa_user_sgpr_dispatch_ptr 0
		.amdhsa_user_sgpr_queue_ptr 0
		.amdhsa_user_sgpr_kernarg_segment_ptr 1
		.amdhsa_user_sgpr_dispatch_id 0
		.amdhsa_user_sgpr_kernarg_preload_length 0
		.amdhsa_user_sgpr_kernarg_preload_offset 0
		.amdhsa_user_sgpr_private_segment_size 0
		.amdhsa_wavefront_size32 1
		.amdhsa_uses_dynamic_stack 0
		.amdhsa_enable_private_segment 0
		.amdhsa_system_sgpr_workgroup_id_x 1
		.amdhsa_system_sgpr_workgroup_id_y 0
		.amdhsa_system_sgpr_workgroup_id_z 0
		.amdhsa_system_sgpr_workgroup_info 0
		.amdhsa_system_vgpr_workitem_id 0
		.amdhsa_next_free_vgpr 24
		.amdhsa_next_free_sgpr 60
		.amdhsa_named_barrier_count 0
		.amdhsa_reserve_vcc 1
		.amdhsa_float_round_mode_32 0
		.amdhsa_float_round_mode_16_64 0
		.amdhsa_float_denorm_mode_32 3
		.amdhsa_float_denorm_mode_16_64 3
		.amdhsa_fp16_overflow 0
		.amdhsa_memory_ordered 1
		.amdhsa_forward_progress 1
		.amdhsa_inst_pref_size 99
		.amdhsa_round_robin_scheduling 0
		.amdhsa_exception_fp_ieee_invalid_op 0
		.amdhsa_exception_fp_denorm_src 0
		.amdhsa_exception_fp_ieee_div_zero 0
		.amdhsa_exception_fp_ieee_overflow 0
		.amdhsa_exception_fp_ieee_underflow 0
		.amdhsa_exception_fp_ieee_inexact 0
		.amdhsa_exception_int_div_zero 0
	.end_amdhsa_kernel
	.section	.text._ZN2at6native32elementwise_kernel_manual_unrollILi128ELi8EZNS0_22gpu_kernel_impl_nocastIZZZNS0_12_GLOBAL__N_117hardshrink_kernelERNS_18TensorIteratorBaseERKN3c106ScalarEENKUlvE_clEvENKUlvE1_clEvEUlNS6_4HalfEE_EEvS5_RKT_EUlibE_EEviT1_,"axG",@progbits,_ZN2at6native32elementwise_kernel_manual_unrollILi128ELi8EZNS0_22gpu_kernel_impl_nocastIZZZNS0_12_GLOBAL__N_117hardshrink_kernelERNS_18TensorIteratorBaseERKN3c106ScalarEENKUlvE_clEvENKUlvE1_clEvEUlNS6_4HalfEE_EEvS5_RKT_EUlibE_EEviT1_,comdat
.Lfunc_end21:
	.size	_ZN2at6native32elementwise_kernel_manual_unrollILi128ELi8EZNS0_22gpu_kernel_impl_nocastIZZZNS0_12_GLOBAL__N_117hardshrink_kernelERNS_18TensorIteratorBaseERKN3c106ScalarEENKUlvE_clEvENKUlvE1_clEvEUlNS6_4HalfEE_EEvS5_RKT_EUlibE_EEviT1_, .Lfunc_end21-_ZN2at6native32elementwise_kernel_manual_unrollILi128ELi8EZNS0_22gpu_kernel_impl_nocastIZZZNS0_12_GLOBAL__N_117hardshrink_kernelERNS_18TensorIteratorBaseERKN3c106ScalarEENKUlvE_clEvENKUlvE1_clEvEUlNS6_4HalfEE_EEvS5_RKT_EUlibE_EEviT1_
                                        ; -- End function
	.set _ZN2at6native32elementwise_kernel_manual_unrollILi128ELi8EZNS0_22gpu_kernel_impl_nocastIZZZNS0_12_GLOBAL__N_117hardshrink_kernelERNS_18TensorIteratorBaseERKN3c106ScalarEENKUlvE_clEvENKUlvE1_clEvEUlNS6_4HalfEE_EEvS5_RKT_EUlibE_EEviT1_.num_vgpr, 24
	.set _ZN2at6native32elementwise_kernel_manual_unrollILi128ELi8EZNS0_22gpu_kernel_impl_nocastIZZZNS0_12_GLOBAL__N_117hardshrink_kernelERNS_18TensorIteratorBaseERKN3c106ScalarEENKUlvE_clEvENKUlvE1_clEvEUlNS6_4HalfEE_EEvS5_RKT_EUlibE_EEviT1_.num_agpr, 0
	.set _ZN2at6native32elementwise_kernel_manual_unrollILi128ELi8EZNS0_22gpu_kernel_impl_nocastIZZZNS0_12_GLOBAL__N_117hardshrink_kernelERNS_18TensorIteratorBaseERKN3c106ScalarEENKUlvE_clEvENKUlvE1_clEvEUlNS6_4HalfEE_EEvS5_RKT_EUlibE_EEviT1_.numbered_sgpr, 60
	.set _ZN2at6native32elementwise_kernel_manual_unrollILi128ELi8EZNS0_22gpu_kernel_impl_nocastIZZZNS0_12_GLOBAL__N_117hardshrink_kernelERNS_18TensorIteratorBaseERKN3c106ScalarEENKUlvE_clEvENKUlvE1_clEvEUlNS6_4HalfEE_EEvS5_RKT_EUlibE_EEviT1_.num_named_barrier, 0
	.set _ZN2at6native32elementwise_kernel_manual_unrollILi128ELi8EZNS0_22gpu_kernel_impl_nocastIZZZNS0_12_GLOBAL__N_117hardshrink_kernelERNS_18TensorIteratorBaseERKN3c106ScalarEENKUlvE_clEvENKUlvE1_clEvEUlNS6_4HalfEE_EEvS5_RKT_EUlibE_EEviT1_.private_seg_size, 0
	.set _ZN2at6native32elementwise_kernel_manual_unrollILi128ELi8EZNS0_22gpu_kernel_impl_nocastIZZZNS0_12_GLOBAL__N_117hardshrink_kernelERNS_18TensorIteratorBaseERKN3c106ScalarEENKUlvE_clEvENKUlvE1_clEvEUlNS6_4HalfEE_EEvS5_RKT_EUlibE_EEviT1_.uses_vcc, 1
	.set _ZN2at6native32elementwise_kernel_manual_unrollILi128ELi8EZNS0_22gpu_kernel_impl_nocastIZZZNS0_12_GLOBAL__N_117hardshrink_kernelERNS_18TensorIteratorBaseERKN3c106ScalarEENKUlvE_clEvENKUlvE1_clEvEUlNS6_4HalfEE_EEvS5_RKT_EUlibE_EEviT1_.uses_flat_scratch, 0
	.set _ZN2at6native32elementwise_kernel_manual_unrollILi128ELi8EZNS0_22gpu_kernel_impl_nocastIZZZNS0_12_GLOBAL__N_117hardshrink_kernelERNS_18TensorIteratorBaseERKN3c106ScalarEENKUlvE_clEvENKUlvE1_clEvEUlNS6_4HalfEE_EEvS5_RKT_EUlibE_EEviT1_.has_dyn_sized_stack, 0
	.set _ZN2at6native32elementwise_kernel_manual_unrollILi128ELi8EZNS0_22gpu_kernel_impl_nocastIZZZNS0_12_GLOBAL__N_117hardshrink_kernelERNS_18TensorIteratorBaseERKN3c106ScalarEENKUlvE_clEvENKUlvE1_clEvEUlNS6_4HalfEE_EEvS5_RKT_EUlibE_EEviT1_.has_recursion, 0
	.set _ZN2at6native32elementwise_kernel_manual_unrollILi128ELi8EZNS0_22gpu_kernel_impl_nocastIZZZNS0_12_GLOBAL__N_117hardshrink_kernelERNS_18TensorIteratorBaseERKN3c106ScalarEENKUlvE_clEvENKUlvE1_clEvEUlNS6_4HalfEE_EEvS5_RKT_EUlibE_EEviT1_.has_indirect_call, 0
	.section	.AMDGPU.csdata,"",@progbits
; Kernel info:
; codeLenInByte = 12656
; TotalNumSgprs: 62
; NumVgprs: 24
; ScratchSize: 0
; MemoryBound: 0
; FloatMode: 240
; IeeeMode: 1
; LDSByteSize: 0 bytes/workgroup (compile time only)
; SGPRBlocks: 0
; VGPRBlocks: 1
; NumSGPRsForWavesPerEU: 62
; NumVGPRsForWavesPerEU: 24
; NamedBarCnt: 0
; Occupancy: 16
; WaveLimiterHint : 1
; COMPUTE_PGM_RSRC2:SCRATCH_EN: 0
; COMPUTE_PGM_RSRC2:USER_SGPR: 2
; COMPUTE_PGM_RSRC2:TRAP_HANDLER: 0
; COMPUTE_PGM_RSRC2:TGID_X_EN: 1
; COMPUTE_PGM_RSRC2:TGID_Y_EN: 0
; COMPUTE_PGM_RSRC2:TGID_Z_EN: 0
; COMPUTE_PGM_RSRC2:TIDIG_COMP_CNT: 0
	.section	.text._ZN2at6native32elementwise_kernel_manual_unrollILi128ELi4EZNS0_15gpu_kernel_implIZZZNS0_12_GLOBAL__N_117hardshrink_kernelERNS_18TensorIteratorBaseERKN3c106ScalarEENKUlvE_clEvENKUlvE1_clEvEUlNS6_4HalfEE_EEvS5_RKT_EUlibE_EEviT1_,"axG",@progbits,_ZN2at6native32elementwise_kernel_manual_unrollILi128ELi4EZNS0_15gpu_kernel_implIZZZNS0_12_GLOBAL__N_117hardshrink_kernelERNS_18TensorIteratorBaseERKN3c106ScalarEENKUlvE_clEvENKUlvE1_clEvEUlNS6_4HalfEE_EEvS5_RKT_EUlibE_EEviT1_,comdat
	.globl	_ZN2at6native32elementwise_kernel_manual_unrollILi128ELi4EZNS0_15gpu_kernel_implIZZZNS0_12_GLOBAL__N_117hardshrink_kernelERNS_18TensorIteratorBaseERKN3c106ScalarEENKUlvE_clEvENKUlvE1_clEvEUlNS6_4HalfEE_EEvS5_RKT_EUlibE_EEviT1_ ; -- Begin function _ZN2at6native32elementwise_kernel_manual_unrollILi128ELi4EZNS0_15gpu_kernel_implIZZZNS0_12_GLOBAL__N_117hardshrink_kernelERNS_18TensorIteratorBaseERKN3c106ScalarEENKUlvE_clEvENKUlvE1_clEvEUlNS6_4HalfEE_EEvS5_RKT_EUlibE_EEviT1_
	.p2align	8
	.type	_ZN2at6native32elementwise_kernel_manual_unrollILi128ELi4EZNS0_15gpu_kernel_implIZZZNS0_12_GLOBAL__N_117hardshrink_kernelERNS_18TensorIteratorBaseERKN3c106ScalarEENKUlvE_clEvENKUlvE1_clEvEUlNS6_4HalfEE_EEvS5_RKT_EUlibE_EEviT1_,@function
_ZN2at6native32elementwise_kernel_manual_unrollILi128ELi4EZNS0_15gpu_kernel_implIZZZNS0_12_GLOBAL__N_117hardshrink_kernelERNS_18TensorIteratorBaseERKN3c106ScalarEENKUlvE_clEvENKUlvE1_clEvEUlNS6_4HalfEE_EEvS5_RKT_EUlibE_EEviT1_: ; @_ZN2at6native32elementwise_kernel_manual_unrollILi128ELi4EZNS0_15gpu_kernel_implIZZZNS0_12_GLOBAL__N_117hardshrink_kernelERNS_18TensorIteratorBaseERKN3c106ScalarEENKUlvE_clEvENKUlvE1_clEvEUlNS6_4HalfEE_EEvS5_RKT_EUlibE_EEviT1_
; %bb.0:
	v_mov_b32_e32 v1, 0
	s_bfe_u32 s3, ttmp6, 0x4000c
	s_clause 0x1
	s_load_b32 s13, s[0:1], 0x0
	s_load_b128 s[4:7], s[0:1], 0x8
	s_add_co_i32 s3, s3, 1
	s_and_b32 s11, ttmp6, 15
	global_load_u16 v1, v1, s[0:1] offset:34
	s_load_b96 s[8:10], s[0:1], 0x18
	s_wait_xcnt 0x0
	s_mul_i32 s1, ttmp9, s3
	s_getreg_b32 s12, hwreg(HW_REG_IB_STS2, 6, 4)
	s_add_co_i32 s11, s11, s1
	s_mov_b32 s1, 0
	s_wait_loadcnt 0x0
	v_readfirstlane_b32 s2, v1
	s_and_b32 s0, 0xffff, s2
	s_delay_alu instid0(SALU_CYCLE_1) | instskip(SKIP_3) | instid1(SALU_CYCLE_1)
	s_lshr_b32 s3, s0, 8
	s_cmp_eq_u32 s12, 0
	s_mov_b32 s12, 0
	s_cselect_b32 s0, ttmp9, s11
	v_lshl_or_b32 v4, s0, 9, v0
	s_mov_b32 s0, exec_lo
	s_delay_alu instid0(VALU_DEP_1) | instskip(SKIP_1) | instid1(VALU_DEP_1)
	v_or_b32_e32 v0, 0x180, v4
	s_wait_kmcnt 0x0
	v_cmpx_le_i32_e64 s13, v0
	s_xor_b32 s11, exec_lo, s0
	s_cbranch_execz .LBB22_1028
; %bb.1:
	s_mov_b32 s18, -1
	s_mov_b32 s16, 0
	s_mov_b32 s14, 0
	s_mov_b32 s15, exec_lo
	v_cmpx_gt_i32_e64 s13, v4
	s_cbranch_execz .LBB22_252
; %bb.2:
	v_mul_lo_u32 v0, v4, s9
	s_and_b32 s0, 0xffff, s3
	s_delay_alu instid0(SALU_CYCLE_1) | instskip(NEXT) | instid1(VALU_DEP_1)
	s_cmp_lt_i32 s0, 11
	v_ashrrev_i32_e32 v1, 31, v0
	s_delay_alu instid0(VALU_DEP_1)
	v_add_nc_u64_e32 v[0:1], s[6:7], v[0:1]
	s_cbranch_scc1 .LBB22_9
; %bb.3:
	s_cmp_gt_i32 s0, 25
	s_cbranch_scc0 .LBB22_57
; %bb.4:
	s_cmp_gt_i32 s0, 28
	s_cbranch_scc0 .LBB22_58
	;; [unrolled: 3-line block ×4, first 2 shown]
; %bb.7:
	s_cmp_eq_u32 s0, 46
	s_mov_b32 s17, 0
	s_cbranch_scc0 .LBB22_64
; %bb.8:
	global_load_b32 v2, v[0:1], off
	s_mov_b32 s12, -1
	s_wait_loadcnt 0x0
	v_lshlrev_b32_e32 v2, 16, v2
	s_delay_alu instid0(VALU_DEP_1)
	v_cvt_f16_f32_e32 v2, v2
	s_branch .LBB22_66
.LBB22_9:
                                        ; implicit-def: $vgpr2
	s_cbranch_execnz .LBB22_202
.LBB22_10:
	s_and_not1_b32 vcc_lo, exec_lo, s12
	s_cbranch_vccnz .LBB22_249
.LBB22_11:
	s_wait_xcnt 0x0
	v_mul_lo_u32 v0, v4, s8
	s_wait_loadcnt 0x0
	v_cmp_nge_f16_e64 s12, v2, -s10
	v_cmp_nge_f16_e32 vcc_lo, s10, v2
	s_mov_b32 s0, 0
	s_mov_b32 s17, -1
	s_mov_b32 s18, 0
	s_or_b32 vcc_lo, s12, vcc_lo
	s_and_b32 s12, s2, 0xff
	v_cndmask_b32_e32 v2, 0, v2, vcc_lo
	s_cmp_lt_i32 s12, 11
	v_ashrrev_i32_e32 v1, 31, v0
	s_delay_alu instid0(VALU_DEP_1)
	v_add_nc_u64_e32 v[0:1], s[4:5], v[0:1]
	s_cbranch_scc1 .LBB22_18
; %bb.12:
	s_and_b32 s17, 0xffff, s12
	s_delay_alu instid0(SALU_CYCLE_1)
	s_cmp_gt_i32 s17, 25
	s_cbranch_scc0 .LBB22_59
; %bb.13:
	s_cmp_gt_i32 s17, 28
	s_cbranch_scc0 .LBB22_61
; %bb.14:
	;; [unrolled: 3-line block ×4, first 2 shown]
	s_mov_b32 s19, 0
	s_mov_b32 s0, -1
	s_cmp_eq_u32 s17, 46
	s_cbranch_scc0 .LBB22_70
; %bb.17:
	v_cvt_f32_f16_e32 v3, v2
	v_cmp_o_f16_e32 vcc_lo, v2, v2
	s_mov_b32 s18, -1
	s_mov_b32 s0, 0
	s_delay_alu instid0(VALU_DEP_2) | instskip(NEXT) | instid1(VALU_DEP_1)
	v_bfe_u32 v5, v3, 16, 1
	v_add3_u32 v3, v3, v5, 0x7fff
	s_delay_alu instid0(VALU_DEP_1) | instskip(NEXT) | instid1(VALU_DEP_1)
	v_lshrrev_b32_e32 v3, 16, v3
	v_cndmask_b32_e32 v3, 0x7fc0, v3, vcc_lo
	global_store_b32 v[0:1], v3, off
	s_branch .LBB22_70
.LBB22_18:
	s_and_b32 vcc_lo, exec_lo, s17
	s_cbranch_vccz .LBB22_139
; %bb.19:
	s_and_b32 s12, 0xffff, s12
	s_mov_b32 s17, -1
	s_cmp_lt_i32 s12, 5
	s_cbranch_scc1 .LBB22_40
; %bb.20:
	s_cmp_lt_i32 s12, 8
	s_cbranch_scc1 .LBB22_30
; %bb.21:
	;; [unrolled: 3-line block ×3, first 2 shown]
	s_cmp_gt_i32 s12, 9
	s_cbranch_scc0 .LBB22_24
; %bb.23:
	s_wait_xcnt 0x0
	v_cvt_f32_f16_e32 v3, v2
	v_mov_b32_e32 v8, 0
	s_mov_b32 s17, 0
	s_delay_alu instid0(VALU_DEP_2) | instskip(NEXT) | instid1(VALU_DEP_2)
	v_cvt_f64_f32_e32 v[6:7], v3
	v_mov_b32_e32 v9, v8
	global_store_b128 v[0:1], v[6:9], off
.LBB22_24:
	s_and_not1_b32 vcc_lo, exec_lo, s17
	s_cbranch_vccnz .LBB22_26
; %bb.25:
	s_wait_xcnt 0x0
	v_cvt_f32_f16_e32 v6, v2
	v_mov_b32_e32 v7, 0
	global_store_b64 v[0:1], v[6:7], off
.LBB22_26:
	s_mov_b32 s17, 0
.LBB22_27:
	s_delay_alu instid0(SALU_CYCLE_1)
	s_and_not1_b32 vcc_lo, exec_lo, s17
	s_cbranch_vccnz .LBB22_29
; %bb.28:
	s_wait_xcnt 0x0
	v_and_b32_e32 v3, 0xffff, v2
	global_store_b32 v[0:1], v3, off
.LBB22_29:
	s_mov_b32 s17, 0
.LBB22_30:
	s_delay_alu instid0(SALU_CYCLE_1)
	s_and_not1_b32 vcc_lo, exec_lo, s17
	s_cbranch_vccnz .LBB22_39
; %bb.31:
	s_cmp_lt_i32 s12, 6
	s_mov_b32 s17, -1
	s_cbranch_scc1 .LBB22_37
; %bb.32:
	s_cmp_gt_i32 s12, 6
	s_cbranch_scc0 .LBB22_34
; %bb.33:
	s_wait_xcnt 0x0
	v_cvt_f32_f16_e32 v3, v2
	s_mov_b32 s17, 0
	s_delay_alu instid0(VALU_DEP_1)
	v_cvt_f64_f32_e32 v[6:7], v3
	global_store_b64 v[0:1], v[6:7], off
.LBB22_34:
	s_and_not1_b32 vcc_lo, exec_lo, s17
	s_cbranch_vccnz .LBB22_36
; %bb.35:
	s_wait_xcnt 0x0
	v_cvt_f32_f16_e32 v3, v2
	global_store_b32 v[0:1], v3, off
.LBB22_36:
	s_mov_b32 s17, 0
.LBB22_37:
	s_delay_alu instid0(SALU_CYCLE_1)
	s_and_not1_b32 vcc_lo, exec_lo, s17
	s_cbranch_vccnz .LBB22_39
; %bb.38:
	global_store_b16 v[0:1], v2, off
.LBB22_39:
	s_mov_b32 s17, 0
.LBB22_40:
	s_delay_alu instid0(SALU_CYCLE_1)
	s_and_not1_b32 vcc_lo, exec_lo, s17
	s_cbranch_vccnz .LBB22_56
; %bb.41:
	s_cmp_lt_i32 s12, 2
	s_mov_b32 s17, -1
	s_cbranch_scc1 .LBB22_51
; %bb.42:
	s_cmp_lt_i32 s12, 3
	s_cbranch_scc1 .LBB22_48
; %bb.43:
	s_cmp_gt_i32 s12, 3
	s_cbranch_scc0 .LBB22_45
; %bb.44:
	s_wait_xcnt 0x0
	v_cvt_f32_f16_e32 v3, v2
	s_mov_b32 s17, 0
	s_delay_alu instid0(VALU_DEP_1) | instskip(NEXT) | instid1(VALU_DEP_1)
	v_cvt_i32_f32_e32 v6, v3
	v_ashrrev_i32_e32 v7, 31, v6
	global_store_b64 v[0:1], v[6:7], off
.LBB22_45:
	s_and_not1_b32 vcc_lo, exec_lo, s17
	s_cbranch_vccnz .LBB22_47
; %bb.46:
	s_wait_xcnt 0x0
	v_cvt_f32_f16_e32 v3, v2
	s_delay_alu instid0(VALU_DEP_1)
	v_cvt_i32_f32_e32 v3, v3
	global_store_b32 v[0:1], v3, off
.LBB22_47:
	s_mov_b32 s17, 0
.LBB22_48:
	s_delay_alu instid0(SALU_CYCLE_1)
	s_and_not1_b32 vcc_lo, exec_lo, s17
	s_cbranch_vccnz .LBB22_50
; %bb.49:
	s_wait_xcnt 0x0
	v_cvt_i16_f16_e32 v3, v2
	global_store_b16 v[0:1], v3, off
.LBB22_50:
	s_mov_b32 s17, 0
.LBB22_51:
	s_delay_alu instid0(SALU_CYCLE_1)
	s_and_not1_b32 vcc_lo, exec_lo, s17
	s_cbranch_vccnz .LBB22_56
; %bb.52:
	s_cmp_gt_i32 s12, 0
	s_mov_b32 s12, -1
	s_cbranch_scc0 .LBB22_54
; %bb.53:
	s_wait_xcnt 0x0
	v_cvt_i16_f16_e32 v3, v2
	s_mov_b32 s12, 0
	global_store_b8 v[0:1], v3, off
.LBB22_54:
	s_and_not1_b32 vcc_lo, exec_lo, s12
	s_cbranch_vccnz .LBB22_56
; %bb.55:
	s_wait_xcnt 0x0
	v_cvt_f32_f16_e32 v2, v2
	s_delay_alu instid0(VALU_DEP_1)
	v_cvt_i32_f32_e32 v2, v2
	global_store_b8 v[0:1], v2, off
.LBB22_56:
	s_branch .LBB22_140
.LBB22_57:
                                        ; implicit-def: $vgpr2
	s_cbranch_execnz .LBB22_167
	s_branch .LBB22_201
.LBB22_58:
	s_mov_b32 s17, -1
                                        ; implicit-def: $vgpr2
	s_branch .LBB22_148
.LBB22_59:
	s_mov_b32 s19, -1
	s_branch .LBB22_97
.LBB22_60:
	s_mov_b32 s17, -1
                                        ; implicit-def: $vgpr2
	s_branch .LBB22_143
.LBB22_61:
	s_mov_b32 s19, -1
	s_branch .LBB22_80
.LBB22_62:
	s_mov_b32 s17, -1
	s_branch .LBB22_65
.LBB22_63:
	s_mov_b32 s19, -1
	s_branch .LBB22_76
.LBB22_64:
	s_mov_b32 s14, -1
.LBB22_65:
                                        ; implicit-def: $vgpr2
.LBB22_66:
	s_and_b32 vcc_lo, exec_lo, s17
	s_cbranch_vccz .LBB22_142
; %bb.67:
	s_cmp_eq_u32 s0, 44
	s_cbranch_scc0 .LBB22_141
; %bb.68:
	global_load_u8 v2, v[0:1], off
	s_mov_b32 s14, 0
	s_mov_b32 s12, -1
	s_wait_loadcnt 0x0
	v_lshlrev_b32_e32 v3, 23, v2
	v_cmp_ne_u32_e32 vcc_lo, 0xff, v2
	s_delay_alu instid0(VALU_DEP_2) | instskip(NEXT) | instid1(VALU_DEP_1)
	v_cvt_f16_f32_e32 v3, v3
	v_cndmask_b32_e32 v3, 0x7e00, v3, vcc_lo
	v_cmp_ne_u32_e32 vcc_lo, 0, v2
	s_delay_alu instid0(VALU_DEP_2)
	v_cndmask_b32_e32 v2, 0, v3, vcc_lo
	s_branch .LBB22_142
.LBB22_69:
	s_mov_b32 s19, -1
.LBB22_70:
	s_delay_alu instid0(SALU_CYCLE_1)
	s_and_b32 vcc_lo, exec_lo, s19
	s_cbranch_vccz .LBB22_75
; %bb.71:
	s_cmp_eq_u32 s17, 44
	s_mov_b32 s0, -1
	s_cbranch_scc0 .LBB22_75
; %bb.72:
	s_wait_xcnt 0x0
	v_cvt_f32_f16_e32 v3, v2
	v_mov_b32_e32 v5, 0xff
	s_mov_b32 s18, exec_lo
	s_delay_alu instid0(VALU_DEP_2) | instskip(NEXT) | instid1(VALU_DEP_1)
	v_bfe_u32 v6, v3, 23, 8
	v_cmpx_ne_u32_e32 0xff, v6
	s_cbranch_execz .LBB22_74
; %bb.73:
	v_and_b32_e32 v5, 0x400000, v3
	v_and_or_b32 v6, 0x3fffff, v3, v6
	v_lshrrev_b32_e32 v3, 23, v3
	s_delay_alu instid0(VALU_DEP_3) | instskip(NEXT) | instid1(VALU_DEP_3)
	v_cmp_ne_u32_e32 vcc_lo, 0, v5
	v_cmp_ne_u32_e64 s0, 0, v6
	s_and_b32 s0, vcc_lo, s0
	s_delay_alu instid0(SALU_CYCLE_1) | instskip(NEXT) | instid1(VALU_DEP_1)
	v_cndmask_b32_e64 v5, 0, 1, s0
	v_add_nc_u32_e32 v5, v3, v5
.LBB22_74:
	s_or_b32 exec_lo, exec_lo, s18
	s_mov_b32 s18, -1
	s_mov_b32 s0, 0
	global_store_b8 v[0:1], v5, off
.LBB22_75:
	s_mov_b32 s19, 0
.LBB22_76:
	s_delay_alu instid0(SALU_CYCLE_1)
	s_and_b32 vcc_lo, exec_lo, s19
	s_cbranch_vccz .LBB22_79
; %bb.77:
	s_cmp_eq_u32 s17, 29
	s_mov_b32 s0, -1
	s_cbranch_scc0 .LBB22_79
; %bb.78:
	s_wait_xcnt 0x0
	v_cvt_f32_f16_e32 v3, v2
	v_mov_b32_e32 v7, 0
	s_mov_b32 s18, -1
	s_mov_b32 s0, 0
	s_mov_b32 s19, 0
	v_cvt_u32_f32_e32 v6, v3
	global_store_b64 v[0:1], v[6:7], off
	s_branch .LBB22_80
.LBB22_79:
	s_mov_b32 s19, 0
.LBB22_80:
	s_delay_alu instid0(SALU_CYCLE_1)
	s_and_b32 vcc_lo, exec_lo, s19
	s_cbranch_vccz .LBB22_96
; %bb.81:
	s_cmp_lt_i32 s17, 27
	s_mov_b32 s18, -1
	s_cbranch_scc1 .LBB22_87
; %bb.82:
	s_cmp_gt_i32 s17, 27
	s_cbranch_scc0 .LBB22_84
; %bb.83:
	s_wait_xcnt 0x0
	v_cvt_f32_f16_e32 v3, v2
	s_mov_b32 s18, 0
	s_delay_alu instid0(VALU_DEP_1)
	v_cvt_u32_f32_e32 v3, v3
	global_store_b32 v[0:1], v3, off
.LBB22_84:
	s_and_not1_b32 vcc_lo, exec_lo, s18
	s_cbranch_vccnz .LBB22_86
; %bb.85:
	s_wait_xcnt 0x0
	v_cvt_u16_f16_e32 v3, v2
	global_store_b16 v[0:1], v3, off
.LBB22_86:
	s_mov_b32 s18, 0
.LBB22_87:
	s_delay_alu instid0(SALU_CYCLE_1)
	s_and_not1_b32 vcc_lo, exec_lo, s18
	s_cbranch_vccnz .LBB22_95
; %bb.88:
	s_wait_xcnt 0x0
	v_cvt_f32_f16_e32 v3, v2
	v_mov_b32_e32 v6, 0x80
	s_mov_b32 s18, exec_lo
	s_delay_alu instid0(VALU_DEP_2) | instskip(NEXT) | instid1(VALU_DEP_1)
	v_and_b32_e32 v5, 0x7fffffff, v3
	v_cmpx_gt_u32_e32 0x43800000, v5
	s_cbranch_execz .LBB22_94
; %bb.89:
	v_cmp_lt_u32_e32 vcc_lo, 0x3bffffff, v5
	s_mov_b32 s19, 0
                                        ; implicit-def: $vgpr5
	s_and_saveexec_b32 s20, vcc_lo
	s_delay_alu instid0(SALU_CYCLE_1)
	s_xor_b32 s20, exec_lo, s20
	s_cbranch_execz .LBB22_318
; %bb.90:
	v_bfe_u32 v5, v3, 20, 1
	s_mov_b32 s19, exec_lo
	s_delay_alu instid0(VALU_DEP_1) | instskip(NEXT) | instid1(VALU_DEP_1)
	v_add3_u32 v5, v3, v5, 0x487ffff
	v_lshrrev_b32_e32 v5, 20, v5
	s_and_not1_saveexec_b32 s20, s20
	s_cbranch_execnz .LBB22_319
.LBB22_91:
	s_or_b32 exec_lo, exec_lo, s20
	v_mov_b32_e32 v6, 0
	s_and_saveexec_b32 s20, s19
.LBB22_92:
	v_lshrrev_b32_e32 v3, 24, v3
	s_delay_alu instid0(VALU_DEP_1)
	v_and_or_b32 v6, 0x80, v3, v5
.LBB22_93:
	s_or_b32 exec_lo, exec_lo, s20
.LBB22_94:
	s_delay_alu instid0(SALU_CYCLE_1)
	s_or_b32 exec_lo, exec_lo, s18
	global_store_b8 v[0:1], v6, off
.LBB22_95:
	s_mov_b32 s18, -1
.LBB22_96:
	s_mov_b32 s19, 0
.LBB22_97:
	s_delay_alu instid0(SALU_CYCLE_1)
	s_and_b32 vcc_lo, exec_lo, s19
	s_cbranch_vccz .LBB22_138
; %bb.98:
	s_cmp_gt_i32 s17, 22
	s_mov_b32 s19, -1
	s_cbranch_scc0 .LBB22_130
; %bb.99:
	s_cmp_lt_i32 s17, 24
	s_mov_b32 s18, -1
	s_cbranch_scc1 .LBB22_119
; %bb.100:
	s_cmp_gt_i32 s17, 24
	s_cbranch_scc0 .LBB22_108
; %bb.101:
	s_wait_xcnt 0x0
	v_cvt_f32_f16_e32 v3, v2
	v_mov_b32_e32 v6, 0x80
	s_mov_b32 s18, exec_lo
	s_delay_alu instid0(VALU_DEP_2) | instskip(NEXT) | instid1(VALU_DEP_1)
	v_and_b32_e32 v5, 0x7fffffff, v3
	v_cmpx_gt_u32_e32 0x47800000, v5
	s_cbranch_execz .LBB22_107
; %bb.102:
	v_cmp_lt_u32_e32 vcc_lo, 0x37ffffff, v5
	s_mov_b32 s19, 0
                                        ; implicit-def: $vgpr5
	s_and_saveexec_b32 s20, vcc_lo
	s_delay_alu instid0(SALU_CYCLE_1)
	s_xor_b32 s20, exec_lo, s20
	s_cbranch_execz .LBB22_322
; %bb.103:
	v_bfe_u32 v5, v3, 21, 1
	s_mov_b32 s19, exec_lo
	s_delay_alu instid0(VALU_DEP_1) | instskip(NEXT) | instid1(VALU_DEP_1)
	v_add3_u32 v5, v3, v5, 0x88fffff
	v_lshrrev_b32_e32 v5, 21, v5
	s_and_not1_saveexec_b32 s20, s20
	s_cbranch_execnz .LBB22_323
.LBB22_104:
	s_or_b32 exec_lo, exec_lo, s20
	v_mov_b32_e32 v6, 0
	s_and_saveexec_b32 s20, s19
.LBB22_105:
	v_lshrrev_b32_e32 v3, 24, v3
	s_delay_alu instid0(VALU_DEP_1)
	v_and_or_b32 v6, 0x80, v3, v5
.LBB22_106:
	s_or_b32 exec_lo, exec_lo, s20
.LBB22_107:
	s_delay_alu instid0(SALU_CYCLE_1)
	s_or_b32 exec_lo, exec_lo, s18
	s_mov_b32 s18, 0
	global_store_b8 v[0:1], v6, off
.LBB22_108:
	s_and_b32 vcc_lo, exec_lo, s18
	s_cbranch_vccz .LBB22_118
; %bb.109:
	s_wait_xcnt 0x0
	v_cvt_f32_f16_e32 v3, v2
	s_mov_b32 s18, exec_lo
                                        ; implicit-def: $vgpr5
	s_delay_alu instid0(VALU_DEP_1) | instskip(NEXT) | instid1(VALU_DEP_1)
	v_and_b32_e32 v6, 0x7fffffff, v3
	v_cmpx_gt_u32_e32 0x43f00000, v6
	s_xor_b32 s18, exec_lo, s18
	s_cbranch_execz .LBB22_115
; %bb.110:
	s_mov_b32 s19, exec_lo
                                        ; implicit-def: $vgpr5
	v_cmpx_lt_u32_e32 0x3c7fffff, v6
	s_xor_b32 s19, exec_lo, s19
; %bb.111:
	v_bfe_u32 v5, v3, 20, 1
	s_delay_alu instid0(VALU_DEP_1) | instskip(NEXT) | instid1(VALU_DEP_1)
	v_add3_u32 v5, v3, v5, 0x407ffff
	v_and_b32_e32 v6, 0xff00000, v5
	v_lshrrev_b32_e32 v5, 20, v5
	s_delay_alu instid0(VALU_DEP_2) | instskip(NEXT) | instid1(VALU_DEP_2)
	v_cmp_ne_u32_e32 vcc_lo, 0x7f00000, v6
	v_cndmask_b32_e32 v5, 0x7e, v5, vcc_lo
; %bb.112:
	s_and_not1_saveexec_b32 s19, s19
; %bb.113:
	v_add_f32_e64 v5, 0x46800000, |v3|
; %bb.114:
	s_or_b32 exec_lo, exec_lo, s19
                                        ; implicit-def: $vgpr6
.LBB22_115:
	s_and_not1_saveexec_b32 s18, s18
; %bb.116:
	v_mov_b32_e32 v5, 0x7f
	v_cmp_lt_u32_e32 vcc_lo, 0x7f800000, v6
	s_delay_alu instid0(VALU_DEP_2)
	v_cndmask_b32_e32 v5, 0x7e, v5, vcc_lo
; %bb.117:
	s_or_b32 exec_lo, exec_lo, s18
	v_lshrrev_b32_e32 v3, 24, v3
	s_delay_alu instid0(VALU_DEP_1)
	v_and_or_b32 v3, 0x80, v3, v5
	global_store_b8 v[0:1], v3, off
.LBB22_118:
	s_mov_b32 s18, 0
.LBB22_119:
	s_delay_alu instid0(SALU_CYCLE_1)
	s_and_not1_b32 vcc_lo, exec_lo, s18
	s_cbranch_vccnz .LBB22_129
; %bb.120:
	s_wait_xcnt 0x0
	v_cvt_f32_f16_e32 v3, v2
	s_mov_b32 s18, exec_lo
                                        ; implicit-def: $vgpr5
	s_delay_alu instid0(VALU_DEP_1) | instskip(NEXT) | instid1(VALU_DEP_1)
	v_and_b32_e32 v6, 0x7fffffff, v3
	v_cmpx_gt_u32_e32 0x47800000, v6
	s_xor_b32 s18, exec_lo, s18
	s_cbranch_execz .LBB22_126
; %bb.121:
	s_mov_b32 s19, exec_lo
                                        ; implicit-def: $vgpr5
	v_cmpx_lt_u32_e32 0x387fffff, v6
	s_xor_b32 s19, exec_lo, s19
; %bb.122:
	v_bfe_u32 v5, v3, 21, 1
	s_delay_alu instid0(VALU_DEP_1) | instskip(NEXT) | instid1(VALU_DEP_1)
	v_add3_u32 v5, v3, v5, 0x80fffff
	v_lshrrev_b32_e32 v5, 21, v5
; %bb.123:
	s_and_not1_saveexec_b32 s19, s19
; %bb.124:
	v_add_f32_e64 v5, 0x43000000, |v3|
; %bb.125:
	s_or_b32 exec_lo, exec_lo, s19
                                        ; implicit-def: $vgpr6
.LBB22_126:
	s_and_not1_saveexec_b32 s18, s18
; %bb.127:
	v_mov_b32_e32 v5, 0x7f
	v_cmp_lt_u32_e32 vcc_lo, 0x7f800000, v6
	s_delay_alu instid0(VALU_DEP_2)
	v_cndmask_b32_e32 v5, 0x7c, v5, vcc_lo
; %bb.128:
	s_or_b32 exec_lo, exec_lo, s18
	v_lshrrev_b32_e32 v3, 24, v3
	s_delay_alu instid0(VALU_DEP_1)
	v_and_or_b32 v3, 0x80, v3, v5
	global_store_b8 v[0:1], v3, off
.LBB22_129:
	s_mov_b32 s19, 0
	s_mov_b32 s18, -1
.LBB22_130:
	s_and_not1_b32 vcc_lo, exec_lo, s19
	s_cbranch_vccnz .LBB22_138
; %bb.131:
	s_cmp_gt_i32 s17, 14
	s_mov_b32 s19, -1
	s_cbranch_scc0 .LBB22_135
; %bb.132:
	s_cmp_eq_u32 s17, 15
	s_mov_b32 s0, -1
	s_cbranch_scc0 .LBB22_134
; %bb.133:
	s_wait_xcnt 0x0
	v_cvt_f32_f16_e32 v3, v2
	v_cmp_o_f16_e32 vcc_lo, v2, v2
	s_mov_b32 s18, -1
	s_mov_b32 s0, 0
	s_delay_alu instid0(VALU_DEP_2) | instskip(NEXT) | instid1(VALU_DEP_1)
	v_bfe_u32 v5, v3, 16, 1
	v_add3_u32 v3, v3, v5, 0x7fff
	s_delay_alu instid0(VALU_DEP_1) | instskip(NEXT) | instid1(VALU_DEP_1)
	v_lshrrev_b32_e32 v3, 16, v3
	v_cndmask_b32_e32 v3, 0x7fc0, v3, vcc_lo
	global_store_b16 v[0:1], v3, off
.LBB22_134:
	s_mov_b32 s19, 0
.LBB22_135:
	s_delay_alu instid0(SALU_CYCLE_1)
	s_and_b32 vcc_lo, exec_lo, s19
	s_cbranch_vccz .LBB22_138
; %bb.136:
	s_cmp_eq_u32 s17, 11
	s_mov_b32 s0, -1
	s_cbranch_scc0 .LBB22_138
; %bb.137:
	s_wait_xcnt 0x0
	v_and_b32_e32 v3, 0x7fff, v2
	s_mov_b32 s0, 0
	s_mov_b32 s18, -1
	s_delay_alu instid0(VALU_DEP_1)
	v_cmp_ne_u16_e32 vcc_lo, 0, v3
	v_cndmask_b32_e64 v3, 0, 1, vcc_lo
	global_store_b8 v[0:1], v3, off
.LBB22_138:
.LBB22_139:
	s_and_not1_b32 vcc_lo, exec_lo, s18
	s_cbranch_vccnz .LBB22_250
.LBB22_140:
	v_add_nc_u32_e32 v4, 0x80, v4
	s_mov_b32 s17, -1
	s_branch .LBB22_251
.LBB22_141:
	s_mov_b32 s14, -1
                                        ; implicit-def: $vgpr2
.LBB22_142:
	s_mov_b32 s17, 0
.LBB22_143:
	s_delay_alu instid0(SALU_CYCLE_1)
	s_and_b32 vcc_lo, exec_lo, s17
	s_cbranch_vccz .LBB22_147
; %bb.144:
	s_cmp_eq_u32 s0, 29
	s_cbranch_scc0 .LBB22_146
; %bb.145:
	global_load_b64 v[2:3], v[0:1], off
	s_mov_b32 s12, -1
	s_mov_b32 s14, 0
	s_mov_b32 s17, 0
	s_wait_loadcnt 0x0
	v_clz_i32_u32_e32 v5, v3
	s_delay_alu instid0(VALU_DEP_1) | instskip(NEXT) | instid1(VALU_DEP_1)
	v_min_u32_e32 v5, 32, v5
	v_lshlrev_b64_e32 v[2:3], v5, v[2:3]
	s_delay_alu instid0(VALU_DEP_1) | instskip(NEXT) | instid1(VALU_DEP_1)
	v_min_u32_e32 v2, 1, v2
	v_dual_sub_nc_u32 v3, 32, v5 :: v_dual_bitop2_b32 v2, v3, v2 bitop3:0x54
	s_delay_alu instid0(VALU_DEP_1) | instskip(NEXT) | instid1(VALU_DEP_1)
	v_cvt_f32_u32_e32 v2, v2
	v_ldexp_f32 v2, v2, v3
	s_delay_alu instid0(VALU_DEP_1)
	v_cvt_f16_f32_e32 v2, v2
	s_branch .LBB22_148
.LBB22_146:
	s_mov_b32 s14, -1
                                        ; implicit-def: $vgpr2
.LBB22_147:
	s_mov_b32 s17, 0
.LBB22_148:
	s_delay_alu instid0(SALU_CYCLE_1)
	s_and_b32 vcc_lo, exec_lo, s17
	s_cbranch_vccz .LBB22_166
; %bb.149:
	s_cmp_lt_i32 s0, 27
	s_cbranch_scc1 .LBB22_152
; %bb.150:
	s_cmp_gt_i32 s0, 27
	s_cbranch_scc0 .LBB22_153
; %bb.151:
	global_load_b32 v2, v[0:1], off
	s_mov_b32 s12, 0
	s_wait_loadcnt 0x0
	v_cvt_f32_u32_e32 v2, v2
	s_delay_alu instid0(VALU_DEP_1)
	v_cvt_f16_f32_e32 v2, v2
	s_branch .LBB22_154
.LBB22_152:
	s_mov_b32 s12, -1
                                        ; implicit-def: $vgpr2
	s_branch .LBB22_157
.LBB22_153:
	s_mov_b32 s12, -1
                                        ; implicit-def: $vgpr2
.LBB22_154:
	s_delay_alu instid0(SALU_CYCLE_1)
	s_and_not1_b32 vcc_lo, exec_lo, s12
	s_cbranch_vccnz .LBB22_156
; %bb.155:
	global_load_u16 v2, v[0:1], off
	s_wait_loadcnt 0x0
	v_cvt_f16_u16_e32 v2, v2
.LBB22_156:
	s_mov_b32 s12, 0
.LBB22_157:
	s_delay_alu instid0(SALU_CYCLE_1)
	s_and_not1_b32 vcc_lo, exec_lo, s12
	s_cbranch_vccnz .LBB22_165
; %bb.158:
	global_load_u8 v3, v[0:1], off
	s_mov_b32 s12, 0
	s_mov_b32 s17, exec_lo
	s_wait_loadcnt 0x0
	v_cmpx_lt_i16_e32 0x7f, v3
	s_xor_b32 s17, exec_lo, s17
	s_cbranch_execz .LBB22_178
; %bb.159:
	s_mov_b32 s12, -1
	s_mov_b32 s18, exec_lo
	v_cmpx_eq_u16_e32 0x80, v3
; %bb.160:
	s_xor_b32 s12, exec_lo, -1
; %bb.161:
	s_or_b32 exec_lo, exec_lo, s18
	s_delay_alu instid0(SALU_CYCLE_1)
	s_and_b32 s12, s12, exec_lo
	s_or_saveexec_b32 s17, s17
	v_mov_b32_e32 v2, 0x7e00
	s_xor_b32 exec_lo, exec_lo, s17
	s_cbranch_execnz .LBB22_179
.LBB22_162:
	s_or_b32 exec_lo, exec_lo, s17
	s_and_saveexec_b32 s17, s12
	s_cbranch_execz .LBB22_164
.LBB22_163:
	v_and_b32_e32 v2, 0xffff, v3
	s_delay_alu instid0(VALU_DEP_1) | instskip(SKIP_1) | instid1(VALU_DEP_2)
	v_dual_lshlrev_b32 v3, 24, v3 :: v_dual_bitop2_b32 v5, 7, v2 bitop3:0x40
	v_bfe_u32 v8, v2, 3, 4
	v_and_b32_e32 v3, 0x80000000, v3
	s_delay_alu instid0(VALU_DEP_3) | instskip(NEXT) | instid1(VALU_DEP_3)
	v_clz_i32_u32_e32 v6, v5
	v_cmp_eq_u32_e32 vcc_lo, 0, v8
	s_delay_alu instid0(VALU_DEP_2) | instskip(NEXT) | instid1(VALU_DEP_1)
	v_min_u32_e32 v6, 32, v6
	v_subrev_nc_u32_e32 v7, 28, v6
	v_sub_nc_u32_e32 v6, 29, v6
	s_delay_alu instid0(VALU_DEP_2) | instskip(NEXT) | instid1(VALU_DEP_2)
	v_lshlrev_b32_e32 v2, v7, v2
	v_cndmask_b32_e32 v6, v8, v6, vcc_lo
	s_delay_alu instid0(VALU_DEP_2) | instskip(NEXT) | instid1(VALU_DEP_1)
	v_and_b32_e32 v2, 7, v2
	v_cndmask_b32_e32 v2, v5, v2, vcc_lo
	s_delay_alu instid0(VALU_DEP_3) | instskip(NEXT) | instid1(VALU_DEP_2)
	v_lshl_add_u32 v5, v6, 23, 0x3b800000
	v_lshlrev_b32_e32 v2, 20, v2
	s_delay_alu instid0(VALU_DEP_1) | instskip(NEXT) | instid1(VALU_DEP_1)
	v_or3_b32 v2, v3, v5, v2
	v_cvt_f16_f32_e32 v2, v2
.LBB22_164:
	s_or_b32 exec_lo, exec_lo, s17
.LBB22_165:
	s_mov_b32 s12, -1
.LBB22_166:
	s_branch .LBB22_201
.LBB22_167:
	s_cmp_gt_i32 s0, 22
	s_cbranch_scc0 .LBB22_177
; %bb.168:
	s_cmp_lt_i32 s0, 24
	s_cbranch_scc1 .LBB22_180
; %bb.169:
	s_cmp_gt_i32 s0, 24
	s_cbranch_scc0 .LBB22_181
; %bb.170:
	global_load_u8 v3, v[0:1], off
	s_mov_b32 s12, 0
	s_mov_b32 s17, exec_lo
	s_wait_loadcnt 0x0
	v_cmpx_lt_i16_e32 0x7f, v3
	s_xor_b32 s17, exec_lo, s17
	s_cbranch_execz .LBB22_193
; %bb.171:
	s_mov_b32 s12, -1
	s_mov_b32 s18, exec_lo
	v_cmpx_eq_u16_e32 0x80, v3
; %bb.172:
	s_xor_b32 s12, exec_lo, -1
; %bb.173:
	s_or_b32 exec_lo, exec_lo, s18
	s_delay_alu instid0(SALU_CYCLE_1)
	s_and_b32 s12, s12, exec_lo
	s_or_saveexec_b32 s17, s17
	v_mov_b32_e32 v2, 0x7e00
	s_xor_b32 exec_lo, exec_lo, s17
	s_cbranch_execnz .LBB22_194
.LBB22_174:
	s_or_b32 exec_lo, exec_lo, s17
	s_and_saveexec_b32 s17, s12
	s_cbranch_execz .LBB22_176
.LBB22_175:
	v_and_b32_e32 v2, 0xffff, v3
	s_delay_alu instid0(VALU_DEP_1) | instskip(SKIP_1) | instid1(VALU_DEP_2)
	v_dual_lshlrev_b32 v3, 24, v3 :: v_dual_bitop2_b32 v5, 3, v2 bitop3:0x40
	v_bfe_u32 v8, v2, 2, 5
	v_and_b32_e32 v3, 0x80000000, v3
	s_delay_alu instid0(VALU_DEP_3) | instskip(NEXT) | instid1(VALU_DEP_3)
	v_clz_i32_u32_e32 v6, v5
	v_cmp_eq_u32_e32 vcc_lo, 0, v8
	s_delay_alu instid0(VALU_DEP_2) | instskip(NEXT) | instid1(VALU_DEP_1)
	v_min_u32_e32 v6, 32, v6
	v_subrev_nc_u32_e32 v7, 29, v6
	v_sub_nc_u32_e32 v6, 30, v6
	s_delay_alu instid0(VALU_DEP_2) | instskip(NEXT) | instid1(VALU_DEP_2)
	v_lshlrev_b32_e32 v2, v7, v2
	v_cndmask_b32_e32 v6, v8, v6, vcc_lo
	s_delay_alu instid0(VALU_DEP_2) | instskip(NEXT) | instid1(VALU_DEP_1)
	v_and_b32_e32 v2, 3, v2
	v_cndmask_b32_e32 v2, v5, v2, vcc_lo
	s_delay_alu instid0(VALU_DEP_3) | instskip(NEXT) | instid1(VALU_DEP_2)
	v_lshl_add_u32 v5, v6, 23, 0x37800000
	v_lshlrev_b32_e32 v2, 21, v2
	s_delay_alu instid0(VALU_DEP_1) | instskip(NEXT) | instid1(VALU_DEP_1)
	v_or3_b32 v2, v3, v5, v2
	v_cvt_f16_f32_e32 v2, v2
.LBB22_176:
	s_or_b32 exec_lo, exec_lo, s17
	s_mov_b32 s12, 0
	s_branch .LBB22_182
.LBB22_177:
	s_mov_b32 s17, -1
                                        ; implicit-def: $vgpr2
	s_branch .LBB22_188
.LBB22_178:
	s_or_saveexec_b32 s17, s17
	v_mov_b32_e32 v2, 0x7e00
	s_xor_b32 exec_lo, exec_lo, s17
	s_cbranch_execz .LBB22_162
.LBB22_179:
	v_cmp_ne_u16_e32 vcc_lo, 0, v3
	v_mov_b32_e32 v2, v3
	s_and_not1_b32 s12, s12, exec_lo
	s_and_b32 s18, vcc_lo, exec_lo
	s_delay_alu instid0(SALU_CYCLE_1)
	s_or_b32 s12, s12, s18
	s_or_b32 exec_lo, exec_lo, s17
	s_and_saveexec_b32 s17, s12
	s_cbranch_execnz .LBB22_163
	s_branch .LBB22_164
.LBB22_180:
	s_mov_b32 s12, -1
                                        ; implicit-def: $vgpr2
	s_branch .LBB22_185
.LBB22_181:
	s_mov_b32 s12, -1
                                        ; implicit-def: $vgpr2
.LBB22_182:
	s_delay_alu instid0(SALU_CYCLE_1)
	s_and_b32 vcc_lo, exec_lo, s12
	s_cbranch_vccz .LBB22_184
; %bb.183:
	global_load_u8 v2, v[0:1], off
	s_wait_loadcnt 0x0
	v_lshlrev_b32_e32 v2, 24, v2
	s_delay_alu instid0(VALU_DEP_1) | instskip(NEXT) | instid1(VALU_DEP_1)
	v_and_b32_e32 v3, 0x7f000000, v2
	v_clz_i32_u32_e32 v5, v3
	v_add_nc_u32_e32 v7, 0x1000000, v3
	v_cmp_ne_u32_e32 vcc_lo, 0, v3
	s_delay_alu instid0(VALU_DEP_3) | instskip(NEXT) | instid1(VALU_DEP_1)
	v_min_u32_e32 v5, 32, v5
	v_sub_nc_u32_e64 v5, v5, 4 clamp
	s_delay_alu instid0(VALU_DEP_1) | instskip(NEXT) | instid1(VALU_DEP_1)
	v_dual_lshlrev_b32 v6, v5, v3 :: v_dual_lshlrev_b32 v5, 23, v5
	v_lshrrev_b32_e32 v6, 4, v6
	s_delay_alu instid0(VALU_DEP_1) | instskip(NEXT) | instid1(VALU_DEP_1)
	v_dual_sub_nc_u32 v5, v6, v5 :: v_dual_ashrrev_i32 v6, 8, v7
	v_add_nc_u32_e32 v5, 0x3c000000, v5
	s_delay_alu instid0(VALU_DEP_1) | instskip(NEXT) | instid1(VALU_DEP_1)
	v_and_or_b32 v5, 0x7f800000, v6, v5
	v_cndmask_b32_e32 v3, 0, v5, vcc_lo
	s_delay_alu instid0(VALU_DEP_1) | instskip(NEXT) | instid1(VALU_DEP_1)
	v_and_or_b32 v2, 0x80000000, v2, v3
	v_cvt_f16_f32_e32 v2, v2
.LBB22_184:
	s_mov_b32 s12, 0
.LBB22_185:
	s_delay_alu instid0(SALU_CYCLE_1)
	s_and_not1_b32 vcc_lo, exec_lo, s12
	s_cbranch_vccnz .LBB22_187
; %bb.186:
	global_load_u8 v2, v[0:1], off
	s_wait_loadcnt 0x0
	v_lshlrev_b32_e32 v3, 25, v2
	v_lshlrev_b16 v2, 8, v2
	s_delay_alu instid0(VALU_DEP_2) | instskip(NEXT) | instid1(VALU_DEP_2)
	v_cmp_gt_u32_e32 vcc_lo, 0x8000000, v3
	v_and_or_b32 v6, 0x7f00, v2, 0.5
	v_lshrrev_b32_e32 v5, 4, v3
	v_bfe_i32 v2, v2, 0, 16
	s_delay_alu instid0(VALU_DEP_3) | instskip(NEXT) | instid1(VALU_DEP_3)
	v_add_f32_e32 v6, -0.5, v6
	v_or_b32_e32 v5, 0x70000000, v5
	s_delay_alu instid0(VALU_DEP_1) | instskip(NEXT) | instid1(VALU_DEP_1)
	v_mul_f32_e32 v5, 0x7800000, v5
	v_cndmask_b32_e32 v3, v5, v6, vcc_lo
	s_delay_alu instid0(VALU_DEP_1) | instskip(NEXT) | instid1(VALU_DEP_1)
	v_and_or_b32 v2, 0x80000000, v2, v3
	v_cvt_f16_f32_e32 v2, v2
.LBB22_187:
	s_mov_b32 s17, 0
	s_mov_b32 s12, -1
.LBB22_188:
	s_and_not1_b32 vcc_lo, exec_lo, s17
	s_cbranch_vccnz .LBB22_201
; %bb.189:
	s_cmp_gt_i32 s0, 14
	s_cbranch_scc0 .LBB22_192
; %bb.190:
	s_cmp_eq_u32 s0, 15
	s_cbranch_scc0 .LBB22_195
; %bb.191:
	global_load_u16 v2, v[0:1], off
	s_mov_b32 s12, -1
	s_mov_b32 s14, 0
	s_wait_loadcnt 0x0
	v_lshlrev_b32_e32 v2, 16, v2
	s_delay_alu instid0(VALU_DEP_1)
	v_cvt_f16_f32_e32 v2, v2
	s_branch .LBB22_196
.LBB22_192:
	s_mov_b32 s17, -1
                                        ; implicit-def: $vgpr2
	s_branch .LBB22_197
.LBB22_193:
	s_or_saveexec_b32 s17, s17
	v_mov_b32_e32 v2, 0x7e00
	s_xor_b32 exec_lo, exec_lo, s17
	s_cbranch_execz .LBB22_174
.LBB22_194:
	v_cmp_ne_u16_e32 vcc_lo, 0, v3
	v_mov_b32_e32 v2, v3
	s_and_not1_b32 s12, s12, exec_lo
	s_and_b32 s18, vcc_lo, exec_lo
	s_delay_alu instid0(SALU_CYCLE_1)
	s_or_b32 s12, s12, s18
	s_or_b32 exec_lo, exec_lo, s17
	s_and_saveexec_b32 s17, s12
	s_cbranch_execnz .LBB22_175
	s_branch .LBB22_176
.LBB22_195:
	s_mov_b32 s14, -1
                                        ; implicit-def: $vgpr2
.LBB22_196:
	s_mov_b32 s17, 0
.LBB22_197:
	s_delay_alu instid0(SALU_CYCLE_1)
	s_and_b32 vcc_lo, exec_lo, s17
	s_cbranch_vccz .LBB22_201
; %bb.198:
	s_cmp_eq_u32 s0, 11
	s_cbranch_scc0 .LBB22_200
; %bb.199:
	global_load_u8 v2, v[0:1], off
	s_mov_b32 s14, 0
	s_mov_b32 s12, -1
	s_wait_loadcnt 0x0
	v_cmp_ne_u16_e32 vcc_lo, 0, v2
	v_cndmask_b32_e64 v2, 0, 0x3c00, vcc_lo
	s_branch .LBB22_201
.LBB22_200:
	s_mov_b32 s14, -1
                                        ; implicit-def: $vgpr2
.LBB22_201:
	s_branch .LBB22_10
.LBB22_202:
	s_cmp_lt_i32 s0, 5
	s_cbranch_scc1 .LBB22_207
; %bb.203:
	s_cmp_lt_i32 s0, 8
	s_cbranch_scc1 .LBB22_208
; %bb.204:
	;; [unrolled: 3-line block ×3, first 2 shown]
	s_cmp_gt_i32 s0, 9
	s_cbranch_scc0 .LBB22_210
; %bb.206:
	global_load_b64 v[2:3], v[0:1], off
	s_mov_b32 s12, 0
	s_wait_loadcnt 0x0
	v_and_or_b32 v2, 0x1ff, v3, v2
	v_lshrrev_b32_e32 v5, 8, v3
	v_bfe_u32 v6, v3, 20, 11
	v_lshrrev_b32_e32 v3, 16, v3
	s_delay_alu instid0(VALU_DEP_4) | instskip(NEXT) | instid1(VALU_DEP_3)
	v_cmp_ne_u32_e32 vcc_lo, 0, v2
	v_sub_nc_u32_e32 v7, 0x3f1, v6
	v_add_nc_u32_e32 v6, 0xfffffc10, v6
	v_cndmask_b32_e64 v2, 0, 1, vcc_lo
	s_delay_alu instid0(VALU_DEP_1) | instskip(NEXT) | instid1(VALU_DEP_4)
	v_and_or_b32 v2, 0xffe, v5, v2
	v_med3_i32 v5, v7, 0, 13
	s_delay_alu instid0(VALU_DEP_2) | instskip(NEXT) | instid1(VALU_DEP_1)
	v_or_b32_e32 v7, 0x1000, v2
	v_lshrrev_b32_e32 v8, v5, v7
	s_delay_alu instid0(VALU_DEP_1) | instskip(NEXT) | instid1(VALU_DEP_1)
	v_lshlrev_b32_e32 v5, v5, v8
	v_cmp_ne_u32_e32 vcc_lo, v5, v7
	v_lshl_or_b32 v7, v6, 12, v2
	v_cndmask_b32_e64 v5, 0, 1, vcc_lo
	v_cmp_gt_i32_e32 vcc_lo, 1, v6
	s_delay_alu instid0(VALU_DEP_2) | instskip(NEXT) | instid1(VALU_DEP_1)
	v_or_b32_e32 v5, v8, v5
	v_cndmask_b32_e32 v5, v7, v5, vcc_lo
	s_delay_alu instid0(VALU_DEP_1) | instskip(NEXT) | instid1(VALU_DEP_1)
	v_dual_lshrrev_b32 v5, 2, v5 :: v_dual_bitop2_b32 v7, 7, v5 bitop3:0x40
	v_cmp_lt_i32_e32 vcc_lo, 5, v7
	v_cndmask_b32_e64 v8, 0, 1, vcc_lo
	v_cmp_eq_u32_e32 vcc_lo, 3, v7
	v_cndmask_b32_e64 v7, 0, 1, vcc_lo
	v_cmp_ne_u32_e32 vcc_lo, 0, v2
	s_delay_alu instid0(VALU_DEP_2) | instskip(NEXT) | instid1(VALU_DEP_1)
	v_or_b32_e32 v7, v7, v8
	v_dual_mov_b32 v8, 0x7e00 :: v_dual_add_nc_u32 v5, v5, v7
	s_delay_alu instid0(VALU_DEP_1) | instskip(SKIP_1) | instid1(VALU_DEP_3)
	v_cndmask_b32_e32 v2, 0x7c00, v8, vcc_lo
	v_cmp_gt_i32_e32 vcc_lo, 31, v6
	v_cndmask_b32_e32 v5, 0x7c00, v5, vcc_lo
	v_cmp_eq_u32_e32 vcc_lo, 0x40f, v6
	s_delay_alu instid0(VALU_DEP_2) | instskip(NEXT) | instid1(VALU_DEP_1)
	v_cndmask_b32_e32 v2, v5, v2, vcc_lo
	v_and_or_b32 v2, 0x8000, v3, v2
	s_branch .LBB22_211
.LBB22_207:
                                        ; implicit-def: $vgpr2
	s_branch .LBB22_229
.LBB22_208:
	s_mov_b32 s12, -1
                                        ; implicit-def: $vgpr2
	s_branch .LBB22_217
.LBB22_209:
	s_mov_b32 s12, -1
                                        ; implicit-def: $vgpr2
	s_branch .LBB22_214
.LBB22_210:
	s_mov_b32 s12, -1
                                        ; implicit-def: $vgpr2
.LBB22_211:
	s_delay_alu instid0(SALU_CYCLE_1)
	s_and_not1_b32 vcc_lo, exec_lo, s12
	s_cbranch_vccnz .LBB22_213
; %bb.212:
	global_load_b32 v2, v[0:1], off
	s_wait_loadcnt 0x0
	v_cvt_f16_f32_e32 v2, v2
.LBB22_213:
	s_mov_b32 s12, 0
.LBB22_214:
	s_delay_alu instid0(SALU_CYCLE_1)
	s_and_not1_b32 vcc_lo, exec_lo, s12
	s_cbranch_vccnz .LBB22_216
; %bb.215:
	global_load_b32 v2, v[0:1], off
.LBB22_216:
	s_mov_b32 s12, 0
.LBB22_217:
	s_delay_alu instid0(SALU_CYCLE_1)
	s_and_not1_b32 vcc_lo, exec_lo, s12
	s_cbranch_vccnz .LBB22_228
; %bb.218:
	s_cmp_lt_i32 s0, 6
	s_cbranch_scc1 .LBB22_221
; %bb.219:
	s_cmp_gt_i32 s0, 6
	s_cbranch_scc0 .LBB22_222
; %bb.220:
	s_wait_loadcnt 0x0
	global_load_b64 v[2:3], v[0:1], off
	s_mov_b32 s12, 0
	s_wait_loadcnt 0x0
	v_and_or_b32 v2, 0x1ff, v3, v2
	v_lshrrev_b32_e32 v5, 8, v3
	v_bfe_u32 v6, v3, 20, 11
	v_lshrrev_b32_e32 v3, 16, v3
	s_delay_alu instid0(VALU_DEP_4) | instskip(NEXT) | instid1(VALU_DEP_3)
	v_cmp_ne_u32_e32 vcc_lo, 0, v2
	v_sub_nc_u32_e32 v7, 0x3f1, v6
	v_add_nc_u32_e32 v6, 0xfffffc10, v6
	v_cndmask_b32_e64 v2, 0, 1, vcc_lo
	s_delay_alu instid0(VALU_DEP_1) | instskip(NEXT) | instid1(VALU_DEP_4)
	v_and_or_b32 v2, 0xffe, v5, v2
	v_med3_i32 v5, v7, 0, 13
	s_delay_alu instid0(VALU_DEP_2) | instskip(NEXT) | instid1(VALU_DEP_1)
	v_or_b32_e32 v7, 0x1000, v2
	v_lshrrev_b32_e32 v8, v5, v7
	s_delay_alu instid0(VALU_DEP_1) | instskip(NEXT) | instid1(VALU_DEP_1)
	v_lshlrev_b32_e32 v5, v5, v8
	v_cmp_ne_u32_e32 vcc_lo, v5, v7
	v_lshl_or_b32 v7, v6, 12, v2
	v_cndmask_b32_e64 v5, 0, 1, vcc_lo
	v_cmp_gt_i32_e32 vcc_lo, 1, v6
	s_delay_alu instid0(VALU_DEP_2) | instskip(NEXT) | instid1(VALU_DEP_1)
	v_or_b32_e32 v5, v8, v5
	v_cndmask_b32_e32 v5, v7, v5, vcc_lo
	s_delay_alu instid0(VALU_DEP_1) | instskip(NEXT) | instid1(VALU_DEP_1)
	v_dual_lshrrev_b32 v5, 2, v5 :: v_dual_bitop2_b32 v7, 7, v5 bitop3:0x40
	v_cmp_lt_i32_e32 vcc_lo, 5, v7
	v_cndmask_b32_e64 v8, 0, 1, vcc_lo
	v_cmp_eq_u32_e32 vcc_lo, 3, v7
	v_cndmask_b32_e64 v7, 0, 1, vcc_lo
	v_cmp_ne_u32_e32 vcc_lo, 0, v2
	s_delay_alu instid0(VALU_DEP_2) | instskip(NEXT) | instid1(VALU_DEP_1)
	v_or_b32_e32 v7, v7, v8
	v_dual_mov_b32 v8, 0x7e00 :: v_dual_add_nc_u32 v5, v5, v7
	s_delay_alu instid0(VALU_DEP_1) | instskip(SKIP_1) | instid1(VALU_DEP_3)
	v_cndmask_b32_e32 v2, 0x7c00, v8, vcc_lo
	v_cmp_gt_i32_e32 vcc_lo, 31, v6
	v_cndmask_b32_e32 v5, 0x7c00, v5, vcc_lo
	v_cmp_eq_u32_e32 vcc_lo, 0x40f, v6
	s_delay_alu instid0(VALU_DEP_2) | instskip(NEXT) | instid1(VALU_DEP_1)
	v_cndmask_b32_e32 v2, v5, v2, vcc_lo
	v_and_or_b32 v2, 0x8000, v3, v2
	s_branch .LBB22_223
.LBB22_221:
	s_mov_b32 s12, -1
                                        ; implicit-def: $vgpr2
	s_branch .LBB22_226
.LBB22_222:
	s_mov_b32 s12, -1
                                        ; implicit-def: $vgpr2
.LBB22_223:
	s_delay_alu instid0(SALU_CYCLE_1)
	s_and_not1_b32 vcc_lo, exec_lo, s12
	s_cbranch_vccnz .LBB22_225
; %bb.224:
	s_wait_loadcnt 0x0
	global_load_b32 v2, v[0:1], off
	s_wait_loadcnt 0x0
	v_cvt_f16_f32_e32 v2, v2
.LBB22_225:
	s_mov_b32 s12, 0
.LBB22_226:
	s_delay_alu instid0(SALU_CYCLE_1)
	s_and_not1_b32 vcc_lo, exec_lo, s12
	s_cbranch_vccnz .LBB22_228
; %bb.227:
	s_wait_loadcnt 0x0
	global_load_u16 v2, v[0:1], off
.LBB22_228:
	s_cbranch_execnz .LBB22_248
.LBB22_229:
	s_cmp_lt_i32 s0, 2
	s_cbranch_scc1 .LBB22_233
; %bb.230:
	s_cmp_lt_i32 s0, 3
	s_cbranch_scc1 .LBB22_234
; %bb.231:
	s_cmp_gt_i32 s0, 3
	s_cbranch_scc0 .LBB22_235
; %bb.232:
	s_wait_loadcnt 0x0
	global_load_b64 v[2:3], v[0:1], off
	s_mov_b32 s12, 0
	s_wait_loadcnt 0x0
	v_xor_b32_e32 v5, v2, v3
	v_cls_i32_e32 v6, v3
	s_delay_alu instid0(VALU_DEP_2) | instskip(NEXT) | instid1(VALU_DEP_1)
	v_ashrrev_i32_e32 v5, 31, v5
	v_add_nc_u32_e32 v5, 32, v5
	s_delay_alu instid0(VALU_DEP_1) | instskip(NEXT) | instid1(VALU_DEP_1)
	v_add_min_u32_e64 v5, v6, -1, v5
	v_lshlrev_b64_e32 v[2:3], v5, v[2:3]
	s_delay_alu instid0(VALU_DEP_1) | instskip(NEXT) | instid1(VALU_DEP_1)
	v_min_u32_e32 v2, 1, v2
	v_dual_sub_nc_u32 v3, 32, v5 :: v_dual_bitop2_b32 v2, v3, v2 bitop3:0x54
	s_delay_alu instid0(VALU_DEP_1) | instskip(NEXT) | instid1(VALU_DEP_1)
	v_cvt_f32_i32_e32 v2, v2
	v_ldexp_f32 v2, v2, v3
	s_delay_alu instid0(VALU_DEP_1)
	v_cvt_f16_f32_e32 v2, v2
	s_branch .LBB22_236
.LBB22_233:
	s_mov_b32 s12, -1
                                        ; implicit-def: $vgpr2
	s_branch .LBB22_242
.LBB22_234:
	s_mov_b32 s12, -1
                                        ; implicit-def: $vgpr2
	s_branch .LBB22_239
.LBB22_235:
	s_mov_b32 s12, -1
                                        ; implicit-def: $vgpr2
.LBB22_236:
	s_delay_alu instid0(SALU_CYCLE_1)
	s_and_not1_b32 vcc_lo, exec_lo, s12
	s_cbranch_vccnz .LBB22_238
; %bb.237:
	s_wait_loadcnt 0x0
	global_load_b32 v2, v[0:1], off
	s_wait_loadcnt 0x0
	v_cvt_f32_i32_e32 v2, v2
	s_delay_alu instid0(VALU_DEP_1)
	v_cvt_f16_f32_e32 v2, v2
.LBB22_238:
	s_mov_b32 s12, 0
.LBB22_239:
	s_delay_alu instid0(SALU_CYCLE_1)
	s_and_not1_b32 vcc_lo, exec_lo, s12
	s_cbranch_vccnz .LBB22_241
; %bb.240:
	s_wait_loadcnt 0x0
	global_load_u16 v2, v[0:1], off
	s_wait_loadcnt 0x0
	v_cvt_f16_i16_e32 v2, v2
.LBB22_241:
	s_mov_b32 s12, 0
.LBB22_242:
	s_delay_alu instid0(SALU_CYCLE_1)
	s_and_not1_b32 vcc_lo, exec_lo, s12
	s_cbranch_vccnz .LBB22_248
; %bb.243:
	s_cmp_gt_i32 s0, 0
	s_mov_b32 s0, 0
	s_cbranch_scc0 .LBB22_245
; %bb.244:
	s_wait_loadcnt 0x0
	global_load_i8 v2, v[0:1], off
	s_wait_loadcnt 0x0
	v_cvt_f16_i16_e32 v2, v2
	s_branch .LBB22_246
.LBB22_245:
	s_mov_b32 s0, -1
                                        ; implicit-def: $vgpr2
.LBB22_246:
	s_delay_alu instid0(SALU_CYCLE_1)
	s_and_not1_b32 vcc_lo, exec_lo, s0
	s_cbranch_vccnz .LBB22_248
; %bb.247:
	global_load_u8 v0, v[0:1], off
	s_wait_loadcnt 0x0
	v_cvt_f16_u16_e32 v2, v0
.LBB22_248:
	s_branch .LBB22_11
.LBB22_249:
	s_mov_b32 s0, 0
.LBB22_250:
	s_mov_b32 s17, 0
                                        ; implicit-def: $vgpr4
.LBB22_251:
	s_and_b32 s12, s0, exec_lo
	s_and_b32 s14, s14, exec_lo
	s_or_not1_b32 s18, s17, exec_lo
.LBB22_252:
	s_wait_xcnt 0x0
	s_or_b32 exec_lo, exec_lo, s15
	s_mov_b32 s17, 0
	s_mov_b32 s0, 0
                                        ; implicit-def: $vgpr0_vgpr1
                                        ; implicit-def: $vgpr3
	s_and_saveexec_b32 s15, s18
	s_cbranch_execz .LBB22_261
; %bb.253:
	s_mov_b32 s0, -1
	s_mov_b32 s16, s14
	s_mov_b32 s17, s12
	s_mov_b32 s18, exec_lo
	v_cmpx_gt_i32_e64 s13, v4
	s_cbranch_execz .LBB22_514
; %bb.254:
	v_mul_lo_u32 v0, v4, s9
	s_and_b32 s0, 0xffff, s3
	s_delay_alu instid0(SALU_CYCLE_1) | instskip(NEXT) | instid1(VALU_DEP_1)
	s_cmp_lt_i32 s0, 11
	v_ashrrev_i32_e32 v1, 31, v0
	s_delay_alu instid0(VALU_DEP_1)
	v_add_nc_u64_e32 v[0:1], s[6:7], v[0:1]
	s_cbranch_scc1 .LBB22_264
; %bb.255:
	s_cmp_gt_i32 s0, 25
	s_cbranch_scc0 .LBB22_313
; %bb.256:
	s_cmp_gt_i32 s0, 28
	s_cbranch_scc0 .LBB22_314
	;; [unrolled: 3-line block ×4, first 2 shown]
; %bb.259:
	s_cmp_eq_u32 s0, 46
	s_mov_b32 s19, 0
	s_cbranch_scc0 .LBB22_324
; %bb.260:
	s_wait_loadcnt 0x0
	global_load_b32 v2, v[0:1], off
	s_mov_b32 s17, -1
	s_mov_b32 s16, 0
	s_wait_loadcnt 0x0
	v_lshlrev_b32_e32 v2, 16, v2
	s_delay_alu instid0(VALU_DEP_1)
	v_cvt_f16_f32_e32 v2, v2
	s_branch .LBB22_326
.LBB22_261:
	s_or_b32 exec_lo, exec_lo, s15
	s_mov_b32 s13, 0
	s_and_saveexec_b32 s15, s14
	s_cbranch_execnz .LBB22_861
.LBB22_262:
	s_or_b32 exec_lo, exec_lo, s15
	s_and_saveexec_b32 s14, s16
	s_delay_alu instid0(SALU_CYCLE_1)
	s_xor_b32 s14, exec_lo, s14
	s_cbranch_execz .LBB22_862
.LBB22_263:
	s_wait_loadcnt 0x0
	global_load_u8 v2, v[0:1], off
	s_or_b32 s0, s0, exec_lo
	s_wait_loadcnt 0x0
	v_cmp_ne_u16_e32 vcc_lo, 0, v2
	v_cndmask_b32_e64 v3, 0, 0x3c00, vcc_lo
	s_wait_xcnt 0x0
	s_or_b32 exec_lo, exec_lo, s14
	s_and_saveexec_b32 s14, s17
	s_cbranch_execz .LBB22_908
	s_branch .LBB22_863
.LBB22_264:
	s_mov_b32 s17, 0
	s_mov_b32 s16, s14
                                        ; implicit-def: $vgpr2
	s_cbranch_execnz .LBB22_463
.LBB22_265:
	s_and_not1_b32 vcc_lo, exec_lo, s17
	s_cbranch_vccnz .LBB22_511
.LBB22_266:
	s_wait_xcnt 0x0
	v_mul_lo_u32 v0, v4, s8
	s_wait_loadcnt 0x0
	v_cmp_nge_f16_e64 s0, v2, -s10
	v_cmp_nge_f16_e32 vcc_lo, s10, v2
	s_and_b32 s17, s2, 0xff
	s_mov_b32 s20, 0
	s_mov_b32 s19, -1
	s_or_b32 vcc_lo, s0, vcc_lo
	s_cmp_lt_i32 s17, 11
	s_mov_b32 s0, s12
	v_dual_cndmask_b32 v2, 0, v2 :: v_dual_ashrrev_i32 v1, 31, v0
	s_delay_alu instid0(VALU_DEP_1)
	v_add_nc_u64_e32 v[0:1], s[4:5], v[0:1]
	s_cbranch_scc1 .LBB22_273
; %bb.267:
	s_and_b32 s19, 0xffff, s17
	s_delay_alu instid0(SALU_CYCLE_1)
	s_cmp_gt_i32 s19, 25
	s_cbranch_scc0 .LBB22_315
; %bb.268:
	s_cmp_gt_i32 s19, 28
	s_cbranch_scc0 .LBB22_317
; %bb.269:
	;; [unrolled: 3-line block ×4, first 2 shown]
	s_mov_b32 s21, 0
	s_mov_b32 s0, -1
	s_cmp_eq_u32 s19, 46
	s_cbranch_scc0 .LBB22_330
; %bb.272:
	v_cvt_f32_f16_e32 v3, v2
	v_cmp_o_f16_e32 vcc_lo, v2, v2
	s_mov_b32 s20, -1
	s_mov_b32 s0, 0
	s_delay_alu instid0(VALU_DEP_2) | instskip(NEXT) | instid1(VALU_DEP_1)
	v_bfe_u32 v5, v3, 16, 1
	v_add3_u32 v3, v3, v5, 0x7fff
	s_delay_alu instid0(VALU_DEP_1) | instskip(NEXT) | instid1(VALU_DEP_1)
	v_lshrrev_b32_e32 v3, 16, v3
	v_cndmask_b32_e32 v3, 0x7fc0, v3, vcc_lo
	global_store_b32 v[0:1], v3, off
	s_branch .LBB22_330
.LBB22_273:
	s_and_b32 vcc_lo, exec_lo, s19
	s_cbranch_vccz .LBB22_399
; %bb.274:
	s_and_b32 s17, 0xffff, s17
	s_mov_b32 s19, -1
	s_cmp_lt_i32 s17, 5
	s_cbranch_scc1 .LBB22_295
; %bb.275:
	s_cmp_lt_i32 s17, 8
	s_cbranch_scc1 .LBB22_285
; %bb.276:
	;; [unrolled: 3-line block ×3, first 2 shown]
	s_cmp_gt_i32 s17, 9
	s_cbranch_scc0 .LBB22_279
; %bb.278:
	s_wait_xcnt 0x0
	v_cvt_f32_f16_e32 v3, v2
	v_mov_b32_e32 v8, 0
	s_mov_b32 s19, 0
	s_delay_alu instid0(VALU_DEP_2) | instskip(NEXT) | instid1(VALU_DEP_2)
	v_cvt_f64_f32_e32 v[6:7], v3
	v_mov_b32_e32 v9, v8
	global_store_b128 v[0:1], v[6:9], off
.LBB22_279:
	s_and_not1_b32 vcc_lo, exec_lo, s19
	s_cbranch_vccnz .LBB22_281
; %bb.280:
	s_wait_xcnt 0x0
	v_cvt_f32_f16_e32 v6, v2
	v_mov_b32_e32 v7, 0
	global_store_b64 v[0:1], v[6:7], off
.LBB22_281:
	s_mov_b32 s19, 0
.LBB22_282:
	s_delay_alu instid0(SALU_CYCLE_1)
	s_and_not1_b32 vcc_lo, exec_lo, s19
	s_cbranch_vccnz .LBB22_284
; %bb.283:
	s_wait_xcnt 0x0
	v_and_b32_e32 v3, 0xffff, v2
	global_store_b32 v[0:1], v3, off
.LBB22_284:
	s_mov_b32 s19, 0
.LBB22_285:
	s_delay_alu instid0(SALU_CYCLE_1)
	s_and_not1_b32 vcc_lo, exec_lo, s19
	s_cbranch_vccnz .LBB22_294
; %bb.286:
	s_cmp_lt_i32 s17, 6
	s_mov_b32 s19, -1
	s_cbranch_scc1 .LBB22_292
; %bb.287:
	s_cmp_gt_i32 s17, 6
	s_cbranch_scc0 .LBB22_289
; %bb.288:
	s_wait_xcnt 0x0
	v_cvt_f32_f16_e32 v3, v2
	s_mov_b32 s19, 0
	s_delay_alu instid0(VALU_DEP_1)
	v_cvt_f64_f32_e32 v[6:7], v3
	global_store_b64 v[0:1], v[6:7], off
.LBB22_289:
	s_and_not1_b32 vcc_lo, exec_lo, s19
	s_cbranch_vccnz .LBB22_291
; %bb.290:
	s_wait_xcnt 0x0
	v_cvt_f32_f16_e32 v3, v2
	global_store_b32 v[0:1], v3, off
.LBB22_291:
	s_mov_b32 s19, 0
.LBB22_292:
	s_delay_alu instid0(SALU_CYCLE_1)
	s_and_not1_b32 vcc_lo, exec_lo, s19
	s_cbranch_vccnz .LBB22_294
; %bb.293:
	global_store_b16 v[0:1], v2, off
.LBB22_294:
	s_mov_b32 s19, 0
.LBB22_295:
	s_delay_alu instid0(SALU_CYCLE_1)
	s_and_not1_b32 vcc_lo, exec_lo, s19
	s_cbranch_vccnz .LBB22_311
; %bb.296:
	s_cmp_lt_i32 s17, 2
	s_mov_b32 s19, -1
	s_cbranch_scc1 .LBB22_306
; %bb.297:
	s_cmp_lt_i32 s17, 3
	s_cbranch_scc1 .LBB22_303
; %bb.298:
	s_cmp_gt_i32 s17, 3
	s_cbranch_scc0 .LBB22_300
; %bb.299:
	s_wait_xcnt 0x0
	v_cvt_f32_f16_e32 v3, v2
	s_mov_b32 s19, 0
	s_delay_alu instid0(VALU_DEP_1) | instskip(NEXT) | instid1(VALU_DEP_1)
	v_cvt_i32_f32_e32 v6, v3
	v_ashrrev_i32_e32 v7, 31, v6
	global_store_b64 v[0:1], v[6:7], off
.LBB22_300:
	s_and_not1_b32 vcc_lo, exec_lo, s19
	s_cbranch_vccnz .LBB22_302
; %bb.301:
	s_wait_xcnt 0x0
	v_cvt_f32_f16_e32 v3, v2
	s_delay_alu instid0(VALU_DEP_1)
	v_cvt_i32_f32_e32 v3, v3
	global_store_b32 v[0:1], v3, off
.LBB22_302:
	s_mov_b32 s19, 0
.LBB22_303:
	s_delay_alu instid0(SALU_CYCLE_1)
	s_and_not1_b32 vcc_lo, exec_lo, s19
	s_cbranch_vccnz .LBB22_305
; %bb.304:
	s_wait_xcnt 0x0
	v_cvt_i16_f16_e32 v3, v2
	global_store_b16 v[0:1], v3, off
.LBB22_305:
	s_mov_b32 s19, 0
.LBB22_306:
	s_delay_alu instid0(SALU_CYCLE_1)
	s_and_not1_b32 vcc_lo, exec_lo, s19
	s_cbranch_vccnz .LBB22_311
; %bb.307:
	s_cmp_gt_i32 s17, 0
	s_mov_b32 s17, -1
	s_cbranch_scc0 .LBB22_309
; %bb.308:
	s_wait_xcnt 0x0
	v_cvt_i16_f16_e32 v3, v2
	s_mov_b32 s17, 0
	global_store_b8 v[0:1], v3, off
.LBB22_309:
	s_and_not1_b32 vcc_lo, exec_lo, s17
	s_cbranch_vccnz .LBB22_311
; %bb.310:
	s_wait_xcnt 0x0
	v_cvt_f32_f16_e32 v2, v2
	s_delay_alu instid0(VALU_DEP_1)
	v_cvt_i32_f32_e32 v2, v2
	global_store_b8 v[0:1], v2, off
.LBB22_311:
	s_branch .LBB22_400
.LBB22_312:
	s_mov_b32 s19, 0
	s_branch .LBB22_512
.LBB22_313:
	s_mov_b32 s19, -1
	s_mov_b32 s17, 0
	s_mov_b32 s16, s14
                                        ; implicit-def: $vgpr2
	s_branch .LBB22_427
.LBB22_314:
	s_mov_b32 s19, -1
	s_mov_b32 s17, 0
	s_mov_b32 s16, s14
                                        ; implicit-def: $vgpr2
	s_branch .LBB22_408
.LBB22_315:
	s_mov_b32 s21, -1
	s_mov_b32 s0, s12
	s_branch .LBB22_357
.LBB22_316:
	s_mov_b32 s19, -1
	s_mov_b32 s17, 0
	s_mov_b32 s16, s14
                                        ; implicit-def: $vgpr2
	s_branch .LBB22_403
.LBB22_317:
	s_mov_b32 s21, -1
	s_mov_b32 s0, s12
	s_branch .LBB22_340
.LBB22_318:
	s_and_not1_saveexec_b32 s20, s20
	s_cbranch_execz .LBB22_91
.LBB22_319:
	v_add_f32_e64 v5, 0x46000000, |v3|
	s_and_not1_b32 s19, s19, exec_lo
	s_delay_alu instid0(VALU_DEP_1) | instskip(NEXT) | instid1(VALU_DEP_1)
	v_and_b32_e32 v5, 0xff, v5
	v_cmp_ne_u32_e32 vcc_lo, 0, v5
	s_and_b32 s21, vcc_lo, exec_lo
	s_delay_alu instid0(SALU_CYCLE_1)
	s_or_b32 s19, s19, s21
	s_or_b32 exec_lo, exec_lo, s20
	v_mov_b32_e32 v6, 0
	s_and_saveexec_b32 s20, s19
	s_cbranch_execnz .LBB22_92
	s_branch .LBB22_93
.LBB22_320:
	s_mov_b32 s19, -1
	s_mov_b32 s17, 0
	s_mov_b32 s16, s14
	s_branch .LBB22_325
.LBB22_321:
	s_mov_b32 s21, -1
	s_mov_b32 s0, s12
	s_branch .LBB22_336
.LBB22_322:
	s_and_not1_saveexec_b32 s20, s20
	s_cbranch_execz .LBB22_104
.LBB22_323:
	v_add_f32_e64 v5, 0x42800000, |v3|
	s_and_not1_b32 s19, s19, exec_lo
	s_delay_alu instid0(VALU_DEP_1) | instskip(NEXT) | instid1(VALU_DEP_1)
	v_and_b32_e32 v5, 0xff, v5
	v_cmp_ne_u32_e32 vcc_lo, 0, v5
	s_and_b32 s21, vcc_lo, exec_lo
	s_delay_alu instid0(SALU_CYCLE_1)
	s_or_b32 s19, s19, s21
	s_or_b32 exec_lo, exec_lo, s20
	v_mov_b32_e32 v6, 0
	s_and_saveexec_b32 s20, s19
	s_cbranch_execnz .LBB22_105
	s_branch .LBB22_106
.LBB22_324:
	s_mov_b32 s16, -1
	s_mov_b32 s17, 0
.LBB22_325:
                                        ; implicit-def: $vgpr2
.LBB22_326:
	s_and_b32 vcc_lo, exec_lo, s19
	s_cbranch_vccz .LBB22_402
; %bb.327:
	s_cmp_eq_u32 s0, 44
	s_cbranch_scc0 .LBB22_401
; %bb.328:
	s_wait_loadcnt 0x0
	global_load_u8 v2, v[0:1], off
	s_mov_b32 s16, 0
	s_mov_b32 s17, -1
	s_wait_loadcnt 0x0
	v_lshlrev_b32_e32 v3, 23, v2
	v_cmp_ne_u32_e32 vcc_lo, 0xff, v2
	s_delay_alu instid0(VALU_DEP_2) | instskip(NEXT) | instid1(VALU_DEP_1)
	v_cvt_f16_f32_e32 v3, v3
	v_cndmask_b32_e32 v3, 0x7e00, v3, vcc_lo
	v_cmp_ne_u32_e32 vcc_lo, 0, v2
	s_delay_alu instid0(VALU_DEP_2)
	v_cndmask_b32_e32 v2, 0, v3, vcc_lo
	s_branch .LBB22_402
.LBB22_329:
	s_mov_b32 s21, -1
	s_mov_b32 s0, s12
.LBB22_330:
	s_and_b32 vcc_lo, exec_lo, s21
	s_cbranch_vccz .LBB22_335
; %bb.331:
	s_cmp_eq_u32 s19, 44
	s_mov_b32 s0, -1
	s_cbranch_scc0 .LBB22_335
; %bb.332:
	s_wait_xcnt 0x0
	v_cvt_f32_f16_e32 v3, v2
	v_mov_b32_e32 v5, 0xff
	s_mov_b32 s20, exec_lo
	s_delay_alu instid0(VALU_DEP_2) | instskip(NEXT) | instid1(VALU_DEP_1)
	v_bfe_u32 v6, v3, 23, 8
	v_cmpx_ne_u32_e32 0xff, v6
	s_cbranch_execz .LBB22_334
; %bb.333:
	v_and_b32_e32 v5, 0x400000, v3
	v_and_or_b32 v6, 0x3fffff, v3, v6
	v_lshrrev_b32_e32 v3, 23, v3
	s_delay_alu instid0(VALU_DEP_3) | instskip(NEXT) | instid1(VALU_DEP_3)
	v_cmp_ne_u32_e32 vcc_lo, 0, v5
	v_cmp_ne_u32_e64 s0, 0, v6
	s_and_b32 s0, vcc_lo, s0
	s_delay_alu instid0(SALU_CYCLE_1) | instskip(NEXT) | instid1(VALU_DEP_1)
	v_cndmask_b32_e64 v5, 0, 1, s0
	v_add_nc_u32_e32 v5, v3, v5
.LBB22_334:
	s_or_b32 exec_lo, exec_lo, s20
	s_mov_b32 s20, -1
	s_mov_b32 s0, 0
	global_store_b8 v[0:1], v5, off
.LBB22_335:
	s_mov_b32 s21, 0
.LBB22_336:
	s_delay_alu instid0(SALU_CYCLE_1)
	s_and_b32 vcc_lo, exec_lo, s21
	s_cbranch_vccz .LBB22_339
; %bb.337:
	s_cmp_eq_u32 s19, 29
	s_mov_b32 s0, -1
	s_cbranch_scc0 .LBB22_339
; %bb.338:
	s_wait_xcnt 0x0
	v_cvt_f32_f16_e32 v3, v2
	v_mov_b32_e32 v7, 0
	s_mov_b32 s20, -1
	s_mov_b32 s0, 0
	s_mov_b32 s21, 0
	v_cvt_u32_f32_e32 v6, v3
	global_store_b64 v[0:1], v[6:7], off
	s_branch .LBB22_340
.LBB22_339:
	s_mov_b32 s21, 0
.LBB22_340:
	s_delay_alu instid0(SALU_CYCLE_1)
	s_and_b32 vcc_lo, exec_lo, s21
	s_cbranch_vccz .LBB22_356
; %bb.341:
	s_cmp_lt_i32 s19, 27
	s_mov_b32 s20, -1
	s_cbranch_scc1 .LBB22_347
; %bb.342:
	s_cmp_gt_i32 s19, 27
	s_cbranch_scc0 .LBB22_344
; %bb.343:
	s_wait_xcnt 0x0
	v_cvt_f32_f16_e32 v3, v2
	s_mov_b32 s20, 0
	s_delay_alu instid0(VALU_DEP_1)
	v_cvt_u32_f32_e32 v3, v3
	global_store_b32 v[0:1], v3, off
.LBB22_344:
	s_and_not1_b32 vcc_lo, exec_lo, s20
	s_cbranch_vccnz .LBB22_346
; %bb.345:
	s_wait_xcnt 0x0
	v_cvt_u16_f16_e32 v3, v2
	global_store_b16 v[0:1], v3, off
.LBB22_346:
	s_mov_b32 s20, 0
.LBB22_347:
	s_delay_alu instid0(SALU_CYCLE_1)
	s_and_not1_b32 vcc_lo, exec_lo, s20
	s_cbranch_vccnz .LBB22_355
; %bb.348:
	s_wait_xcnt 0x0
	v_cvt_f32_f16_e32 v3, v2
	v_mov_b32_e32 v6, 0x80
	s_mov_b32 s20, exec_lo
	s_delay_alu instid0(VALU_DEP_2) | instskip(NEXT) | instid1(VALU_DEP_1)
	v_and_b32_e32 v5, 0x7fffffff, v3
	v_cmpx_gt_u32_e32 0x43800000, v5
	s_cbranch_execz .LBB22_354
; %bb.349:
	v_cmp_lt_u32_e32 vcc_lo, 0x3bffffff, v5
	s_mov_b32 s21, 0
                                        ; implicit-def: $vgpr5
	s_and_saveexec_b32 s22, vcc_lo
	s_delay_alu instid0(SALU_CYCLE_1)
	s_xor_b32 s22, exec_lo, s22
	s_cbranch_execz .LBB22_527
; %bb.350:
	v_bfe_u32 v5, v3, 20, 1
	s_mov_b32 s21, exec_lo
	s_delay_alu instid0(VALU_DEP_1) | instskip(NEXT) | instid1(VALU_DEP_1)
	v_add3_u32 v5, v3, v5, 0x487ffff
	v_lshrrev_b32_e32 v5, 20, v5
	s_and_not1_saveexec_b32 s22, s22
	s_cbranch_execnz .LBB22_528
.LBB22_351:
	s_or_b32 exec_lo, exec_lo, s22
	v_mov_b32_e32 v6, 0
	s_and_saveexec_b32 s22, s21
.LBB22_352:
	v_lshrrev_b32_e32 v3, 24, v3
	s_delay_alu instid0(VALU_DEP_1)
	v_and_or_b32 v6, 0x80, v3, v5
.LBB22_353:
	s_or_b32 exec_lo, exec_lo, s22
.LBB22_354:
	s_delay_alu instid0(SALU_CYCLE_1)
	s_or_b32 exec_lo, exec_lo, s20
	global_store_b8 v[0:1], v6, off
.LBB22_355:
	s_mov_b32 s20, -1
.LBB22_356:
	s_mov_b32 s21, 0
.LBB22_357:
	s_delay_alu instid0(SALU_CYCLE_1)
	s_and_b32 vcc_lo, exec_lo, s21
	s_cbranch_vccz .LBB22_398
; %bb.358:
	s_cmp_gt_i32 s19, 22
	s_mov_b32 s21, -1
	s_cbranch_scc0 .LBB22_390
; %bb.359:
	s_cmp_lt_i32 s19, 24
	s_mov_b32 s20, -1
	s_cbranch_scc1 .LBB22_379
; %bb.360:
	s_cmp_gt_i32 s19, 24
	s_cbranch_scc0 .LBB22_368
; %bb.361:
	s_wait_xcnt 0x0
	v_cvt_f32_f16_e32 v3, v2
	v_mov_b32_e32 v6, 0x80
	s_mov_b32 s20, exec_lo
	s_delay_alu instid0(VALU_DEP_2) | instskip(NEXT) | instid1(VALU_DEP_1)
	v_and_b32_e32 v5, 0x7fffffff, v3
	v_cmpx_gt_u32_e32 0x47800000, v5
	s_cbranch_execz .LBB22_367
; %bb.362:
	v_cmp_lt_u32_e32 vcc_lo, 0x37ffffff, v5
	s_mov_b32 s21, 0
                                        ; implicit-def: $vgpr5
	s_and_saveexec_b32 s22, vcc_lo
	s_delay_alu instid0(SALU_CYCLE_1)
	s_xor_b32 s22, exec_lo, s22
	s_cbranch_execz .LBB22_530
; %bb.363:
	v_bfe_u32 v5, v3, 21, 1
	s_mov_b32 s21, exec_lo
	s_delay_alu instid0(VALU_DEP_1) | instskip(NEXT) | instid1(VALU_DEP_1)
	v_add3_u32 v5, v3, v5, 0x88fffff
	v_lshrrev_b32_e32 v5, 21, v5
	s_and_not1_saveexec_b32 s22, s22
	s_cbranch_execnz .LBB22_531
.LBB22_364:
	s_or_b32 exec_lo, exec_lo, s22
	v_mov_b32_e32 v6, 0
	s_and_saveexec_b32 s22, s21
.LBB22_365:
	v_lshrrev_b32_e32 v3, 24, v3
	s_delay_alu instid0(VALU_DEP_1)
	v_and_or_b32 v6, 0x80, v3, v5
.LBB22_366:
	s_or_b32 exec_lo, exec_lo, s22
.LBB22_367:
	s_delay_alu instid0(SALU_CYCLE_1)
	s_or_b32 exec_lo, exec_lo, s20
	s_mov_b32 s20, 0
	global_store_b8 v[0:1], v6, off
.LBB22_368:
	s_and_b32 vcc_lo, exec_lo, s20
	s_cbranch_vccz .LBB22_378
; %bb.369:
	s_wait_xcnt 0x0
	v_cvt_f32_f16_e32 v3, v2
	s_mov_b32 s20, exec_lo
                                        ; implicit-def: $vgpr5
	s_delay_alu instid0(VALU_DEP_1) | instskip(NEXT) | instid1(VALU_DEP_1)
	v_and_b32_e32 v6, 0x7fffffff, v3
	v_cmpx_gt_u32_e32 0x43f00000, v6
	s_xor_b32 s20, exec_lo, s20
	s_cbranch_execz .LBB22_375
; %bb.370:
	s_mov_b32 s21, exec_lo
                                        ; implicit-def: $vgpr5
	v_cmpx_lt_u32_e32 0x3c7fffff, v6
	s_xor_b32 s21, exec_lo, s21
; %bb.371:
	v_bfe_u32 v5, v3, 20, 1
	s_delay_alu instid0(VALU_DEP_1) | instskip(NEXT) | instid1(VALU_DEP_1)
	v_add3_u32 v5, v3, v5, 0x407ffff
	v_and_b32_e32 v6, 0xff00000, v5
	v_lshrrev_b32_e32 v5, 20, v5
	s_delay_alu instid0(VALU_DEP_2) | instskip(NEXT) | instid1(VALU_DEP_2)
	v_cmp_ne_u32_e32 vcc_lo, 0x7f00000, v6
	v_cndmask_b32_e32 v5, 0x7e, v5, vcc_lo
; %bb.372:
	s_and_not1_saveexec_b32 s21, s21
; %bb.373:
	v_add_f32_e64 v5, 0x46800000, |v3|
; %bb.374:
	s_or_b32 exec_lo, exec_lo, s21
                                        ; implicit-def: $vgpr6
.LBB22_375:
	s_and_not1_saveexec_b32 s20, s20
; %bb.376:
	v_mov_b32_e32 v5, 0x7f
	v_cmp_lt_u32_e32 vcc_lo, 0x7f800000, v6
	s_delay_alu instid0(VALU_DEP_2)
	v_cndmask_b32_e32 v5, 0x7e, v5, vcc_lo
; %bb.377:
	s_or_b32 exec_lo, exec_lo, s20
	v_lshrrev_b32_e32 v3, 24, v3
	s_delay_alu instid0(VALU_DEP_1)
	v_and_or_b32 v3, 0x80, v3, v5
	global_store_b8 v[0:1], v3, off
.LBB22_378:
	s_mov_b32 s20, 0
.LBB22_379:
	s_delay_alu instid0(SALU_CYCLE_1)
	s_and_not1_b32 vcc_lo, exec_lo, s20
	s_cbranch_vccnz .LBB22_389
; %bb.380:
	s_wait_xcnt 0x0
	v_cvt_f32_f16_e32 v3, v2
	s_mov_b32 s20, exec_lo
                                        ; implicit-def: $vgpr5
	s_delay_alu instid0(VALU_DEP_1) | instskip(NEXT) | instid1(VALU_DEP_1)
	v_and_b32_e32 v6, 0x7fffffff, v3
	v_cmpx_gt_u32_e32 0x47800000, v6
	s_xor_b32 s20, exec_lo, s20
	s_cbranch_execz .LBB22_386
; %bb.381:
	s_mov_b32 s21, exec_lo
                                        ; implicit-def: $vgpr5
	v_cmpx_lt_u32_e32 0x387fffff, v6
	s_xor_b32 s21, exec_lo, s21
; %bb.382:
	v_bfe_u32 v5, v3, 21, 1
	s_delay_alu instid0(VALU_DEP_1) | instskip(NEXT) | instid1(VALU_DEP_1)
	v_add3_u32 v5, v3, v5, 0x80fffff
	v_lshrrev_b32_e32 v5, 21, v5
; %bb.383:
	s_and_not1_saveexec_b32 s21, s21
; %bb.384:
	v_add_f32_e64 v5, 0x43000000, |v3|
; %bb.385:
	s_or_b32 exec_lo, exec_lo, s21
                                        ; implicit-def: $vgpr6
.LBB22_386:
	s_and_not1_saveexec_b32 s20, s20
; %bb.387:
	v_mov_b32_e32 v5, 0x7f
	v_cmp_lt_u32_e32 vcc_lo, 0x7f800000, v6
	s_delay_alu instid0(VALU_DEP_2)
	v_cndmask_b32_e32 v5, 0x7c, v5, vcc_lo
; %bb.388:
	s_or_b32 exec_lo, exec_lo, s20
	v_lshrrev_b32_e32 v3, 24, v3
	s_delay_alu instid0(VALU_DEP_1)
	v_and_or_b32 v3, 0x80, v3, v5
	global_store_b8 v[0:1], v3, off
.LBB22_389:
	s_mov_b32 s21, 0
	s_mov_b32 s20, -1
.LBB22_390:
	s_and_not1_b32 vcc_lo, exec_lo, s21
	s_cbranch_vccnz .LBB22_398
; %bb.391:
	s_cmp_gt_i32 s19, 14
	s_mov_b32 s21, -1
	s_cbranch_scc0 .LBB22_395
; %bb.392:
	s_cmp_eq_u32 s19, 15
	s_mov_b32 s0, -1
	s_cbranch_scc0 .LBB22_394
; %bb.393:
	s_wait_xcnt 0x0
	v_cvt_f32_f16_e32 v3, v2
	v_cmp_o_f16_e32 vcc_lo, v2, v2
	s_mov_b32 s20, -1
	s_mov_b32 s0, 0
	s_delay_alu instid0(VALU_DEP_2) | instskip(NEXT) | instid1(VALU_DEP_1)
	v_bfe_u32 v5, v3, 16, 1
	v_add3_u32 v3, v3, v5, 0x7fff
	s_delay_alu instid0(VALU_DEP_1) | instskip(NEXT) | instid1(VALU_DEP_1)
	v_lshrrev_b32_e32 v3, 16, v3
	v_cndmask_b32_e32 v3, 0x7fc0, v3, vcc_lo
	global_store_b16 v[0:1], v3, off
.LBB22_394:
	s_mov_b32 s21, 0
.LBB22_395:
	s_delay_alu instid0(SALU_CYCLE_1)
	s_and_b32 vcc_lo, exec_lo, s21
	s_cbranch_vccz .LBB22_398
; %bb.396:
	s_cmp_eq_u32 s19, 11
	s_mov_b32 s0, -1
	s_cbranch_scc0 .LBB22_398
; %bb.397:
	s_wait_xcnt 0x0
	v_and_b32_e32 v3, 0x7fff, v2
	s_mov_b32 s0, 0
	s_mov_b32 s20, -1
	s_delay_alu instid0(VALU_DEP_1)
	v_cmp_ne_u16_e32 vcc_lo, 0, v3
	v_cndmask_b32_e64 v3, 0, 1, vcc_lo
	global_store_b8 v[0:1], v3, off
.LBB22_398:
.LBB22_399:
	s_and_not1_b32 vcc_lo, exec_lo, s20
	s_cbranch_vccnz .LBB22_312
.LBB22_400:
	v_add_nc_u32_e32 v4, 0x80, v4
	s_mov_b32 s19, -1
	s_branch .LBB22_513
.LBB22_401:
	s_mov_b32 s16, -1
                                        ; implicit-def: $vgpr2
.LBB22_402:
	s_mov_b32 s19, 0
.LBB22_403:
	s_delay_alu instid0(SALU_CYCLE_1)
	s_and_b32 vcc_lo, exec_lo, s19
	s_cbranch_vccz .LBB22_407
; %bb.404:
	s_cmp_eq_u32 s0, 29
	s_cbranch_scc0 .LBB22_406
; %bb.405:
	s_wait_loadcnt 0x0
	global_load_b64 v[2:3], v[0:1], off
	s_mov_b32 s17, -1
	s_mov_b32 s16, 0
	s_mov_b32 s19, 0
	s_wait_loadcnt 0x0
	v_clz_i32_u32_e32 v5, v3
	s_delay_alu instid0(VALU_DEP_1) | instskip(NEXT) | instid1(VALU_DEP_1)
	v_min_u32_e32 v5, 32, v5
	v_lshlrev_b64_e32 v[2:3], v5, v[2:3]
	s_delay_alu instid0(VALU_DEP_1) | instskip(NEXT) | instid1(VALU_DEP_1)
	v_min_u32_e32 v2, 1, v2
	v_dual_sub_nc_u32 v3, 32, v5 :: v_dual_bitop2_b32 v2, v3, v2 bitop3:0x54
	s_delay_alu instid0(VALU_DEP_1) | instskip(NEXT) | instid1(VALU_DEP_1)
	v_cvt_f32_u32_e32 v2, v2
	v_ldexp_f32 v2, v2, v3
	s_delay_alu instid0(VALU_DEP_1)
	v_cvt_f16_f32_e32 v2, v2
	s_branch .LBB22_408
.LBB22_406:
	s_mov_b32 s16, -1
                                        ; implicit-def: $vgpr2
.LBB22_407:
	s_mov_b32 s19, 0
.LBB22_408:
	s_delay_alu instid0(SALU_CYCLE_1)
	s_and_b32 vcc_lo, exec_lo, s19
	s_cbranch_vccz .LBB22_426
; %bb.409:
	s_cmp_lt_i32 s0, 27
	s_cbranch_scc1 .LBB22_412
; %bb.410:
	s_cmp_gt_i32 s0, 27
	s_cbranch_scc0 .LBB22_413
; %bb.411:
	s_wait_loadcnt 0x0
	global_load_b32 v2, v[0:1], off
	s_mov_b32 s17, 0
	s_wait_loadcnt 0x0
	v_cvt_f32_u32_e32 v2, v2
	s_delay_alu instid0(VALU_DEP_1)
	v_cvt_f16_f32_e32 v2, v2
	s_branch .LBB22_414
.LBB22_412:
	s_mov_b32 s17, -1
                                        ; implicit-def: $vgpr2
	s_branch .LBB22_417
.LBB22_413:
	s_mov_b32 s17, -1
                                        ; implicit-def: $vgpr2
.LBB22_414:
	s_delay_alu instid0(SALU_CYCLE_1)
	s_and_not1_b32 vcc_lo, exec_lo, s17
	s_cbranch_vccnz .LBB22_416
; %bb.415:
	s_wait_loadcnt 0x0
	global_load_u16 v2, v[0:1], off
	s_wait_loadcnt 0x0
	v_cvt_f16_u16_e32 v2, v2
.LBB22_416:
	s_mov_b32 s17, 0
.LBB22_417:
	s_delay_alu instid0(SALU_CYCLE_1)
	s_and_not1_b32 vcc_lo, exec_lo, s17
	s_cbranch_vccnz .LBB22_425
; %bb.418:
	global_load_u8 v3, v[0:1], off
	s_mov_b32 s17, 0
	s_mov_b32 s19, exec_lo
	s_wait_loadcnt 0x0
	v_cmpx_lt_i16_e32 0x7f, v3
	s_xor_b32 s19, exec_lo, s19
	s_cbranch_execz .LBB22_439
; %bb.419:
	s_mov_b32 s17, -1
	s_mov_b32 s20, exec_lo
	v_cmpx_eq_u16_e32 0x80, v3
; %bb.420:
	s_xor_b32 s17, exec_lo, -1
; %bb.421:
	s_or_b32 exec_lo, exec_lo, s20
	s_delay_alu instid0(SALU_CYCLE_1)
	s_and_b32 s17, s17, exec_lo
	s_or_saveexec_b32 s19, s19
	v_mov_b32_e32 v2, 0x7e00
	s_xor_b32 exec_lo, exec_lo, s19
	s_cbranch_execnz .LBB22_440
.LBB22_422:
	s_or_b32 exec_lo, exec_lo, s19
	s_and_saveexec_b32 s19, s17
	s_cbranch_execz .LBB22_424
.LBB22_423:
	v_and_b32_e32 v2, 0xffff, v3
	s_delay_alu instid0(VALU_DEP_1) | instskip(SKIP_1) | instid1(VALU_DEP_2)
	v_dual_lshlrev_b32 v3, 24, v3 :: v_dual_bitop2_b32 v5, 7, v2 bitop3:0x40
	v_bfe_u32 v8, v2, 3, 4
	v_and_b32_e32 v3, 0x80000000, v3
	s_delay_alu instid0(VALU_DEP_3) | instskip(NEXT) | instid1(VALU_DEP_3)
	v_clz_i32_u32_e32 v6, v5
	v_cmp_eq_u32_e32 vcc_lo, 0, v8
	s_delay_alu instid0(VALU_DEP_2) | instskip(NEXT) | instid1(VALU_DEP_1)
	v_min_u32_e32 v6, 32, v6
	v_subrev_nc_u32_e32 v7, 28, v6
	v_sub_nc_u32_e32 v6, 29, v6
	s_delay_alu instid0(VALU_DEP_2) | instskip(NEXT) | instid1(VALU_DEP_2)
	v_lshlrev_b32_e32 v2, v7, v2
	v_cndmask_b32_e32 v6, v8, v6, vcc_lo
	s_delay_alu instid0(VALU_DEP_2) | instskip(NEXT) | instid1(VALU_DEP_1)
	v_and_b32_e32 v2, 7, v2
	v_cndmask_b32_e32 v2, v5, v2, vcc_lo
	s_delay_alu instid0(VALU_DEP_3) | instskip(NEXT) | instid1(VALU_DEP_2)
	v_lshl_add_u32 v5, v6, 23, 0x3b800000
	v_lshlrev_b32_e32 v2, 20, v2
	s_delay_alu instid0(VALU_DEP_1) | instskip(NEXT) | instid1(VALU_DEP_1)
	v_or3_b32 v2, v3, v5, v2
	v_cvt_f16_f32_e32 v2, v2
.LBB22_424:
	s_or_b32 exec_lo, exec_lo, s19
.LBB22_425:
	s_mov_b32 s17, -1
.LBB22_426:
	s_mov_b32 s19, 0
.LBB22_427:
	s_delay_alu instid0(SALU_CYCLE_1)
	s_and_b32 vcc_lo, exec_lo, s19
	s_cbranch_vccz .LBB22_462
; %bb.428:
	s_cmp_gt_i32 s0, 22
	s_cbranch_scc0 .LBB22_438
; %bb.429:
	s_cmp_lt_i32 s0, 24
	s_cbranch_scc1 .LBB22_441
; %bb.430:
	s_cmp_gt_i32 s0, 24
	s_cbranch_scc0 .LBB22_442
; %bb.431:
	global_load_u8 v3, v[0:1], off
	s_mov_b32 s17, 0
	s_mov_b32 s19, exec_lo
	s_wait_loadcnt 0x0
	v_cmpx_lt_i16_e32 0x7f, v3
	s_xor_b32 s19, exec_lo, s19
	s_cbranch_execz .LBB22_454
; %bb.432:
	s_mov_b32 s17, -1
	s_mov_b32 s20, exec_lo
	v_cmpx_eq_u16_e32 0x80, v3
; %bb.433:
	s_xor_b32 s17, exec_lo, -1
; %bb.434:
	s_or_b32 exec_lo, exec_lo, s20
	s_delay_alu instid0(SALU_CYCLE_1)
	s_and_b32 s17, s17, exec_lo
	s_or_saveexec_b32 s19, s19
	v_mov_b32_e32 v2, 0x7e00
	s_xor_b32 exec_lo, exec_lo, s19
	s_cbranch_execnz .LBB22_455
.LBB22_435:
	s_or_b32 exec_lo, exec_lo, s19
	s_and_saveexec_b32 s19, s17
	s_cbranch_execz .LBB22_437
.LBB22_436:
	v_and_b32_e32 v2, 0xffff, v3
	s_delay_alu instid0(VALU_DEP_1) | instskip(SKIP_1) | instid1(VALU_DEP_2)
	v_dual_lshlrev_b32 v3, 24, v3 :: v_dual_bitop2_b32 v5, 3, v2 bitop3:0x40
	v_bfe_u32 v8, v2, 2, 5
	v_and_b32_e32 v3, 0x80000000, v3
	s_delay_alu instid0(VALU_DEP_3) | instskip(NEXT) | instid1(VALU_DEP_3)
	v_clz_i32_u32_e32 v6, v5
	v_cmp_eq_u32_e32 vcc_lo, 0, v8
	s_delay_alu instid0(VALU_DEP_2) | instskip(NEXT) | instid1(VALU_DEP_1)
	v_min_u32_e32 v6, 32, v6
	v_subrev_nc_u32_e32 v7, 29, v6
	v_sub_nc_u32_e32 v6, 30, v6
	s_delay_alu instid0(VALU_DEP_2) | instskip(NEXT) | instid1(VALU_DEP_2)
	v_lshlrev_b32_e32 v2, v7, v2
	v_cndmask_b32_e32 v6, v8, v6, vcc_lo
	s_delay_alu instid0(VALU_DEP_2) | instskip(NEXT) | instid1(VALU_DEP_1)
	v_and_b32_e32 v2, 3, v2
	v_cndmask_b32_e32 v2, v5, v2, vcc_lo
	s_delay_alu instid0(VALU_DEP_3) | instskip(NEXT) | instid1(VALU_DEP_2)
	v_lshl_add_u32 v5, v6, 23, 0x37800000
	v_lshlrev_b32_e32 v2, 21, v2
	s_delay_alu instid0(VALU_DEP_1) | instskip(NEXT) | instid1(VALU_DEP_1)
	v_or3_b32 v2, v3, v5, v2
	v_cvt_f16_f32_e32 v2, v2
.LBB22_437:
	s_or_b32 exec_lo, exec_lo, s19
	s_mov_b32 s17, 0
	s_branch .LBB22_443
.LBB22_438:
	s_mov_b32 s19, -1
                                        ; implicit-def: $vgpr2
	s_branch .LBB22_449
.LBB22_439:
	s_or_saveexec_b32 s19, s19
	v_mov_b32_e32 v2, 0x7e00
	s_xor_b32 exec_lo, exec_lo, s19
	s_cbranch_execz .LBB22_422
.LBB22_440:
	v_cmp_ne_u16_e32 vcc_lo, 0, v3
	v_mov_b32_e32 v2, v3
	s_and_not1_b32 s17, s17, exec_lo
	s_and_b32 s20, vcc_lo, exec_lo
	s_delay_alu instid0(SALU_CYCLE_1)
	s_or_b32 s17, s17, s20
	s_or_b32 exec_lo, exec_lo, s19
	s_and_saveexec_b32 s19, s17
	s_cbranch_execnz .LBB22_423
	s_branch .LBB22_424
.LBB22_441:
	s_mov_b32 s17, -1
                                        ; implicit-def: $vgpr2
	s_branch .LBB22_446
.LBB22_442:
	s_mov_b32 s17, -1
                                        ; implicit-def: $vgpr2
.LBB22_443:
	s_delay_alu instid0(SALU_CYCLE_1)
	s_and_b32 vcc_lo, exec_lo, s17
	s_cbranch_vccz .LBB22_445
; %bb.444:
	s_wait_loadcnt 0x0
	global_load_u8 v2, v[0:1], off
	s_wait_loadcnt 0x0
	v_lshlrev_b32_e32 v2, 24, v2
	s_delay_alu instid0(VALU_DEP_1) | instskip(NEXT) | instid1(VALU_DEP_1)
	v_and_b32_e32 v3, 0x7f000000, v2
	v_clz_i32_u32_e32 v5, v3
	v_add_nc_u32_e32 v7, 0x1000000, v3
	v_cmp_ne_u32_e32 vcc_lo, 0, v3
	s_delay_alu instid0(VALU_DEP_3) | instskip(NEXT) | instid1(VALU_DEP_1)
	v_min_u32_e32 v5, 32, v5
	v_sub_nc_u32_e64 v5, v5, 4 clamp
	s_delay_alu instid0(VALU_DEP_1) | instskip(NEXT) | instid1(VALU_DEP_1)
	v_dual_lshlrev_b32 v6, v5, v3 :: v_dual_lshlrev_b32 v5, 23, v5
	v_lshrrev_b32_e32 v6, 4, v6
	s_delay_alu instid0(VALU_DEP_1) | instskip(NEXT) | instid1(VALU_DEP_1)
	v_dual_sub_nc_u32 v5, v6, v5 :: v_dual_ashrrev_i32 v6, 8, v7
	v_add_nc_u32_e32 v5, 0x3c000000, v5
	s_delay_alu instid0(VALU_DEP_1) | instskip(NEXT) | instid1(VALU_DEP_1)
	v_and_or_b32 v5, 0x7f800000, v6, v5
	v_cndmask_b32_e32 v3, 0, v5, vcc_lo
	s_delay_alu instid0(VALU_DEP_1) | instskip(NEXT) | instid1(VALU_DEP_1)
	v_and_or_b32 v2, 0x80000000, v2, v3
	v_cvt_f16_f32_e32 v2, v2
.LBB22_445:
	s_mov_b32 s17, 0
.LBB22_446:
	s_delay_alu instid0(SALU_CYCLE_1)
	s_and_not1_b32 vcc_lo, exec_lo, s17
	s_cbranch_vccnz .LBB22_448
; %bb.447:
	s_wait_loadcnt 0x0
	global_load_u8 v2, v[0:1], off
	s_wait_loadcnt 0x0
	v_lshlrev_b32_e32 v3, 25, v2
	v_lshlrev_b16 v2, 8, v2
	s_delay_alu instid0(VALU_DEP_2) | instskip(NEXT) | instid1(VALU_DEP_2)
	v_cmp_gt_u32_e32 vcc_lo, 0x8000000, v3
	v_and_or_b32 v6, 0x7f00, v2, 0.5
	v_lshrrev_b32_e32 v5, 4, v3
	v_bfe_i32 v2, v2, 0, 16
	s_delay_alu instid0(VALU_DEP_3) | instskip(NEXT) | instid1(VALU_DEP_3)
	v_add_f32_e32 v6, -0.5, v6
	v_or_b32_e32 v5, 0x70000000, v5
	s_delay_alu instid0(VALU_DEP_1) | instskip(NEXT) | instid1(VALU_DEP_1)
	v_mul_f32_e32 v5, 0x7800000, v5
	v_cndmask_b32_e32 v3, v5, v6, vcc_lo
	s_delay_alu instid0(VALU_DEP_1) | instskip(NEXT) | instid1(VALU_DEP_1)
	v_and_or_b32 v2, 0x80000000, v2, v3
	v_cvt_f16_f32_e32 v2, v2
.LBB22_448:
	s_mov_b32 s19, 0
	s_mov_b32 s17, -1
.LBB22_449:
	s_and_not1_b32 vcc_lo, exec_lo, s19
	s_cbranch_vccnz .LBB22_462
; %bb.450:
	s_cmp_gt_i32 s0, 14
	s_cbranch_scc0 .LBB22_453
; %bb.451:
	s_cmp_eq_u32 s0, 15
	s_cbranch_scc0 .LBB22_456
; %bb.452:
	s_wait_loadcnt 0x0
	global_load_u16 v2, v[0:1], off
	s_mov_b32 s17, -1
	s_mov_b32 s16, 0
	s_wait_loadcnt 0x0
	v_lshlrev_b32_e32 v2, 16, v2
	s_delay_alu instid0(VALU_DEP_1)
	v_cvt_f16_f32_e32 v2, v2
	s_branch .LBB22_457
.LBB22_453:
	s_mov_b32 s19, -1
                                        ; implicit-def: $vgpr2
	s_branch .LBB22_458
.LBB22_454:
	s_or_saveexec_b32 s19, s19
	v_mov_b32_e32 v2, 0x7e00
	s_xor_b32 exec_lo, exec_lo, s19
	s_cbranch_execz .LBB22_435
.LBB22_455:
	v_cmp_ne_u16_e32 vcc_lo, 0, v3
	v_mov_b32_e32 v2, v3
	s_and_not1_b32 s17, s17, exec_lo
	s_and_b32 s20, vcc_lo, exec_lo
	s_delay_alu instid0(SALU_CYCLE_1)
	s_or_b32 s17, s17, s20
	s_or_b32 exec_lo, exec_lo, s19
	s_and_saveexec_b32 s19, s17
	s_cbranch_execnz .LBB22_436
	s_branch .LBB22_437
.LBB22_456:
	s_mov_b32 s16, -1
                                        ; implicit-def: $vgpr2
.LBB22_457:
	s_mov_b32 s19, 0
.LBB22_458:
	s_delay_alu instid0(SALU_CYCLE_1)
	s_and_b32 vcc_lo, exec_lo, s19
	s_cbranch_vccz .LBB22_462
; %bb.459:
	s_cmp_eq_u32 s0, 11
	s_cbranch_scc0 .LBB22_461
; %bb.460:
	s_wait_loadcnt 0x0
	global_load_u8 v2, v[0:1], off
	s_mov_b32 s16, 0
	s_mov_b32 s17, -1
	s_wait_loadcnt 0x0
	v_cmp_ne_u16_e32 vcc_lo, 0, v2
	v_cndmask_b32_e64 v2, 0, 0x3c00, vcc_lo
	s_branch .LBB22_462
.LBB22_461:
	s_mov_b32 s16, -1
                                        ; implicit-def: $vgpr2
.LBB22_462:
	s_branch .LBB22_265
.LBB22_463:
	s_cmp_lt_i32 s0, 5
	s_cbranch_scc1 .LBB22_468
; %bb.464:
	s_cmp_lt_i32 s0, 8
	s_cbranch_scc1 .LBB22_469
; %bb.465:
	;; [unrolled: 3-line block ×3, first 2 shown]
	s_cmp_gt_i32 s0, 9
	s_cbranch_scc0 .LBB22_471
; %bb.467:
	s_wait_loadcnt 0x0
	global_load_b64 v[2:3], v[0:1], off
	s_mov_b32 s17, 0
	s_wait_loadcnt 0x0
	v_and_or_b32 v2, 0x1ff, v3, v2
	v_lshrrev_b32_e32 v5, 8, v3
	v_bfe_u32 v6, v3, 20, 11
	v_lshrrev_b32_e32 v3, 16, v3
	s_delay_alu instid0(VALU_DEP_4) | instskip(NEXT) | instid1(VALU_DEP_3)
	v_cmp_ne_u32_e32 vcc_lo, 0, v2
	v_sub_nc_u32_e32 v7, 0x3f1, v6
	v_add_nc_u32_e32 v6, 0xfffffc10, v6
	v_cndmask_b32_e64 v2, 0, 1, vcc_lo
	s_delay_alu instid0(VALU_DEP_1) | instskip(NEXT) | instid1(VALU_DEP_4)
	v_and_or_b32 v2, 0xffe, v5, v2
	v_med3_i32 v5, v7, 0, 13
	s_delay_alu instid0(VALU_DEP_2) | instskip(NEXT) | instid1(VALU_DEP_1)
	v_or_b32_e32 v7, 0x1000, v2
	v_lshrrev_b32_e32 v8, v5, v7
	s_delay_alu instid0(VALU_DEP_1) | instskip(NEXT) | instid1(VALU_DEP_1)
	v_lshlrev_b32_e32 v5, v5, v8
	v_cmp_ne_u32_e32 vcc_lo, v5, v7
	v_lshl_or_b32 v7, v6, 12, v2
	v_cndmask_b32_e64 v5, 0, 1, vcc_lo
	v_cmp_gt_i32_e32 vcc_lo, 1, v6
	s_delay_alu instid0(VALU_DEP_2) | instskip(NEXT) | instid1(VALU_DEP_1)
	v_or_b32_e32 v5, v8, v5
	v_cndmask_b32_e32 v5, v7, v5, vcc_lo
	s_delay_alu instid0(VALU_DEP_1) | instskip(NEXT) | instid1(VALU_DEP_1)
	v_dual_lshrrev_b32 v5, 2, v5 :: v_dual_bitop2_b32 v7, 7, v5 bitop3:0x40
	v_cmp_lt_i32_e32 vcc_lo, 5, v7
	v_cndmask_b32_e64 v8, 0, 1, vcc_lo
	v_cmp_eq_u32_e32 vcc_lo, 3, v7
	v_cndmask_b32_e64 v7, 0, 1, vcc_lo
	v_cmp_ne_u32_e32 vcc_lo, 0, v2
	s_delay_alu instid0(VALU_DEP_2) | instskip(NEXT) | instid1(VALU_DEP_1)
	v_or_b32_e32 v7, v7, v8
	v_dual_mov_b32 v8, 0x7e00 :: v_dual_add_nc_u32 v5, v5, v7
	s_delay_alu instid0(VALU_DEP_1) | instskip(SKIP_1) | instid1(VALU_DEP_3)
	v_cndmask_b32_e32 v2, 0x7c00, v8, vcc_lo
	v_cmp_gt_i32_e32 vcc_lo, 31, v6
	v_cndmask_b32_e32 v5, 0x7c00, v5, vcc_lo
	v_cmp_eq_u32_e32 vcc_lo, 0x40f, v6
	s_delay_alu instid0(VALU_DEP_2) | instskip(NEXT) | instid1(VALU_DEP_1)
	v_cndmask_b32_e32 v2, v5, v2, vcc_lo
	v_and_or_b32 v2, 0x8000, v3, v2
	s_branch .LBB22_472
.LBB22_468:
	s_mov_b32 s17, -1
                                        ; implicit-def: $vgpr2
	s_branch .LBB22_490
.LBB22_469:
	s_mov_b32 s17, -1
                                        ; implicit-def: $vgpr2
	s_branch .LBB22_478
.LBB22_470:
	s_mov_b32 s17, -1
                                        ; implicit-def: $vgpr2
	s_branch .LBB22_475
.LBB22_471:
	s_mov_b32 s17, -1
                                        ; implicit-def: $vgpr2
.LBB22_472:
	s_delay_alu instid0(SALU_CYCLE_1)
	s_and_not1_b32 vcc_lo, exec_lo, s17
	s_cbranch_vccnz .LBB22_474
; %bb.473:
	s_wait_loadcnt 0x0
	global_load_b32 v2, v[0:1], off
	s_wait_loadcnt 0x0
	v_cvt_f16_f32_e32 v2, v2
.LBB22_474:
	s_mov_b32 s17, 0
.LBB22_475:
	s_delay_alu instid0(SALU_CYCLE_1)
	s_and_not1_b32 vcc_lo, exec_lo, s17
	s_cbranch_vccnz .LBB22_477
; %bb.476:
	s_wait_loadcnt 0x0
	global_load_b32 v2, v[0:1], off
.LBB22_477:
	s_mov_b32 s17, 0
.LBB22_478:
	s_delay_alu instid0(SALU_CYCLE_1)
	s_and_not1_b32 vcc_lo, exec_lo, s17
	s_cbranch_vccnz .LBB22_489
; %bb.479:
	s_cmp_lt_i32 s0, 6
	s_cbranch_scc1 .LBB22_482
; %bb.480:
	s_cmp_gt_i32 s0, 6
	s_cbranch_scc0 .LBB22_483
; %bb.481:
	s_wait_loadcnt 0x0
	global_load_b64 v[2:3], v[0:1], off
	s_mov_b32 s17, 0
	s_wait_loadcnt 0x0
	v_and_or_b32 v2, 0x1ff, v3, v2
	v_lshrrev_b32_e32 v5, 8, v3
	v_bfe_u32 v6, v3, 20, 11
	v_lshrrev_b32_e32 v3, 16, v3
	s_delay_alu instid0(VALU_DEP_4) | instskip(NEXT) | instid1(VALU_DEP_3)
	v_cmp_ne_u32_e32 vcc_lo, 0, v2
	v_sub_nc_u32_e32 v7, 0x3f1, v6
	v_add_nc_u32_e32 v6, 0xfffffc10, v6
	v_cndmask_b32_e64 v2, 0, 1, vcc_lo
	s_delay_alu instid0(VALU_DEP_1) | instskip(NEXT) | instid1(VALU_DEP_4)
	v_and_or_b32 v2, 0xffe, v5, v2
	v_med3_i32 v5, v7, 0, 13
	s_delay_alu instid0(VALU_DEP_2) | instskip(NEXT) | instid1(VALU_DEP_1)
	v_or_b32_e32 v7, 0x1000, v2
	v_lshrrev_b32_e32 v8, v5, v7
	s_delay_alu instid0(VALU_DEP_1) | instskip(NEXT) | instid1(VALU_DEP_1)
	v_lshlrev_b32_e32 v5, v5, v8
	v_cmp_ne_u32_e32 vcc_lo, v5, v7
	v_lshl_or_b32 v7, v6, 12, v2
	v_cndmask_b32_e64 v5, 0, 1, vcc_lo
	v_cmp_gt_i32_e32 vcc_lo, 1, v6
	s_delay_alu instid0(VALU_DEP_2) | instskip(NEXT) | instid1(VALU_DEP_1)
	v_or_b32_e32 v5, v8, v5
	v_cndmask_b32_e32 v5, v7, v5, vcc_lo
	s_delay_alu instid0(VALU_DEP_1) | instskip(NEXT) | instid1(VALU_DEP_1)
	v_dual_lshrrev_b32 v5, 2, v5 :: v_dual_bitop2_b32 v7, 7, v5 bitop3:0x40
	v_cmp_lt_i32_e32 vcc_lo, 5, v7
	v_cndmask_b32_e64 v8, 0, 1, vcc_lo
	v_cmp_eq_u32_e32 vcc_lo, 3, v7
	v_cndmask_b32_e64 v7, 0, 1, vcc_lo
	v_cmp_ne_u32_e32 vcc_lo, 0, v2
	s_delay_alu instid0(VALU_DEP_2) | instskip(NEXT) | instid1(VALU_DEP_1)
	v_or_b32_e32 v7, v7, v8
	v_dual_mov_b32 v8, 0x7e00 :: v_dual_add_nc_u32 v5, v5, v7
	s_delay_alu instid0(VALU_DEP_1) | instskip(SKIP_1) | instid1(VALU_DEP_3)
	v_cndmask_b32_e32 v2, 0x7c00, v8, vcc_lo
	v_cmp_gt_i32_e32 vcc_lo, 31, v6
	v_cndmask_b32_e32 v5, 0x7c00, v5, vcc_lo
	v_cmp_eq_u32_e32 vcc_lo, 0x40f, v6
	s_delay_alu instid0(VALU_DEP_2) | instskip(NEXT) | instid1(VALU_DEP_1)
	v_cndmask_b32_e32 v2, v5, v2, vcc_lo
	v_and_or_b32 v2, 0x8000, v3, v2
	s_branch .LBB22_484
.LBB22_482:
	s_mov_b32 s17, -1
                                        ; implicit-def: $vgpr2
	s_branch .LBB22_487
.LBB22_483:
	s_mov_b32 s17, -1
                                        ; implicit-def: $vgpr2
.LBB22_484:
	s_delay_alu instid0(SALU_CYCLE_1)
	s_and_not1_b32 vcc_lo, exec_lo, s17
	s_cbranch_vccnz .LBB22_486
; %bb.485:
	s_wait_loadcnt 0x0
	global_load_b32 v2, v[0:1], off
	s_wait_loadcnt 0x0
	v_cvt_f16_f32_e32 v2, v2
.LBB22_486:
	s_mov_b32 s17, 0
.LBB22_487:
	s_delay_alu instid0(SALU_CYCLE_1)
	s_and_not1_b32 vcc_lo, exec_lo, s17
	s_cbranch_vccnz .LBB22_489
; %bb.488:
	s_wait_loadcnt 0x0
	global_load_u16 v2, v[0:1], off
.LBB22_489:
	s_mov_b32 s17, 0
.LBB22_490:
	s_delay_alu instid0(SALU_CYCLE_1)
	s_and_not1_b32 vcc_lo, exec_lo, s17
	s_cbranch_vccnz .LBB22_510
; %bb.491:
	s_cmp_lt_i32 s0, 2
	s_cbranch_scc1 .LBB22_495
; %bb.492:
	s_cmp_lt_i32 s0, 3
	s_cbranch_scc1 .LBB22_496
; %bb.493:
	s_cmp_gt_i32 s0, 3
	s_cbranch_scc0 .LBB22_497
; %bb.494:
	s_wait_loadcnt 0x0
	global_load_b64 v[2:3], v[0:1], off
	s_mov_b32 s17, 0
	s_wait_loadcnt 0x0
	v_xor_b32_e32 v5, v2, v3
	v_cls_i32_e32 v6, v3
	s_delay_alu instid0(VALU_DEP_2) | instskip(NEXT) | instid1(VALU_DEP_1)
	v_ashrrev_i32_e32 v5, 31, v5
	v_add_nc_u32_e32 v5, 32, v5
	s_delay_alu instid0(VALU_DEP_1) | instskip(NEXT) | instid1(VALU_DEP_1)
	v_add_min_u32_e64 v5, v6, -1, v5
	v_lshlrev_b64_e32 v[2:3], v5, v[2:3]
	s_delay_alu instid0(VALU_DEP_1) | instskip(NEXT) | instid1(VALU_DEP_1)
	v_min_u32_e32 v2, 1, v2
	v_dual_sub_nc_u32 v3, 32, v5 :: v_dual_bitop2_b32 v2, v3, v2 bitop3:0x54
	s_delay_alu instid0(VALU_DEP_1) | instskip(NEXT) | instid1(VALU_DEP_1)
	v_cvt_f32_i32_e32 v2, v2
	v_ldexp_f32 v2, v2, v3
	s_delay_alu instid0(VALU_DEP_1)
	v_cvt_f16_f32_e32 v2, v2
	s_branch .LBB22_498
.LBB22_495:
	s_mov_b32 s17, -1
                                        ; implicit-def: $vgpr2
	s_branch .LBB22_504
.LBB22_496:
	s_mov_b32 s17, -1
                                        ; implicit-def: $vgpr2
	s_branch .LBB22_501
.LBB22_497:
	s_mov_b32 s17, -1
                                        ; implicit-def: $vgpr2
.LBB22_498:
	s_delay_alu instid0(SALU_CYCLE_1)
	s_and_not1_b32 vcc_lo, exec_lo, s17
	s_cbranch_vccnz .LBB22_500
; %bb.499:
	s_wait_loadcnt 0x0
	global_load_b32 v2, v[0:1], off
	s_wait_loadcnt 0x0
	v_cvt_f32_i32_e32 v2, v2
	s_delay_alu instid0(VALU_DEP_1)
	v_cvt_f16_f32_e32 v2, v2
.LBB22_500:
	s_mov_b32 s17, 0
.LBB22_501:
	s_delay_alu instid0(SALU_CYCLE_1)
	s_and_not1_b32 vcc_lo, exec_lo, s17
	s_cbranch_vccnz .LBB22_503
; %bb.502:
	s_wait_loadcnt 0x0
	global_load_u16 v2, v[0:1], off
	s_wait_loadcnt 0x0
	v_cvt_f16_i16_e32 v2, v2
.LBB22_503:
	s_mov_b32 s17, 0
.LBB22_504:
	s_delay_alu instid0(SALU_CYCLE_1)
	s_and_not1_b32 vcc_lo, exec_lo, s17
	s_cbranch_vccnz .LBB22_510
; %bb.505:
	s_cmp_gt_i32 s0, 0
	s_mov_b32 s0, 0
	s_cbranch_scc0 .LBB22_507
; %bb.506:
	s_wait_loadcnt 0x0
	global_load_i8 v2, v[0:1], off
	s_wait_loadcnt 0x0
	v_cvt_f16_i16_e32 v2, v2
	s_branch .LBB22_508
.LBB22_507:
	s_mov_b32 s0, -1
                                        ; implicit-def: $vgpr2
.LBB22_508:
	s_delay_alu instid0(SALU_CYCLE_1)
	s_and_not1_b32 vcc_lo, exec_lo, s0
	s_cbranch_vccnz .LBB22_510
; %bb.509:
	global_load_u8 v0, v[0:1], off
	s_wait_loadcnt 0x0
	v_cvt_f16_u16_e32 v2, v0
.LBB22_510:
	s_branch .LBB22_266
.LBB22_511:
	s_mov_b32 s19, 0
	s_mov_b32 s0, s12
.LBB22_512:
                                        ; implicit-def: $vgpr4
.LBB22_513:
	s_and_not1_b32 s17, s12, exec_lo
	s_and_b32 s0, s0, exec_lo
	s_and_not1_b32 s20, s14, exec_lo
	s_and_b32 s16, s16, exec_lo
	s_or_b32 s17, s17, s0
	s_or_b32 s16, s20, s16
	s_or_not1_b32 s0, s19, exec_lo
.LBB22_514:
	s_wait_xcnt 0x0
	s_or_b32 exec_lo, exec_lo, s18
	s_mov_b32 s19, 0
	s_mov_b32 s20, 0
	;; [unrolled: 1-line block ×3, first 2 shown]
                                        ; implicit-def: $vgpr0_vgpr1
                                        ; implicit-def: $vgpr3
	s_and_saveexec_b32 s18, s0
	s_cbranch_execz .LBB22_860
; %bb.515:
	s_mov_b32 s21, -1
	s_mov_b32 s0, s16
	s_mov_b32 s20, s17
	s_mov_b32 s19, exec_lo
	v_cmpx_gt_i32_e64 s13, v4
	s_cbranch_execz .LBB22_774
; %bb.516:
	v_mul_lo_u32 v0, v4, s9
	s_and_b32 s0, 0xffff, s3
	s_delay_alu instid0(SALU_CYCLE_1) | instskip(NEXT) | instid1(VALU_DEP_1)
	s_cmp_lt_i32 s0, 11
	v_ashrrev_i32_e32 v1, 31, v0
	s_delay_alu instid0(VALU_DEP_1)
	v_add_nc_u64_e32 v[0:1], s[6:7], v[0:1]
	s_cbranch_scc1 .LBB22_523
; %bb.517:
	s_cmp_gt_i32 s0, 25
	s_cbranch_scc0 .LBB22_524
; %bb.518:
	s_cmp_gt_i32 s0, 28
	s_cbranch_scc0 .LBB22_525
	;; [unrolled: 3-line block ×4, first 2 shown]
; %bb.521:
	s_cmp_eq_u32 s0, 46
	s_mov_b32 s22, 0
	s_cbranch_scc0 .LBB22_532
; %bb.522:
	s_wait_loadcnt 0x0
	global_load_b32 v2, v[0:1], off
	s_mov_b32 s20, 0
	s_wait_loadcnt 0x0
	v_lshlrev_b32_e32 v2, 16, v2
	s_delay_alu instid0(VALU_DEP_1)
	v_cvt_f16_f32_e32 v2, v2
	s_branch .LBB22_534
.LBB22_523:
	s_mov_b32 s22, -1
	s_mov_b32 s21, 0
	s_mov_b32 s20, s16
                                        ; implicit-def: $vgpr2
	s_branch .LBB22_599
.LBB22_524:
	s_mov_b32 s22, -1
	s_mov_b32 s21, 0
	s_mov_b32 s20, s16
                                        ; implicit-def: $vgpr2
	s_branch .LBB22_563
.LBB22_525:
	s_mov_b32 s22, -1
	s_mov_b32 s21, 0
	s_mov_b32 s20, s16
                                        ; implicit-def: $vgpr2
	s_branch .LBB22_544
.LBB22_526:
	s_mov_b32 s22, -1
	s_mov_b32 s21, 0
	s_mov_b32 s20, s16
                                        ; implicit-def: $vgpr2
	s_branch .LBB22_539
.LBB22_527:
	s_and_not1_saveexec_b32 s22, s22
	s_cbranch_execz .LBB22_351
.LBB22_528:
	v_add_f32_e64 v5, 0x46000000, |v3|
	s_and_not1_b32 s21, s21, exec_lo
	s_delay_alu instid0(VALU_DEP_1) | instskip(NEXT) | instid1(VALU_DEP_1)
	v_and_b32_e32 v5, 0xff, v5
	v_cmp_ne_u32_e32 vcc_lo, 0, v5
	s_and_b32 s23, vcc_lo, exec_lo
	s_delay_alu instid0(SALU_CYCLE_1)
	s_or_b32 s21, s21, s23
	s_or_b32 exec_lo, exec_lo, s22
	v_mov_b32_e32 v6, 0
	s_and_saveexec_b32 s22, s21
	s_cbranch_execnz .LBB22_352
	s_branch .LBB22_353
.LBB22_529:
	s_mov_b32 s22, -1
	s_mov_b32 s21, 0
	s_mov_b32 s20, s16
	s_branch .LBB22_533
.LBB22_530:
	s_and_not1_saveexec_b32 s22, s22
	s_cbranch_execz .LBB22_364
.LBB22_531:
	v_add_f32_e64 v5, 0x42800000, |v3|
	s_and_not1_b32 s21, s21, exec_lo
	s_delay_alu instid0(VALU_DEP_1) | instskip(NEXT) | instid1(VALU_DEP_1)
	v_and_b32_e32 v5, 0xff, v5
	v_cmp_ne_u32_e32 vcc_lo, 0, v5
	s_and_b32 s23, vcc_lo, exec_lo
	s_delay_alu instid0(SALU_CYCLE_1)
	s_or_b32 s21, s21, s23
	s_or_b32 exec_lo, exec_lo, s22
	v_mov_b32_e32 v6, 0
	s_and_saveexec_b32 s22, s21
	s_cbranch_execnz .LBB22_365
	s_branch .LBB22_366
.LBB22_532:
	s_mov_b32 s20, -1
	s_mov_b32 s21, 0
.LBB22_533:
                                        ; implicit-def: $vgpr2
.LBB22_534:
	s_and_b32 vcc_lo, exec_lo, s22
	s_cbranch_vccz .LBB22_538
; %bb.535:
	s_cmp_eq_u32 s0, 44
	s_cbranch_scc0 .LBB22_537
; %bb.536:
	s_wait_loadcnt 0x0
	global_load_u8 v2, v[0:1], off
	s_mov_b32 s20, 0
	s_mov_b32 s21, -1
	s_wait_loadcnt 0x0
	v_lshlrev_b32_e32 v3, 23, v2
	v_cmp_ne_u32_e32 vcc_lo, 0xff, v2
	s_delay_alu instid0(VALU_DEP_2) | instskip(NEXT) | instid1(VALU_DEP_1)
	v_cvt_f16_f32_e32 v3, v3
	v_cndmask_b32_e32 v3, 0x7e00, v3, vcc_lo
	v_cmp_ne_u32_e32 vcc_lo, 0, v2
	s_delay_alu instid0(VALU_DEP_2)
	v_cndmask_b32_e32 v2, 0, v3, vcc_lo
	s_branch .LBB22_538
.LBB22_537:
	s_mov_b32 s20, -1
                                        ; implicit-def: $vgpr2
.LBB22_538:
	s_mov_b32 s22, 0
.LBB22_539:
	s_delay_alu instid0(SALU_CYCLE_1)
	s_and_b32 vcc_lo, exec_lo, s22
	s_cbranch_vccz .LBB22_543
; %bb.540:
	s_cmp_eq_u32 s0, 29
	s_cbranch_scc0 .LBB22_542
; %bb.541:
	s_wait_loadcnt 0x0
	global_load_b64 v[2:3], v[0:1], off
	s_mov_b32 s21, -1
	s_mov_b32 s20, 0
	s_mov_b32 s22, 0
	s_wait_loadcnt 0x0
	v_clz_i32_u32_e32 v5, v3
	s_delay_alu instid0(VALU_DEP_1) | instskip(NEXT) | instid1(VALU_DEP_1)
	v_min_u32_e32 v5, 32, v5
	v_lshlrev_b64_e32 v[2:3], v5, v[2:3]
	s_delay_alu instid0(VALU_DEP_1) | instskip(NEXT) | instid1(VALU_DEP_1)
	v_min_u32_e32 v2, 1, v2
	v_dual_sub_nc_u32 v3, 32, v5 :: v_dual_bitop2_b32 v2, v3, v2 bitop3:0x54
	s_delay_alu instid0(VALU_DEP_1) | instskip(NEXT) | instid1(VALU_DEP_1)
	v_cvt_f32_u32_e32 v2, v2
	v_ldexp_f32 v2, v2, v3
	s_delay_alu instid0(VALU_DEP_1)
	v_cvt_f16_f32_e32 v2, v2
	s_branch .LBB22_544
.LBB22_542:
	s_mov_b32 s20, -1
                                        ; implicit-def: $vgpr2
.LBB22_543:
	s_mov_b32 s22, 0
.LBB22_544:
	s_delay_alu instid0(SALU_CYCLE_1)
	s_and_b32 vcc_lo, exec_lo, s22
	s_cbranch_vccz .LBB22_562
; %bb.545:
	s_cmp_lt_i32 s0, 27
	s_cbranch_scc1 .LBB22_548
; %bb.546:
	s_cmp_gt_i32 s0, 27
	s_cbranch_scc0 .LBB22_549
; %bb.547:
	s_wait_loadcnt 0x0
	global_load_b32 v2, v[0:1], off
	s_mov_b32 s21, 0
	s_wait_loadcnt 0x0
	v_cvt_f32_u32_e32 v2, v2
	s_delay_alu instid0(VALU_DEP_1)
	v_cvt_f16_f32_e32 v2, v2
	s_branch .LBB22_550
.LBB22_548:
	s_mov_b32 s21, -1
                                        ; implicit-def: $vgpr2
	s_branch .LBB22_553
.LBB22_549:
	s_mov_b32 s21, -1
                                        ; implicit-def: $vgpr2
.LBB22_550:
	s_delay_alu instid0(SALU_CYCLE_1)
	s_and_not1_b32 vcc_lo, exec_lo, s21
	s_cbranch_vccnz .LBB22_552
; %bb.551:
	s_wait_loadcnt 0x0
	global_load_u16 v2, v[0:1], off
	s_wait_loadcnt 0x0
	v_cvt_f16_u16_e32 v2, v2
.LBB22_552:
	s_mov_b32 s21, 0
.LBB22_553:
	s_delay_alu instid0(SALU_CYCLE_1)
	s_and_not1_b32 vcc_lo, exec_lo, s21
	s_cbranch_vccnz .LBB22_561
; %bb.554:
	global_load_u8 v3, v[0:1], off
	s_mov_b32 s21, 0
	s_mov_b32 s22, exec_lo
	s_wait_loadcnt 0x0
	v_cmpx_lt_i16_e32 0x7f, v3
	s_xor_b32 s22, exec_lo, s22
	s_cbranch_execz .LBB22_575
; %bb.555:
	s_mov_b32 s21, -1
	s_mov_b32 s23, exec_lo
	v_cmpx_eq_u16_e32 0x80, v3
; %bb.556:
	s_xor_b32 s21, exec_lo, -1
; %bb.557:
	s_or_b32 exec_lo, exec_lo, s23
	s_delay_alu instid0(SALU_CYCLE_1)
	s_and_b32 s21, s21, exec_lo
	s_or_saveexec_b32 s22, s22
	v_mov_b32_e32 v2, 0x7e00
	s_xor_b32 exec_lo, exec_lo, s22
	s_cbranch_execnz .LBB22_576
.LBB22_558:
	s_or_b32 exec_lo, exec_lo, s22
	s_and_saveexec_b32 s22, s21
	s_cbranch_execz .LBB22_560
.LBB22_559:
	v_and_b32_e32 v2, 0xffff, v3
	s_delay_alu instid0(VALU_DEP_1) | instskip(SKIP_1) | instid1(VALU_DEP_2)
	v_dual_lshlrev_b32 v3, 24, v3 :: v_dual_bitop2_b32 v5, 7, v2 bitop3:0x40
	v_bfe_u32 v8, v2, 3, 4
	v_and_b32_e32 v3, 0x80000000, v3
	s_delay_alu instid0(VALU_DEP_3) | instskip(NEXT) | instid1(VALU_DEP_3)
	v_clz_i32_u32_e32 v6, v5
	v_cmp_eq_u32_e32 vcc_lo, 0, v8
	s_delay_alu instid0(VALU_DEP_2) | instskip(NEXT) | instid1(VALU_DEP_1)
	v_min_u32_e32 v6, 32, v6
	v_subrev_nc_u32_e32 v7, 28, v6
	v_sub_nc_u32_e32 v6, 29, v6
	s_delay_alu instid0(VALU_DEP_2) | instskip(NEXT) | instid1(VALU_DEP_2)
	v_lshlrev_b32_e32 v2, v7, v2
	v_cndmask_b32_e32 v6, v8, v6, vcc_lo
	s_delay_alu instid0(VALU_DEP_2) | instskip(NEXT) | instid1(VALU_DEP_1)
	v_and_b32_e32 v2, 7, v2
	v_cndmask_b32_e32 v2, v5, v2, vcc_lo
	s_delay_alu instid0(VALU_DEP_3) | instskip(NEXT) | instid1(VALU_DEP_2)
	v_lshl_add_u32 v5, v6, 23, 0x3b800000
	v_lshlrev_b32_e32 v2, 20, v2
	s_delay_alu instid0(VALU_DEP_1) | instskip(NEXT) | instid1(VALU_DEP_1)
	v_or3_b32 v2, v3, v5, v2
	v_cvt_f16_f32_e32 v2, v2
.LBB22_560:
	s_or_b32 exec_lo, exec_lo, s22
.LBB22_561:
	s_mov_b32 s21, -1
.LBB22_562:
	s_mov_b32 s22, 0
.LBB22_563:
	s_delay_alu instid0(SALU_CYCLE_1)
	s_and_b32 vcc_lo, exec_lo, s22
	s_cbranch_vccz .LBB22_598
; %bb.564:
	s_cmp_gt_i32 s0, 22
	s_cbranch_scc0 .LBB22_574
; %bb.565:
	s_cmp_lt_i32 s0, 24
	s_cbranch_scc1 .LBB22_577
; %bb.566:
	s_cmp_gt_i32 s0, 24
	s_cbranch_scc0 .LBB22_578
; %bb.567:
	global_load_u8 v3, v[0:1], off
	s_mov_b32 s21, 0
	s_mov_b32 s22, exec_lo
	s_wait_loadcnt 0x0
	v_cmpx_lt_i16_e32 0x7f, v3
	s_xor_b32 s22, exec_lo, s22
	s_cbranch_execz .LBB22_590
; %bb.568:
	s_mov_b32 s21, -1
	s_mov_b32 s23, exec_lo
	v_cmpx_eq_u16_e32 0x80, v3
; %bb.569:
	s_xor_b32 s21, exec_lo, -1
; %bb.570:
	s_or_b32 exec_lo, exec_lo, s23
	s_delay_alu instid0(SALU_CYCLE_1)
	s_and_b32 s21, s21, exec_lo
	s_or_saveexec_b32 s22, s22
	v_mov_b32_e32 v2, 0x7e00
	s_xor_b32 exec_lo, exec_lo, s22
	s_cbranch_execnz .LBB22_591
.LBB22_571:
	s_or_b32 exec_lo, exec_lo, s22
	s_and_saveexec_b32 s22, s21
	s_cbranch_execz .LBB22_573
.LBB22_572:
	v_and_b32_e32 v2, 0xffff, v3
	s_delay_alu instid0(VALU_DEP_1) | instskip(SKIP_1) | instid1(VALU_DEP_2)
	v_dual_lshlrev_b32 v3, 24, v3 :: v_dual_bitop2_b32 v5, 3, v2 bitop3:0x40
	v_bfe_u32 v8, v2, 2, 5
	v_and_b32_e32 v3, 0x80000000, v3
	s_delay_alu instid0(VALU_DEP_3) | instskip(NEXT) | instid1(VALU_DEP_3)
	v_clz_i32_u32_e32 v6, v5
	v_cmp_eq_u32_e32 vcc_lo, 0, v8
	s_delay_alu instid0(VALU_DEP_2) | instskip(NEXT) | instid1(VALU_DEP_1)
	v_min_u32_e32 v6, 32, v6
	v_subrev_nc_u32_e32 v7, 29, v6
	v_sub_nc_u32_e32 v6, 30, v6
	s_delay_alu instid0(VALU_DEP_2) | instskip(NEXT) | instid1(VALU_DEP_2)
	v_lshlrev_b32_e32 v2, v7, v2
	v_cndmask_b32_e32 v6, v8, v6, vcc_lo
	s_delay_alu instid0(VALU_DEP_2) | instskip(NEXT) | instid1(VALU_DEP_1)
	v_and_b32_e32 v2, 3, v2
	v_cndmask_b32_e32 v2, v5, v2, vcc_lo
	s_delay_alu instid0(VALU_DEP_3) | instskip(NEXT) | instid1(VALU_DEP_2)
	v_lshl_add_u32 v5, v6, 23, 0x37800000
	v_lshlrev_b32_e32 v2, 21, v2
	s_delay_alu instid0(VALU_DEP_1) | instskip(NEXT) | instid1(VALU_DEP_1)
	v_or3_b32 v2, v3, v5, v2
	v_cvt_f16_f32_e32 v2, v2
.LBB22_573:
	s_or_b32 exec_lo, exec_lo, s22
	s_mov_b32 s21, 0
	s_branch .LBB22_579
.LBB22_574:
	s_mov_b32 s22, -1
                                        ; implicit-def: $vgpr2
	s_branch .LBB22_585
.LBB22_575:
	s_or_saveexec_b32 s22, s22
	v_mov_b32_e32 v2, 0x7e00
	s_xor_b32 exec_lo, exec_lo, s22
	s_cbranch_execz .LBB22_558
.LBB22_576:
	v_cmp_ne_u16_e32 vcc_lo, 0, v3
	v_mov_b32_e32 v2, v3
	s_and_not1_b32 s21, s21, exec_lo
	s_and_b32 s23, vcc_lo, exec_lo
	s_delay_alu instid0(SALU_CYCLE_1)
	s_or_b32 s21, s21, s23
	s_or_b32 exec_lo, exec_lo, s22
	s_and_saveexec_b32 s22, s21
	s_cbranch_execnz .LBB22_559
	s_branch .LBB22_560
.LBB22_577:
	s_mov_b32 s21, -1
                                        ; implicit-def: $vgpr2
	s_branch .LBB22_582
.LBB22_578:
	s_mov_b32 s21, -1
                                        ; implicit-def: $vgpr2
.LBB22_579:
	s_delay_alu instid0(SALU_CYCLE_1)
	s_and_b32 vcc_lo, exec_lo, s21
	s_cbranch_vccz .LBB22_581
; %bb.580:
	s_wait_loadcnt 0x0
	global_load_u8 v2, v[0:1], off
	s_wait_loadcnt 0x0
	v_lshlrev_b32_e32 v2, 24, v2
	s_delay_alu instid0(VALU_DEP_1) | instskip(NEXT) | instid1(VALU_DEP_1)
	v_and_b32_e32 v3, 0x7f000000, v2
	v_clz_i32_u32_e32 v5, v3
	v_add_nc_u32_e32 v7, 0x1000000, v3
	v_cmp_ne_u32_e32 vcc_lo, 0, v3
	s_delay_alu instid0(VALU_DEP_3) | instskip(NEXT) | instid1(VALU_DEP_1)
	v_min_u32_e32 v5, 32, v5
	v_sub_nc_u32_e64 v5, v5, 4 clamp
	s_delay_alu instid0(VALU_DEP_1) | instskip(NEXT) | instid1(VALU_DEP_1)
	v_dual_lshlrev_b32 v6, v5, v3 :: v_dual_lshlrev_b32 v5, 23, v5
	v_lshrrev_b32_e32 v6, 4, v6
	s_delay_alu instid0(VALU_DEP_1) | instskip(NEXT) | instid1(VALU_DEP_1)
	v_dual_sub_nc_u32 v5, v6, v5 :: v_dual_ashrrev_i32 v6, 8, v7
	v_add_nc_u32_e32 v5, 0x3c000000, v5
	s_delay_alu instid0(VALU_DEP_1) | instskip(NEXT) | instid1(VALU_DEP_1)
	v_and_or_b32 v5, 0x7f800000, v6, v5
	v_cndmask_b32_e32 v3, 0, v5, vcc_lo
	s_delay_alu instid0(VALU_DEP_1) | instskip(NEXT) | instid1(VALU_DEP_1)
	v_and_or_b32 v2, 0x80000000, v2, v3
	v_cvt_f16_f32_e32 v2, v2
.LBB22_581:
	s_mov_b32 s21, 0
.LBB22_582:
	s_delay_alu instid0(SALU_CYCLE_1)
	s_and_not1_b32 vcc_lo, exec_lo, s21
	s_cbranch_vccnz .LBB22_584
; %bb.583:
	s_wait_loadcnt 0x0
	global_load_u8 v2, v[0:1], off
	s_wait_loadcnt 0x0
	v_lshlrev_b32_e32 v3, 25, v2
	v_lshlrev_b16 v2, 8, v2
	s_delay_alu instid0(VALU_DEP_2) | instskip(NEXT) | instid1(VALU_DEP_2)
	v_cmp_gt_u32_e32 vcc_lo, 0x8000000, v3
	v_and_or_b32 v6, 0x7f00, v2, 0.5
	v_lshrrev_b32_e32 v5, 4, v3
	v_bfe_i32 v2, v2, 0, 16
	s_delay_alu instid0(VALU_DEP_3) | instskip(NEXT) | instid1(VALU_DEP_3)
	v_add_f32_e32 v6, -0.5, v6
	v_or_b32_e32 v5, 0x70000000, v5
	s_delay_alu instid0(VALU_DEP_1) | instskip(NEXT) | instid1(VALU_DEP_1)
	v_mul_f32_e32 v5, 0x7800000, v5
	v_cndmask_b32_e32 v3, v5, v6, vcc_lo
	s_delay_alu instid0(VALU_DEP_1) | instskip(NEXT) | instid1(VALU_DEP_1)
	v_and_or_b32 v2, 0x80000000, v2, v3
	v_cvt_f16_f32_e32 v2, v2
.LBB22_584:
	s_mov_b32 s22, 0
	s_mov_b32 s21, -1
.LBB22_585:
	s_and_not1_b32 vcc_lo, exec_lo, s22
	s_cbranch_vccnz .LBB22_598
; %bb.586:
	s_cmp_gt_i32 s0, 14
	s_cbranch_scc0 .LBB22_589
; %bb.587:
	s_cmp_eq_u32 s0, 15
	s_cbranch_scc0 .LBB22_592
; %bb.588:
	s_wait_loadcnt 0x0
	global_load_u16 v2, v[0:1], off
	s_mov_b32 s21, -1
	s_mov_b32 s20, 0
	s_wait_loadcnt 0x0
	v_lshlrev_b32_e32 v2, 16, v2
	s_delay_alu instid0(VALU_DEP_1)
	v_cvt_f16_f32_e32 v2, v2
	s_branch .LBB22_593
.LBB22_589:
	s_mov_b32 s22, -1
                                        ; implicit-def: $vgpr2
	s_branch .LBB22_594
.LBB22_590:
	s_or_saveexec_b32 s22, s22
	v_mov_b32_e32 v2, 0x7e00
	s_xor_b32 exec_lo, exec_lo, s22
	s_cbranch_execz .LBB22_571
.LBB22_591:
	v_cmp_ne_u16_e32 vcc_lo, 0, v3
	v_mov_b32_e32 v2, v3
	s_and_not1_b32 s21, s21, exec_lo
	s_and_b32 s23, vcc_lo, exec_lo
	s_delay_alu instid0(SALU_CYCLE_1)
	s_or_b32 s21, s21, s23
	s_or_b32 exec_lo, exec_lo, s22
	s_and_saveexec_b32 s22, s21
	s_cbranch_execnz .LBB22_572
	s_branch .LBB22_573
.LBB22_592:
	s_mov_b32 s20, -1
                                        ; implicit-def: $vgpr2
.LBB22_593:
	s_mov_b32 s22, 0
.LBB22_594:
	s_delay_alu instid0(SALU_CYCLE_1)
	s_and_b32 vcc_lo, exec_lo, s22
	s_cbranch_vccz .LBB22_598
; %bb.595:
	s_cmp_eq_u32 s0, 11
	s_cbranch_scc0 .LBB22_597
; %bb.596:
	s_wait_loadcnt 0x0
	global_load_u8 v2, v[0:1], off
	s_mov_b32 s20, 0
	s_mov_b32 s21, -1
	s_wait_loadcnt 0x0
	v_cmp_ne_u16_e32 vcc_lo, 0, v2
	v_cndmask_b32_e64 v2, 0, 0x3c00, vcc_lo
	s_branch .LBB22_598
.LBB22_597:
	s_mov_b32 s20, -1
                                        ; implicit-def: $vgpr2
.LBB22_598:
	s_mov_b32 s22, 0
.LBB22_599:
	s_delay_alu instid0(SALU_CYCLE_1)
	s_and_b32 vcc_lo, exec_lo, s22
	s_cbranch_vccz .LBB22_648
; %bb.600:
	s_cmp_lt_i32 s0, 5
	s_cbranch_scc1 .LBB22_605
; %bb.601:
	s_cmp_lt_i32 s0, 8
	s_cbranch_scc1 .LBB22_606
	;; [unrolled: 3-line block ×3, first 2 shown]
; %bb.603:
	s_cmp_gt_i32 s0, 9
	s_cbranch_scc0 .LBB22_608
; %bb.604:
	s_wait_loadcnt 0x0
	global_load_b64 v[2:3], v[0:1], off
	s_mov_b32 s21, 0
	s_wait_loadcnt 0x0
	v_and_or_b32 v2, 0x1ff, v3, v2
	v_lshrrev_b32_e32 v5, 8, v3
	v_bfe_u32 v6, v3, 20, 11
	v_lshrrev_b32_e32 v3, 16, v3
	s_delay_alu instid0(VALU_DEP_4) | instskip(NEXT) | instid1(VALU_DEP_3)
	v_cmp_ne_u32_e32 vcc_lo, 0, v2
	v_sub_nc_u32_e32 v7, 0x3f1, v6
	v_add_nc_u32_e32 v6, 0xfffffc10, v6
	v_cndmask_b32_e64 v2, 0, 1, vcc_lo
	s_delay_alu instid0(VALU_DEP_1) | instskip(NEXT) | instid1(VALU_DEP_4)
	v_and_or_b32 v2, 0xffe, v5, v2
	v_med3_i32 v5, v7, 0, 13
	s_delay_alu instid0(VALU_DEP_2) | instskip(NEXT) | instid1(VALU_DEP_1)
	v_or_b32_e32 v7, 0x1000, v2
	v_lshrrev_b32_e32 v8, v5, v7
	s_delay_alu instid0(VALU_DEP_1) | instskip(NEXT) | instid1(VALU_DEP_1)
	v_lshlrev_b32_e32 v5, v5, v8
	v_cmp_ne_u32_e32 vcc_lo, v5, v7
	v_lshl_or_b32 v7, v6, 12, v2
	v_cndmask_b32_e64 v5, 0, 1, vcc_lo
	v_cmp_gt_i32_e32 vcc_lo, 1, v6
	s_delay_alu instid0(VALU_DEP_2) | instskip(NEXT) | instid1(VALU_DEP_1)
	v_or_b32_e32 v5, v8, v5
	v_cndmask_b32_e32 v5, v7, v5, vcc_lo
	s_delay_alu instid0(VALU_DEP_1) | instskip(NEXT) | instid1(VALU_DEP_1)
	v_dual_lshrrev_b32 v5, 2, v5 :: v_dual_bitop2_b32 v7, 7, v5 bitop3:0x40
	v_cmp_lt_i32_e32 vcc_lo, 5, v7
	v_cndmask_b32_e64 v8, 0, 1, vcc_lo
	v_cmp_eq_u32_e32 vcc_lo, 3, v7
	v_cndmask_b32_e64 v7, 0, 1, vcc_lo
	v_cmp_ne_u32_e32 vcc_lo, 0, v2
	s_delay_alu instid0(VALU_DEP_2) | instskip(NEXT) | instid1(VALU_DEP_1)
	v_or_b32_e32 v7, v7, v8
	v_dual_mov_b32 v8, 0x7e00 :: v_dual_add_nc_u32 v5, v5, v7
	s_delay_alu instid0(VALU_DEP_1) | instskip(SKIP_1) | instid1(VALU_DEP_3)
	v_cndmask_b32_e32 v2, 0x7c00, v8, vcc_lo
	v_cmp_gt_i32_e32 vcc_lo, 31, v6
	v_cndmask_b32_e32 v5, 0x7c00, v5, vcc_lo
	v_cmp_eq_u32_e32 vcc_lo, 0x40f, v6
	s_delay_alu instid0(VALU_DEP_2) | instskip(NEXT) | instid1(VALU_DEP_1)
	v_cndmask_b32_e32 v2, v5, v2, vcc_lo
	v_and_or_b32 v2, 0x8000, v3, v2
	s_branch .LBB22_609
.LBB22_605:
	s_mov_b32 s21, -1
                                        ; implicit-def: $vgpr2
	s_branch .LBB22_627
.LBB22_606:
	s_mov_b32 s21, -1
                                        ; implicit-def: $vgpr2
	s_branch .LBB22_615
.LBB22_607:
	s_mov_b32 s21, -1
                                        ; implicit-def: $vgpr2
	s_branch .LBB22_612
.LBB22_608:
	s_mov_b32 s21, -1
                                        ; implicit-def: $vgpr2
.LBB22_609:
	s_delay_alu instid0(SALU_CYCLE_1)
	s_and_not1_b32 vcc_lo, exec_lo, s21
	s_cbranch_vccnz .LBB22_611
; %bb.610:
	s_wait_loadcnt 0x0
	global_load_b32 v2, v[0:1], off
	s_wait_loadcnt 0x0
	v_cvt_f16_f32_e32 v2, v2
.LBB22_611:
	s_mov_b32 s21, 0
.LBB22_612:
	s_delay_alu instid0(SALU_CYCLE_1)
	s_and_not1_b32 vcc_lo, exec_lo, s21
	s_cbranch_vccnz .LBB22_614
; %bb.613:
	s_wait_loadcnt 0x0
	global_load_b32 v2, v[0:1], off
.LBB22_614:
	s_mov_b32 s21, 0
.LBB22_615:
	s_delay_alu instid0(SALU_CYCLE_1)
	s_and_not1_b32 vcc_lo, exec_lo, s21
	s_cbranch_vccnz .LBB22_626
; %bb.616:
	s_cmp_lt_i32 s0, 6
	s_cbranch_scc1 .LBB22_619
; %bb.617:
	s_cmp_gt_i32 s0, 6
	s_cbranch_scc0 .LBB22_620
; %bb.618:
	s_wait_loadcnt 0x0
	global_load_b64 v[2:3], v[0:1], off
	s_mov_b32 s21, 0
	s_wait_loadcnt 0x0
	v_and_or_b32 v2, 0x1ff, v3, v2
	v_lshrrev_b32_e32 v5, 8, v3
	v_bfe_u32 v6, v3, 20, 11
	v_lshrrev_b32_e32 v3, 16, v3
	s_delay_alu instid0(VALU_DEP_4) | instskip(NEXT) | instid1(VALU_DEP_3)
	v_cmp_ne_u32_e32 vcc_lo, 0, v2
	v_sub_nc_u32_e32 v7, 0x3f1, v6
	v_add_nc_u32_e32 v6, 0xfffffc10, v6
	v_cndmask_b32_e64 v2, 0, 1, vcc_lo
	s_delay_alu instid0(VALU_DEP_1) | instskip(NEXT) | instid1(VALU_DEP_4)
	v_and_or_b32 v2, 0xffe, v5, v2
	v_med3_i32 v5, v7, 0, 13
	s_delay_alu instid0(VALU_DEP_2) | instskip(NEXT) | instid1(VALU_DEP_1)
	v_or_b32_e32 v7, 0x1000, v2
	v_lshrrev_b32_e32 v8, v5, v7
	s_delay_alu instid0(VALU_DEP_1) | instskip(NEXT) | instid1(VALU_DEP_1)
	v_lshlrev_b32_e32 v5, v5, v8
	v_cmp_ne_u32_e32 vcc_lo, v5, v7
	v_lshl_or_b32 v7, v6, 12, v2
	v_cndmask_b32_e64 v5, 0, 1, vcc_lo
	v_cmp_gt_i32_e32 vcc_lo, 1, v6
	s_delay_alu instid0(VALU_DEP_2) | instskip(NEXT) | instid1(VALU_DEP_1)
	v_or_b32_e32 v5, v8, v5
	v_cndmask_b32_e32 v5, v7, v5, vcc_lo
	s_delay_alu instid0(VALU_DEP_1) | instskip(NEXT) | instid1(VALU_DEP_1)
	v_dual_lshrrev_b32 v5, 2, v5 :: v_dual_bitop2_b32 v7, 7, v5 bitop3:0x40
	v_cmp_lt_i32_e32 vcc_lo, 5, v7
	v_cndmask_b32_e64 v8, 0, 1, vcc_lo
	v_cmp_eq_u32_e32 vcc_lo, 3, v7
	v_cndmask_b32_e64 v7, 0, 1, vcc_lo
	v_cmp_ne_u32_e32 vcc_lo, 0, v2
	s_delay_alu instid0(VALU_DEP_2) | instskip(NEXT) | instid1(VALU_DEP_1)
	v_or_b32_e32 v7, v7, v8
	v_dual_mov_b32 v8, 0x7e00 :: v_dual_add_nc_u32 v5, v5, v7
	s_delay_alu instid0(VALU_DEP_1) | instskip(SKIP_1) | instid1(VALU_DEP_3)
	v_cndmask_b32_e32 v2, 0x7c00, v8, vcc_lo
	v_cmp_gt_i32_e32 vcc_lo, 31, v6
	v_cndmask_b32_e32 v5, 0x7c00, v5, vcc_lo
	v_cmp_eq_u32_e32 vcc_lo, 0x40f, v6
	s_delay_alu instid0(VALU_DEP_2) | instskip(NEXT) | instid1(VALU_DEP_1)
	v_cndmask_b32_e32 v2, v5, v2, vcc_lo
	v_and_or_b32 v2, 0x8000, v3, v2
	s_branch .LBB22_621
.LBB22_619:
	s_mov_b32 s21, -1
                                        ; implicit-def: $vgpr2
	s_branch .LBB22_624
.LBB22_620:
	s_mov_b32 s21, -1
                                        ; implicit-def: $vgpr2
.LBB22_621:
	s_delay_alu instid0(SALU_CYCLE_1)
	s_and_not1_b32 vcc_lo, exec_lo, s21
	s_cbranch_vccnz .LBB22_623
; %bb.622:
	s_wait_loadcnt 0x0
	global_load_b32 v2, v[0:1], off
	s_wait_loadcnt 0x0
	v_cvt_f16_f32_e32 v2, v2
.LBB22_623:
	s_mov_b32 s21, 0
.LBB22_624:
	s_delay_alu instid0(SALU_CYCLE_1)
	s_and_not1_b32 vcc_lo, exec_lo, s21
	s_cbranch_vccnz .LBB22_626
; %bb.625:
	s_wait_loadcnt 0x0
	global_load_u16 v2, v[0:1], off
.LBB22_626:
	s_mov_b32 s21, 0
.LBB22_627:
	s_delay_alu instid0(SALU_CYCLE_1)
	s_and_not1_b32 vcc_lo, exec_lo, s21
	s_cbranch_vccnz .LBB22_647
; %bb.628:
	s_cmp_lt_i32 s0, 2
	s_cbranch_scc1 .LBB22_632
; %bb.629:
	s_cmp_lt_i32 s0, 3
	s_cbranch_scc1 .LBB22_633
; %bb.630:
	s_cmp_gt_i32 s0, 3
	s_cbranch_scc0 .LBB22_634
; %bb.631:
	s_wait_loadcnt 0x0
	global_load_b64 v[2:3], v[0:1], off
	s_mov_b32 s21, 0
	s_wait_loadcnt 0x0
	v_xor_b32_e32 v5, v2, v3
	v_cls_i32_e32 v6, v3
	s_delay_alu instid0(VALU_DEP_2) | instskip(NEXT) | instid1(VALU_DEP_1)
	v_ashrrev_i32_e32 v5, 31, v5
	v_add_nc_u32_e32 v5, 32, v5
	s_delay_alu instid0(VALU_DEP_1) | instskip(NEXT) | instid1(VALU_DEP_1)
	v_add_min_u32_e64 v5, v6, -1, v5
	v_lshlrev_b64_e32 v[2:3], v5, v[2:3]
	s_delay_alu instid0(VALU_DEP_1) | instskip(NEXT) | instid1(VALU_DEP_1)
	v_min_u32_e32 v2, 1, v2
	v_dual_sub_nc_u32 v3, 32, v5 :: v_dual_bitop2_b32 v2, v3, v2 bitop3:0x54
	s_delay_alu instid0(VALU_DEP_1) | instskip(NEXT) | instid1(VALU_DEP_1)
	v_cvt_f32_i32_e32 v2, v2
	v_ldexp_f32 v2, v2, v3
	s_delay_alu instid0(VALU_DEP_1)
	v_cvt_f16_f32_e32 v2, v2
	s_branch .LBB22_635
.LBB22_632:
	s_mov_b32 s21, -1
                                        ; implicit-def: $vgpr2
	s_branch .LBB22_641
.LBB22_633:
	s_mov_b32 s21, -1
                                        ; implicit-def: $vgpr2
	s_branch .LBB22_638
.LBB22_634:
	s_mov_b32 s21, -1
                                        ; implicit-def: $vgpr2
.LBB22_635:
	s_delay_alu instid0(SALU_CYCLE_1)
	s_and_not1_b32 vcc_lo, exec_lo, s21
	s_cbranch_vccnz .LBB22_637
; %bb.636:
	s_wait_loadcnt 0x0
	global_load_b32 v2, v[0:1], off
	s_wait_loadcnt 0x0
	v_cvt_f32_i32_e32 v2, v2
	s_delay_alu instid0(VALU_DEP_1)
	v_cvt_f16_f32_e32 v2, v2
.LBB22_637:
	s_mov_b32 s21, 0
.LBB22_638:
	s_delay_alu instid0(SALU_CYCLE_1)
	s_and_not1_b32 vcc_lo, exec_lo, s21
	s_cbranch_vccnz .LBB22_640
; %bb.639:
	s_wait_loadcnt 0x0
	global_load_u16 v2, v[0:1], off
	s_wait_loadcnt 0x0
	v_cvt_f16_i16_e32 v2, v2
.LBB22_640:
	s_mov_b32 s21, 0
.LBB22_641:
	s_delay_alu instid0(SALU_CYCLE_1)
	s_and_not1_b32 vcc_lo, exec_lo, s21
	s_cbranch_vccnz .LBB22_647
; %bb.642:
	s_cmp_gt_i32 s0, 0
	s_mov_b32 s0, 0
	s_cbranch_scc0 .LBB22_644
; %bb.643:
	s_wait_loadcnt 0x0
	global_load_i8 v2, v[0:1], off
	s_wait_loadcnt 0x0
	v_cvt_f16_i16_e32 v2, v2
	s_branch .LBB22_645
.LBB22_644:
	s_mov_b32 s0, -1
                                        ; implicit-def: $vgpr2
.LBB22_645:
	s_delay_alu instid0(SALU_CYCLE_1)
	s_and_not1_b32 vcc_lo, exec_lo, s0
	s_cbranch_vccnz .LBB22_647
; %bb.646:
	global_load_u8 v0, v[0:1], off
	s_wait_loadcnt 0x0
	v_cvt_f16_u16_e32 v2, v0
.LBB22_647:
	s_mov_b32 s21, -1
.LBB22_648:
	s_delay_alu instid0(SALU_CYCLE_1)
	s_and_not1_b32 vcc_lo, exec_lo, s21
	s_cbranch_vccnz .LBB22_656
; %bb.649:
	s_wait_xcnt 0x0
	v_mul_lo_u32 v0, v4, s8
	s_wait_loadcnt 0x0
	v_cmp_nge_f16_e64 s0, v2, -s10
	v_cmp_nge_f16_e32 vcc_lo, s10, v2
	s_and_b32 s21, s2, 0xff
	s_mov_b32 s23, 0
	s_mov_b32 s22, -1
	s_or_b32 vcc_lo, s0, vcc_lo
	s_cmp_lt_i32 s21, 11
	s_mov_b32 s0, s17
	v_dual_cndmask_b32 v2, 0, v2 :: v_dual_ashrrev_i32 v1, 31, v0
	s_delay_alu instid0(VALU_DEP_1)
	v_add_nc_u64_e32 v[0:1], s[4:5], v[0:1]
	s_cbranch_scc1 .LBB22_657
; %bb.650:
	s_and_b32 s22, 0xffff, s21
	s_delay_alu instid0(SALU_CYCLE_1)
	s_cmp_gt_i32 s22, 25
	s_cbranch_scc0 .LBB22_698
; %bb.651:
	s_cmp_gt_i32 s22, 28
	s_cbranch_scc0 .LBB22_699
; %bb.652:
	;; [unrolled: 3-line block ×4, first 2 shown]
	s_mov_b32 s24, 0
	s_mov_b32 s0, -1
	s_cmp_eq_u32 s22, 46
	s_cbranch_scc0 .LBB22_702
; %bb.655:
	v_cvt_f32_f16_e32 v3, v2
	v_cmp_o_f16_e32 vcc_lo, v2, v2
	s_mov_b32 s23, -1
	s_mov_b32 s0, 0
	s_delay_alu instid0(VALU_DEP_2) | instskip(NEXT) | instid1(VALU_DEP_1)
	v_bfe_u32 v5, v3, 16, 1
	v_add3_u32 v3, v3, v5, 0x7fff
	s_delay_alu instid0(VALU_DEP_1) | instskip(NEXT) | instid1(VALU_DEP_1)
	v_lshrrev_b32_e32 v3, 16, v3
	v_cndmask_b32_e32 v3, 0x7fc0, v3, vcc_lo
	global_store_b32 v[0:1], v3, off
	s_branch .LBB22_702
.LBB22_656:
	s_mov_b32 s21, 0
	s_mov_b32 s0, s17
	s_branch .LBB22_697
.LBB22_657:
	s_and_b32 vcc_lo, exec_lo, s22
	s_cbranch_vccz .LBB22_771
; %bb.658:
	s_and_b32 s21, 0xffff, s21
	s_mov_b32 s22, -1
	s_cmp_lt_i32 s21, 5
	s_cbranch_scc1 .LBB22_679
; %bb.659:
	s_cmp_lt_i32 s21, 8
	s_cbranch_scc1 .LBB22_669
; %bb.660:
	;; [unrolled: 3-line block ×3, first 2 shown]
	s_cmp_gt_i32 s21, 9
	s_cbranch_scc0 .LBB22_663
; %bb.662:
	s_wait_xcnt 0x0
	v_cvt_f32_f16_e32 v3, v2
	v_mov_b32_e32 v8, 0
	s_mov_b32 s22, 0
	s_delay_alu instid0(VALU_DEP_2) | instskip(NEXT) | instid1(VALU_DEP_2)
	v_cvt_f64_f32_e32 v[6:7], v3
	v_mov_b32_e32 v9, v8
	global_store_b128 v[0:1], v[6:9], off
.LBB22_663:
	s_and_not1_b32 vcc_lo, exec_lo, s22
	s_cbranch_vccnz .LBB22_665
; %bb.664:
	s_wait_xcnt 0x0
	v_cvt_f32_f16_e32 v6, v2
	v_mov_b32_e32 v7, 0
	global_store_b64 v[0:1], v[6:7], off
.LBB22_665:
	s_mov_b32 s22, 0
.LBB22_666:
	s_delay_alu instid0(SALU_CYCLE_1)
	s_and_not1_b32 vcc_lo, exec_lo, s22
	s_cbranch_vccnz .LBB22_668
; %bb.667:
	s_wait_xcnt 0x0
	v_and_b32_e32 v3, 0xffff, v2
	global_store_b32 v[0:1], v3, off
.LBB22_668:
	s_mov_b32 s22, 0
.LBB22_669:
	s_delay_alu instid0(SALU_CYCLE_1)
	s_and_not1_b32 vcc_lo, exec_lo, s22
	s_cbranch_vccnz .LBB22_678
; %bb.670:
	s_cmp_lt_i32 s21, 6
	s_mov_b32 s22, -1
	s_cbranch_scc1 .LBB22_676
; %bb.671:
	s_cmp_gt_i32 s21, 6
	s_cbranch_scc0 .LBB22_673
; %bb.672:
	s_wait_xcnt 0x0
	v_cvt_f32_f16_e32 v3, v2
	s_mov_b32 s22, 0
	s_delay_alu instid0(VALU_DEP_1)
	v_cvt_f64_f32_e32 v[6:7], v3
	global_store_b64 v[0:1], v[6:7], off
.LBB22_673:
	s_and_not1_b32 vcc_lo, exec_lo, s22
	s_cbranch_vccnz .LBB22_675
; %bb.674:
	s_wait_xcnt 0x0
	v_cvt_f32_f16_e32 v3, v2
	global_store_b32 v[0:1], v3, off
.LBB22_675:
	s_mov_b32 s22, 0
.LBB22_676:
	s_delay_alu instid0(SALU_CYCLE_1)
	s_and_not1_b32 vcc_lo, exec_lo, s22
	s_cbranch_vccnz .LBB22_678
; %bb.677:
	global_store_b16 v[0:1], v2, off
.LBB22_678:
	s_mov_b32 s22, 0
.LBB22_679:
	s_delay_alu instid0(SALU_CYCLE_1)
	s_and_not1_b32 vcc_lo, exec_lo, s22
	s_cbranch_vccnz .LBB22_695
; %bb.680:
	s_cmp_lt_i32 s21, 2
	s_mov_b32 s22, -1
	s_cbranch_scc1 .LBB22_690
; %bb.681:
	s_cmp_lt_i32 s21, 3
	s_cbranch_scc1 .LBB22_687
; %bb.682:
	s_cmp_gt_i32 s21, 3
	s_cbranch_scc0 .LBB22_684
; %bb.683:
	s_wait_xcnt 0x0
	v_cvt_f32_f16_e32 v3, v2
	s_mov_b32 s22, 0
	s_delay_alu instid0(VALU_DEP_1) | instskip(NEXT) | instid1(VALU_DEP_1)
	v_cvt_i32_f32_e32 v6, v3
	v_ashrrev_i32_e32 v7, 31, v6
	global_store_b64 v[0:1], v[6:7], off
.LBB22_684:
	s_and_not1_b32 vcc_lo, exec_lo, s22
	s_cbranch_vccnz .LBB22_686
; %bb.685:
	s_wait_xcnt 0x0
	v_cvt_f32_f16_e32 v3, v2
	s_delay_alu instid0(VALU_DEP_1)
	v_cvt_i32_f32_e32 v3, v3
	global_store_b32 v[0:1], v3, off
.LBB22_686:
	s_mov_b32 s22, 0
.LBB22_687:
	s_delay_alu instid0(SALU_CYCLE_1)
	s_and_not1_b32 vcc_lo, exec_lo, s22
	s_cbranch_vccnz .LBB22_689
; %bb.688:
	s_wait_xcnt 0x0
	v_cvt_i16_f16_e32 v3, v2
	global_store_b16 v[0:1], v3, off
.LBB22_689:
	s_mov_b32 s22, 0
.LBB22_690:
	s_delay_alu instid0(SALU_CYCLE_1)
	s_and_not1_b32 vcc_lo, exec_lo, s22
	s_cbranch_vccnz .LBB22_695
; %bb.691:
	s_cmp_gt_i32 s21, 0
	s_mov_b32 s21, -1
	s_cbranch_scc0 .LBB22_693
; %bb.692:
	s_wait_xcnt 0x0
	v_cvt_i16_f16_e32 v3, v2
	s_mov_b32 s21, 0
	global_store_b8 v[0:1], v3, off
.LBB22_693:
	s_and_not1_b32 vcc_lo, exec_lo, s21
	s_cbranch_vccnz .LBB22_695
; %bb.694:
	s_wait_xcnt 0x0
	v_cvt_f32_f16_e32 v2, v2
	s_delay_alu instid0(VALU_DEP_1)
	v_cvt_i32_f32_e32 v2, v2
	global_store_b8 v[0:1], v2, off
.LBB22_695:
	s_branch .LBB22_772
.LBB22_696:
	s_mov_b32 s21, 0
.LBB22_697:
                                        ; implicit-def: $vgpr4
	s_branch .LBB22_773
.LBB22_698:
	s_mov_b32 s24, -1
	s_mov_b32 s0, s17
	s_branch .LBB22_729
.LBB22_699:
	s_mov_b32 s24, -1
	s_mov_b32 s0, s17
	s_branch .LBB22_712
.LBB22_700:
	s_mov_b32 s24, -1
	s_mov_b32 s0, s17
	s_branch .LBB22_708
.LBB22_701:
	s_mov_b32 s24, -1
	s_mov_b32 s0, s17
.LBB22_702:
	s_and_b32 vcc_lo, exec_lo, s24
	s_cbranch_vccz .LBB22_707
; %bb.703:
	s_cmp_eq_u32 s22, 44
	s_mov_b32 s0, -1
	s_cbranch_scc0 .LBB22_707
; %bb.704:
	s_wait_xcnt 0x0
	v_cvt_f32_f16_e32 v3, v2
	v_mov_b32_e32 v5, 0xff
	s_mov_b32 s23, exec_lo
	s_delay_alu instid0(VALU_DEP_2) | instskip(NEXT) | instid1(VALU_DEP_1)
	v_bfe_u32 v6, v3, 23, 8
	v_cmpx_ne_u32_e32 0xff, v6
	s_cbranch_execz .LBB22_706
; %bb.705:
	v_and_b32_e32 v5, 0x400000, v3
	v_and_or_b32 v6, 0x3fffff, v3, v6
	v_lshrrev_b32_e32 v3, 23, v3
	s_delay_alu instid0(VALU_DEP_3) | instskip(NEXT) | instid1(VALU_DEP_3)
	v_cmp_ne_u32_e32 vcc_lo, 0, v5
	v_cmp_ne_u32_e64 s0, 0, v6
	s_and_b32 s0, vcc_lo, s0
	s_delay_alu instid0(SALU_CYCLE_1) | instskip(NEXT) | instid1(VALU_DEP_1)
	v_cndmask_b32_e64 v5, 0, 1, s0
	v_add_nc_u32_e32 v5, v3, v5
.LBB22_706:
	s_or_b32 exec_lo, exec_lo, s23
	s_mov_b32 s23, -1
	s_mov_b32 s0, 0
	global_store_b8 v[0:1], v5, off
.LBB22_707:
	s_mov_b32 s24, 0
.LBB22_708:
	s_delay_alu instid0(SALU_CYCLE_1)
	s_and_b32 vcc_lo, exec_lo, s24
	s_cbranch_vccz .LBB22_711
; %bb.709:
	s_cmp_eq_u32 s22, 29
	s_mov_b32 s0, -1
	s_cbranch_scc0 .LBB22_711
; %bb.710:
	s_wait_xcnt 0x0
	v_cvt_f32_f16_e32 v3, v2
	v_mov_b32_e32 v7, 0
	s_mov_b32 s23, -1
	s_mov_b32 s0, 0
	s_mov_b32 s24, 0
	v_cvt_u32_f32_e32 v6, v3
	global_store_b64 v[0:1], v[6:7], off
	s_branch .LBB22_712
.LBB22_711:
	s_mov_b32 s24, 0
.LBB22_712:
	s_delay_alu instid0(SALU_CYCLE_1)
	s_and_b32 vcc_lo, exec_lo, s24
	s_cbranch_vccz .LBB22_728
; %bb.713:
	s_cmp_lt_i32 s22, 27
	s_mov_b32 s23, -1
	s_cbranch_scc1 .LBB22_719
; %bb.714:
	s_cmp_gt_i32 s22, 27
	s_cbranch_scc0 .LBB22_716
; %bb.715:
	s_wait_xcnt 0x0
	v_cvt_f32_f16_e32 v3, v2
	s_mov_b32 s23, 0
	s_delay_alu instid0(VALU_DEP_1)
	v_cvt_u32_f32_e32 v3, v3
	global_store_b32 v[0:1], v3, off
.LBB22_716:
	s_and_not1_b32 vcc_lo, exec_lo, s23
	s_cbranch_vccnz .LBB22_718
; %bb.717:
	s_wait_xcnt 0x0
	v_cvt_u16_f16_e32 v3, v2
	global_store_b16 v[0:1], v3, off
.LBB22_718:
	s_mov_b32 s23, 0
.LBB22_719:
	s_delay_alu instid0(SALU_CYCLE_1)
	s_and_not1_b32 vcc_lo, exec_lo, s23
	s_cbranch_vccnz .LBB22_727
; %bb.720:
	s_wait_xcnt 0x0
	v_cvt_f32_f16_e32 v3, v2
	v_mov_b32_e32 v6, 0x80
	s_mov_b32 s23, exec_lo
	s_delay_alu instid0(VALU_DEP_2) | instskip(NEXT) | instid1(VALU_DEP_1)
	v_and_b32_e32 v5, 0x7fffffff, v3
	v_cmpx_gt_u32_e32 0x43800000, v5
	s_cbranch_execz .LBB22_726
; %bb.721:
	v_cmp_lt_u32_e32 vcc_lo, 0x3bffffff, v5
	s_mov_b32 s24, 0
                                        ; implicit-def: $vgpr5
	s_and_saveexec_b32 s25, vcc_lo
	s_delay_alu instid0(SALU_CYCLE_1)
	s_xor_b32 s25, exec_lo, s25
	s_cbranch_execz .LBB22_787
; %bb.722:
	v_bfe_u32 v5, v3, 20, 1
	s_mov_b32 s24, exec_lo
	s_delay_alu instid0(VALU_DEP_1) | instskip(NEXT) | instid1(VALU_DEP_1)
	v_add3_u32 v5, v3, v5, 0x487ffff
	v_lshrrev_b32_e32 v5, 20, v5
	s_and_not1_saveexec_b32 s25, s25
	s_cbranch_execnz .LBB22_788
.LBB22_723:
	s_or_b32 exec_lo, exec_lo, s25
	v_mov_b32_e32 v6, 0
	s_and_saveexec_b32 s25, s24
.LBB22_724:
	v_lshrrev_b32_e32 v3, 24, v3
	s_delay_alu instid0(VALU_DEP_1)
	v_and_or_b32 v6, 0x80, v3, v5
.LBB22_725:
	s_or_b32 exec_lo, exec_lo, s25
.LBB22_726:
	s_delay_alu instid0(SALU_CYCLE_1)
	s_or_b32 exec_lo, exec_lo, s23
	global_store_b8 v[0:1], v6, off
.LBB22_727:
	s_mov_b32 s23, -1
.LBB22_728:
	s_mov_b32 s24, 0
.LBB22_729:
	s_delay_alu instid0(SALU_CYCLE_1)
	s_and_b32 vcc_lo, exec_lo, s24
	s_cbranch_vccz .LBB22_770
; %bb.730:
	s_cmp_gt_i32 s22, 22
	s_mov_b32 s24, -1
	s_cbranch_scc0 .LBB22_762
; %bb.731:
	s_cmp_lt_i32 s22, 24
	s_mov_b32 s23, -1
	s_cbranch_scc1 .LBB22_751
; %bb.732:
	s_cmp_gt_i32 s22, 24
	s_cbranch_scc0 .LBB22_740
; %bb.733:
	s_wait_xcnt 0x0
	v_cvt_f32_f16_e32 v3, v2
	v_mov_b32_e32 v6, 0x80
	s_mov_b32 s23, exec_lo
	s_delay_alu instid0(VALU_DEP_2) | instskip(NEXT) | instid1(VALU_DEP_1)
	v_and_b32_e32 v5, 0x7fffffff, v3
	v_cmpx_gt_u32_e32 0x47800000, v5
	s_cbranch_execz .LBB22_739
; %bb.734:
	v_cmp_lt_u32_e32 vcc_lo, 0x37ffffff, v5
	s_mov_b32 s24, 0
                                        ; implicit-def: $vgpr5
	s_and_saveexec_b32 s25, vcc_lo
	s_delay_alu instid0(SALU_CYCLE_1)
	s_xor_b32 s25, exec_lo, s25
	s_cbranch_execz .LBB22_790
; %bb.735:
	v_bfe_u32 v5, v3, 21, 1
	s_mov_b32 s24, exec_lo
	s_delay_alu instid0(VALU_DEP_1) | instskip(NEXT) | instid1(VALU_DEP_1)
	v_add3_u32 v5, v3, v5, 0x88fffff
	v_lshrrev_b32_e32 v5, 21, v5
	s_and_not1_saveexec_b32 s25, s25
	s_cbranch_execnz .LBB22_791
.LBB22_736:
	s_or_b32 exec_lo, exec_lo, s25
	v_mov_b32_e32 v6, 0
	s_and_saveexec_b32 s25, s24
.LBB22_737:
	v_lshrrev_b32_e32 v3, 24, v3
	s_delay_alu instid0(VALU_DEP_1)
	v_and_or_b32 v6, 0x80, v3, v5
.LBB22_738:
	s_or_b32 exec_lo, exec_lo, s25
.LBB22_739:
	s_delay_alu instid0(SALU_CYCLE_1)
	s_or_b32 exec_lo, exec_lo, s23
	s_mov_b32 s23, 0
	global_store_b8 v[0:1], v6, off
.LBB22_740:
	s_and_b32 vcc_lo, exec_lo, s23
	s_cbranch_vccz .LBB22_750
; %bb.741:
	s_wait_xcnt 0x0
	v_cvt_f32_f16_e32 v3, v2
	s_mov_b32 s23, exec_lo
                                        ; implicit-def: $vgpr5
	s_delay_alu instid0(VALU_DEP_1) | instskip(NEXT) | instid1(VALU_DEP_1)
	v_and_b32_e32 v6, 0x7fffffff, v3
	v_cmpx_gt_u32_e32 0x43f00000, v6
	s_xor_b32 s23, exec_lo, s23
	s_cbranch_execz .LBB22_747
; %bb.742:
	s_mov_b32 s24, exec_lo
                                        ; implicit-def: $vgpr5
	v_cmpx_lt_u32_e32 0x3c7fffff, v6
	s_xor_b32 s24, exec_lo, s24
; %bb.743:
	v_bfe_u32 v5, v3, 20, 1
	s_delay_alu instid0(VALU_DEP_1) | instskip(NEXT) | instid1(VALU_DEP_1)
	v_add3_u32 v5, v3, v5, 0x407ffff
	v_and_b32_e32 v6, 0xff00000, v5
	v_lshrrev_b32_e32 v5, 20, v5
	s_delay_alu instid0(VALU_DEP_2) | instskip(NEXT) | instid1(VALU_DEP_2)
	v_cmp_ne_u32_e32 vcc_lo, 0x7f00000, v6
	v_cndmask_b32_e32 v5, 0x7e, v5, vcc_lo
; %bb.744:
	s_and_not1_saveexec_b32 s24, s24
; %bb.745:
	v_add_f32_e64 v5, 0x46800000, |v3|
; %bb.746:
	s_or_b32 exec_lo, exec_lo, s24
                                        ; implicit-def: $vgpr6
.LBB22_747:
	s_and_not1_saveexec_b32 s23, s23
; %bb.748:
	v_mov_b32_e32 v5, 0x7f
	v_cmp_lt_u32_e32 vcc_lo, 0x7f800000, v6
	s_delay_alu instid0(VALU_DEP_2)
	v_cndmask_b32_e32 v5, 0x7e, v5, vcc_lo
; %bb.749:
	s_or_b32 exec_lo, exec_lo, s23
	v_lshrrev_b32_e32 v3, 24, v3
	s_delay_alu instid0(VALU_DEP_1)
	v_and_or_b32 v3, 0x80, v3, v5
	global_store_b8 v[0:1], v3, off
.LBB22_750:
	s_mov_b32 s23, 0
.LBB22_751:
	s_delay_alu instid0(SALU_CYCLE_1)
	s_and_not1_b32 vcc_lo, exec_lo, s23
	s_cbranch_vccnz .LBB22_761
; %bb.752:
	s_wait_xcnt 0x0
	v_cvt_f32_f16_e32 v3, v2
	s_mov_b32 s23, exec_lo
                                        ; implicit-def: $vgpr5
	s_delay_alu instid0(VALU_DEP_1) | instskip(NEXT) | instid1(VALU_DEP_1)
	v_and_b32_e32 v6, 0x7fffffff, v3
	v_cmpx_gt_u32_e32 0x47800000, v6
	s_xor_b32 s23, exec_lo, s23
	s_cbranch_execz .LBB22_758
; %bb.753:
	s_mov_b32 s24, exec_lo
                                        ; implicit-def: $vgpr5
	v_cmpx_lt_u32_e32 0x387fffff, v6
	s_xor_b32 s24, exec_lo, s24
; %bb.754:
	v_bfe_u32 v5, v3, 21, 1
	s_delay_alu instid0(VALU_DEP_1) | instskip(NEXT) | instid1(VALU_DEP_1)
	v_add3_u32 v5, v3, v5, 0x80fffff
	v_lshrrev_b32_e32 v5, 21, v5
; %bb.755:
	s_and_not1_saveexec_b32 s24, s24
; %bb.756:
	v_add_f32_e64 v5, 0x43000000, |v3|
; %bb.757:
	s_or_b32 exec_lo, exec_lo, s24
                                        ; implicit-def: $vgpr6
.LBB22_758:
	s_and_not1_saveexec_b32 s23, s23
; %bb.759:
	v_mov_b32_e32 v5, 0x7f
	v_cmp_lt_u32_e32 vcc_lo, 0x7f800000, v6
	s_delay_alu instid0(VALU_DEP_2)
	v_cndmask_b32_e32 v5, 0x7c, v5, vcc_lo
; %bb.760:
	s_or_b32 exec_lo, exec_lo, s23
	v_lshrrev_b32_e32 v3, 24, v3
	s_delay_alu instid0(VALU_DEP_1)
	v_and_or_b32 v3, 0x80, v3, v5
	global_store_b8 v[0:1], v3, off
.LBB22_761:
	s_mov_b32 s24, 0
	s_mov_b32 s23, -1
.LBB22_762:
	s_and_not1_b32 vcc_lo, exec_lo, s24
	s_cbranch_vccnz .LBB22_770
; %bb.763:
	s_cmp_gt_i32 s22, 14
	s_mov_b32 s24, -1
	s_cbranch_scc0 .LBB22_767
; %bb.764:
	s_cmp_eq_u32 s22, 15
	s_mov_b32 s0, -1
	s_cbranch_scc0 .LBB22_766
; %bb.765:
	s_wait_xcnt 0x0
	v_cvt_f32_f16_e32 v3, v2
	v_cmp_o_f16_e32 vcc_lo, v2, v2
	s_mov_b32 s23, -1
	s_mov_b32 s0, 0
	s_delay_alu instid0(VALU_DEP_2) | instskip(NEXT) | instid1(VALU_DEP_1)
	v_bfe_u32 v5, v3, 16, 1
	v_add3_u32 v3, v3, v5, 0x7fff
	s_delay_alu instid0(VALU_DEP_1) | instskip(NEXT) | instid1(VALU_DEP_1)
	v_lshrrev_b32_e32 v3, 16, v3
	v_cndmask_b32_e32 v3, 0x7fc0, v3, vcc_lo
	global_store_b16 v[0:1], v3, off
.LBB22_766:
	s_mov_b32 s24, 0
.LBB22_767:
	s_delay_alu instid0(SALU_CYCLE_1)
	s_and_b32 vcc_lo, exec_lo, s24
	s_cbranch_vccz .LBB22_770
; %bb.768:
	s_cmp_eq_u32 s22, 11
	s_mov_b32 s0, -1
	s_cbranch_scc0 .LBB22_770
; %bb.769:
	s_wait_xcnt 0x0
	v_and_b32_e32 v3, 0x7fff, v2
	s_mov_b32 s0, 0
	s_mov_b32 s23, -1
	s_delay_alu instid0(VALU_DEP_1)
	v_cmp_ne_u16_e32 vcc_lo, 0, v3
	v_cndmask_b32_e64 v3, 0, 1, vcc_lo
	global_store_b8 v[0:1], v3, off
.LBB22_770:
.LBB22_771:
	s_and_not1_b32 vcc_lo, exec_lo, s23
	s_cbranch_vccnz .LBB22_696
.LBB22_772:
	v_add_nc_u32_e32 v4, 0x80, v4
	s_mov_b32 s21, -1
.LBB22_773:
	s_and_not1_b32 s22, s17, exec_lo
	s_and_b32 s0, s0, exec_lo
	s_and_not1_b32 s23, s16, exec_lo
	s_and_b32 s24, s20, exec_lo
	s_or_b32 s20, s22, s0
	s_or_b32 s0, s23, s24
	s_or_not1_b32 s21, s21, exec_lo
.LBB22_774:
	s_wait_xcnt 0x0
	s_or_b32 exec_lo, exec_lo, s19
	s_mov_b32 s22, 0
	s_mov_b32 s23, 0
	;; [unrolled: 1-line block ×3, first 2 shown]
                                        ; implicit-def: $vgpr0_vgpr1
                                        ; implicit-def: $vgpr3
	s_and_saveexec_b32 s19, s21
	s_cbranch_execz .LBB22_859
; %bb.775:
	v_cmp_gt_i32_e32 vcc_lo, s13, v4
	s_mov_b32 s21, 0
	s_mov_b32 s22, s0
	;; [unrolled: 1-line block ×3, first 2 shown]
                                        ; implicit-def: $vgpr0_vgpr1
                                        ; implicit-def: $vgpr3
	s_and_saveexec_b32 s13, vcc_lo
	s_cbranch_execz .LBB22_858
; %bb.776:
	v_mul_lo_u32 v0, v4, s9
	s_and_b32 s21, 0xffff, s3
	s_delay_alu instid0(SALU_CYCLE_1) | instskip(NEXT) | instid1(VALU_DEP_1)
	s_cmp_lt_i32 s21, 11
	v_ashrrev_i32_e32 v1, 31, v0
	s_delay_alu instid0(VALU_DEP_1)
	v_add_nc_u64_e32 v[0:1], s[6:7], v[0:1]
	s_cbranch_scc1 .LBB22_783
; %bb.777:
	s_cmp_gt_i32 s21, 25
	s_cbranch_scc0 .LBB22_784
; %bb.778:
	s_cmp_gt_i32 s21, 28
	s_cbranch_scc0 .LBB22_785
	;; [unrolled: 3-line block ×4, first 2 shown]
; %bb.781:
	s_cmp_eq_u32 s21, 46
	s_cbranch_scc0 .LBB22_792
; %bb.782:
	s_wait_loadcnt 0x0
	global_load_b32 v2, v[0:1], off
	s_mov_b32 s22, 0
	s_mov_b32 s24, -1
	s_wait_loadcnt 0x0
	v_lshlrev_b32_e32 v2, 16, v2
	s_delay_alu instid0(VALU_DEP_1)
	v_cvt_f16_f32_e32 v3, v2
	s_branch .LBB22_794
.LBB22_783:
	s_mov_b32 s21, -1
	s_mov_b32 s22, s0
                                        ; implicit-def: $vgpr3
	s_branch .LBB22_857
.LBB22_784:
	s_mov_b32 s25, -1
	s_mov_b32 s22, s0
                                        ; implicit-def: $vgpr3
	s_branch .LBB22_823
.LBB22_785:
	s_mov_b32 s25, -1
	s_mov_b32 s22, s0
                                        ; implicit-def: $vgpr3
	s_branch .LBB22_804
.LBB22_786:
	s_mov_b32 s25, -1
	s_mov_b32 s22, s0
                                        ; implicit-def: $vgpr3
	s_branch .LBB22_799
.LBB22_787:
	s_and_not1_saveexec_b32 s25, s25
	s_cbranch_execz .LBB22_723
.LBB22_788:
	v_add_f32_e64 v5, 0x46000000, |v3|
	s_and_not1_b32 s24, s24, exec_lo
	s_delay_alu instid0(VALU_DEP_1) | instskip(NEXT) | instid1(VALU_DEP_1)
	v_and_b32_e32 v5, 0xff, v5
	v_cmp_ne_u32_e32 vcc_lo, 0, v5
	s_and_b32 s26, vcc_lo, exec_lo
	s_delay_alu instid0(SALU_CYCLE_1)
	s_or_b32 s24, s24, s26
	s_or_b32 exec_lo, exec_lo, s25
	v_mov_b32_e32 v6, 0
	s_and_saveexec_b32 s25, s24
	s_cbranch_execnz .LBB22_724
	s_branch .LBB22_725
.LBB22_789:
	s_mov_b32 s25, -1
	s_mov_b32 s22, s0
	s_branch .LBB22_793
.LBB22_790:
	s_and_not1_saveexec_b32 s25, s25
	s_cbranch_execz .LBB22_736
.LBB22_791:
	v_add_f32_e64 v5, 0x42800000, |v3|
	s_and_not1_b32 s24, s24, exec_lo
	s_delay_alu instid0(VALU_DEP_1) | instskip(NEXT) | instid1(VALU_DEP_1)
	v_and_b32_e32 v5, 0xff, v5
	v_cmp_ne_u32_e32 vcc_lo, 0, v5
	s_and_b32 s26, vcc_lo, exec_lo
	s_delay_alu instid0(SALU_CYCLE_1)
	s_or_b32 s24, s24, s26
	s_or_b32 exec_lo, exec_lo, s25
	v_mov_b32_e32 v6, 0
	s_and_saveexec_b32 s25, s24
	s_cbranch_execnz .LBB22_737
	s_branch .LBB22_738
.LBB22_792:
	s_mov_b32 s22, -1
.LBB22_793:
                                        ; implicit-def: $vgpr3
.LBB22_794:
	s_and_b32 vcc_lo, exec_lo, s25
	s_cbranch_vccz .LBB22_798
; %bb.795:
	s_cmp_eq_u32 s21, 44
	s_cbranch_scc0 .LBB22_797
; %bb.796:
	s_wait_loadcnt 0x0
	global_load_u8 v2, v[0:1], off
	s_mov_b32 s22, 0
	s_mov_b32 s24, -1
	s_wait_loadcnt 0x0
	v_lshlrev_b32_e32 v3, 23, v2
	v_cmp_ne_u32_e32 vcc_lo, 0xff, v2
	s_delay_alu instid0(VALU_DEP_2) | instskip(NEXT) | instid1(VALU_DEP_1)
	v_cvt_f16_f32_e32 v3, v3
	v_cndmask_b32_e32 v3, 0x7e00, v3, vcc_lo
	v_cmp_ne_u32_e32 vcc_lo, 0, v2
	s_delay_alu instid0(VALU_DEP_2)
	v_cndmask_b32_e32 v3, 0, v3, vcc_lo
	s_branch .LBB22_798
.LBB22_797:
	s_mov_b32 s22, -1
                                        ; implicit-def: $vgpr3
.LBB22_798:
	s_mov_b32 s25, 0
.LBB22_799:
	s_delay_alu instid0(SALU_CYCLE_1)
	s_and_b32 vcc_lo, exec_lo, s25
	s_cbranch_vccz .LBB22_803
; %bb.800:
	s_cmp_eq_u32 s21, 29
	s_cbranch_scc0 .LBB22_802
; %bb.801:
	s_wait_loadcnt 0x0
	global_load_b64 v[2:3], v[0:1], off
	s_mov_b32 s22, 0
	s_mov_b32 s24, -1
	s_mov_b32 s25, 0
	s_wait_loadcnt 0x0
	v_clz_i32_u32_e32 v5, v3
	s_delay_alu instid0(VALU_DEP_1) | instskip(NEXT) | instid1(VALU_DEP_1)
	v_min_u32_e32 v5, 32, v5
	v_lshlrev_b64_e32 v[2:3], v5, v[2:3]
	s_delay_alu instid0(VALU_DEP_1) | instskip(NEXT) | instid1(VALU_DEP_1)
	v_min_u32_e32 v2, 1, v2
	v_dual_sub_nc_u32 v3, 32, v5 :: v_dual_bitop2_b32 v2, v3, v2 bitop3:0x54
	s_delay_alu instid0(VALU_DEP_1) | instskip(NEXT) | instid1(VALU_DEP_1)
	v_cvt_f32_u32_e32 v2, v2
	v_ldexp_f32 v2, v2, v3
	s_delay_alu instid0(VALU_DEP_1)
	v_cvt_f16_f32_e32 v3, v2
	s_branch .LBB22_804
.LBB22_802:
	s_mov_b32 s22, -1
                                        ; implicit-def: $vgpr3
.LBB22_803:
	s_mov_b32 s25, 0
.LBB22_804:
	s_delay_alu instid0(SALU_CYCLE_1)
	s_and_b32 vcc_lo, exec_lo, s25
	s_cbranch_vccz .LBB22_822
; %bb.805:
	s_cmp_lt_i32 s21, 27
	s_cbranch_scc1 .LBB22_808
; %bb.806:
	s_cmp_gt_i32 s21, 27
	s_cbranch_scc0 .LBB22_809
; %bb.807:
	s_wait_loadcnt 0x0
	global_load_b32 v2, v[0:1], off
	s_mov_b32 s24, 0
	s_wait_loadcnt 0x0
	v_cvt_f32_u32_e32 v2, v2
	s_delay_alu instid0(VALU_DEP_1)
	v_cvt_f16_f32_e32 v3, v2
	s_branch .LBB22_810
.LBB22_808:
	s_mov_b32 s24, -1
                                        ; implicit-def: $vgpr3
	s_branch .LBB22_813
.LBB22_809:
	s_mov_b32 s24, -1
                                        ; implicit-def: $vgpr3
.LBB22_810:
	s_delay_alu instid0(SALU_CYCLE_1)
	s_and_not1_b32 vcc_lo, exec_lo, s24
	s_cbranch_vccnz .LBB22_812
; %bb.811:
	s_wait_loadcnt 0x0
	global_load_u16 v2, v[0:1], off
	s_wait_loadcnt 0x0
	v_cvt_f16_u16_e32 v3, v2
.LBB22_812:
	s_mov_b32 s24, 0
.LBB22_813:
	s_delay_alu instid0(SALU_CYCLE_1)
	s_and_not1_b32 vcc_lo, exec_lo, s24
	s_cbranch_vccnz .LBB22_821
; %bb.814:
	s_wait_loadcnt 0x0
	global_load_u8 v2, v[0:1], off
	s_mov_b32 s24, 0
	s_mov_b32 s25, exec_lo
	s_wait_loadcnt 0x0
	v_cmpx_lt_i16_e32 0x7f, v2
	s_xor_b32 s25, exec_lo, s25
	s_cbranch_execz .LBB22_835
; %bb.815:
	s_mov_b32 s24, -1
	s_mov_b32 s26, exec_lo
	v_cmpx_eq_u16_e32 0x80, v2
; %bb.816:
	s_xor_b32 s24, exec_lo, -1
; %bb.817:
	s_or_b32 exec_lo, exec_lo, s26
	s_delay_alu instid0(SALU_CYCLE_1)
	s_and_b32 s24, s24, exec_lo
	s_or_saveexec_b32 s25, s25
	v_mov_b32_e32 v3, 0x7e00
	s_xor_b32 exec_lo, exec_lo, s25
	s_cbranch_execnz .LBB22_836
.LBB22_818:
	s_or_b32 exec_lo, exec_lo, s25
	s_and_saveexec_b32 s25, s24
	s_cbranch_execz .LBB22_820
.LBB22_819:
	v_and_b32_e32 v3, 0xffff, v2
	s_delay_alu instid0(VALU_DEP_1) | instskip(SKIP_1) | instid1(VALU_DEP_2)
	v_and_b32_e32 v5, 7, v3
	v_bfe_u32 v8, v3, 3, 4
	v_clz_i32_u32_e32 v6, v5
	s_delay_alu instid0(VALU_DEP_2) | instskip(NEXT) | instid1(VALU_DEP_2)
	v_cmp_eq_u32_e32 vcc_lo, 0, v8
	v_min_u32_e32 v6, 32, v6
	s_delay_alu instid0(VALU_DEP_1) | instskip(NEXT) | instid1(VALU_DEP_1)
	v_subrev_nc_u32_e32 v7, 28, v6
	v_dual_lshlrev_b32 v3, v7, v3 :: v_dual_sub_nc_u32 v6, 29, v6
	s_delay_alu instid0(VALU_DEP_1) | instskip(NEXT) | instid1(VALU_DEP_1)
	v_dual_lshlrev_b32 v2, 24, v2 :: v_dual_bitop2_b32 v3, 7, v3 bitop3:0x40
	v_dual_cndmask_b32 v3, v5, v3 :: v_dual_cndmask_b32 v6, v8, v6
	s_delay_alu instid0(VALU_DEP_2) | instskip(NEXT) | instid1(VALU_DEP_2)
	v_and_b32_e32 v2, 0x80000000, v2
	v_lshlrev_b32_e32 v3, 20, v3
	s_delay_alu instid0(VALU_DEP_3) | instskip(NEXT) | instid1(VALU_DEP_1)
	v_lshl_add_u32 v5, v6, 23, 0x3b800000
	v_or3_b32 v2, v2, v5, v3
	s_delay_alu instid0(VALU_DEP_1)
	v_cvt_f16_f32_e32 v3, v2
.LBB22_820:
	s_or_b32 exec_lo, exec_lo, s25
.LBB22_821:
	s_mov_b32 s24, -1
.LBB22_822:
	s_mov_b32 s25, 0
.LBB22_823:
	s_delay_alu instid0(SALU_CYCLE_1)
	s_and_b32 vcc_lo, exec_lo, s25
	s_cbranch_vccz .LBB22_856
; %bb.824:
	s_cmp_gt_i32 s21, 22
	s_cbranch_scc0 .LBB22_834
; %bb.825:
	s_cmp_lt_i32 s21, 24
	s_cbranch_scc1 .LBB22_837
; %bb.826:
	s_cmp_gt_i32 s21, 24
	s_cbranch_scc0 .LBB22_838
; %bb.827:
	s_wait_loadcnt 0x0
	global_load_u8 v2, v[0:1], off
	s_mov_b32 s24, exec_lo
	s_wait_loadcnt 0x0
	v_cmpx_lt_i16_e32 0x7f, v2
	s_xor_b32 s24, exec_lo, s24
	s_cbranch_execz .LBB22_850
; %bb.828:
	s_mov_b32 s23, -1
	s_mov_b32 s25, exec_lo
	v_cmpx_eq_u16_e32 0x80, v2
; %bb.829:
	s_xor_b32 s23, exec_lo, -1
; %bb.830:
	s_or_b32 exec_lo, exec_lo, s25
	s_delay_alu instid0(SALU_CYCLE_1)
	s_and_b32 s23, s23, exec_lo
	s_or_saveexec_b32 s24, s24
	v_mov_b32_e32 v3, 0x7e00
	s_xor_b32 exec_lo, exec_lo, s24
	s_cbranch_execnz .LBB22_851
.LBB22_831:
	s_or_b32 exec_lo, exec_lo, s24
	s_and_saveexec_b32 s24, s23
	s_cbranch_execz .LBB22_833
.LBB22_832:
	v_and_b32_e32 v3, 0xffff, v2
	s_delay_alu instid0(VALU_DEP_1) | instskip(SKIP_1) | instid1(VALU_DEP_2)
	v_and_b32_e32 v5, 3, v3
	v_bfe_u32 v8, v3, 2, 5
	v_clz_i32_u32_e32 v6, v5
	s_delay_alu instid0(VALU_DEP_2) | instskip(NEXT) | instid1(VALU_DEP_2)
	v_cmp_eq_u32_e32 vcc_lo, 0, v8
	v_min_u32_e32 v6, 32, v6
	s_delay_alu instid0(VALU_DEP_1) | instskip(NEXT) | instid1(VALU_DEP_1)
	v_subrev_nc_u32_e32 v7, 29, v6
	v_dual_lshlrev_b32 v3, v7, v3 :: v_dual_sub_nc_u32 v6, 30, v6
	s_delay_alu instid0(VALU_DEP_1) | instskip(NEXT) | instid1(VALU_DEP_1)
	v_dual_lshlrev_b32 v2, 24, v2 :: v_dual_bitop2_b32 v3, 3, v3 bitop3:0x40
	v_dual_cndmask_b32 v3, v5, v3 :: v_dual_cndmask_b32 v6, v8, v6
	s_delay_alu instid0(VALU_DEP_2) | instskip(NEXT) | instid1(VALU_DEP_2)
	v_and_b32_e32 v2, 0x80000000, v2
	v_lshlrev_b32_e32 v3, 21, v3
	s_delay_alu instid0(VALU_DEP_3) | instskip(NEXT) | instid1(VALU_DEP_1)
	v_lshl_add_u32 v5, v6, 23, 0x37800000
	v_or3_b32 v2, v2, v5, v3
	s_delay_alu instid0(VALU_DEP_1)
	v_cvt_f16_f32_e32 v3, v2
.LBB22_833:
	s_or_b32 exec_lo, exec_lo, s24
	s_mov_b32 s23, 0
	s_branch .LBB22_839
.LBB22_834:
	s_mov_b32 s23, -1
                                        ; implicit-def: $vgpr3
	s_branch .LBB22_845
.LBB22_835:
	s_or_saveexec_b32 s25, s25
	v_mov_b32_e32 v3, 0x7e00
	s_xor_b32 exec_lo, exec_lo, s25
	s_cbranch_execz .LBB22_818
.LBB22_836:
	v_cmp_ne_u16_e32 vcc_lo, 0, v2
	v_mov_b32_e32 v3, v2
	s_and_not1_b32 s24, s24, exec_lo
	s_and_b32 s26, vcc_lo, exec_lo
	s_delay_alu instid0(SALU_CYCLE_1)
	s_or_b32 s24, s24, s26
	s_or_b32 exec_lo, exec_lo, s25
	s_and_saveexec_b32 s25, s24
	s_cbranch_execnz .LBB22_819
	s_branch .LBB22_820
.LBB22_837:
	s_mov_b32 s23, -1
                                        ; implicit-def: $vgpr3
	s_branch .LBB22_842
.LBB22_838:
	s_mov_b32 s23, -1
                                        ; implicit-def: $vgpr3
.LBB22_839:
	s_delay_alu instid0(SALU_CYCLE_1)
	s_and_b32 vcc_lo, exec_lo, s23
	s_cbranch_vccz .LBB22_841
; %bb.840:
	s_wait_loadcnt 0x0
	global_load_u8 v2, v[0:1], off
	s_wait_loadcnt 0x0
	v_lshlrev_b32_e32 v2, 24, v2
	s_delay_alu instid0(VALU_DEP_1) | instskip(NEXT) | instid1(VALU_DEP_1)
	v_and_b32_e32 v3, 0x7f000000, v2
	v_clz_i32_u32_e32 v5, v3
	v_add_nc_u32_e32 v7, 0x1000000, v3
	v_cmp_ne_u32_e32 vcc_lo, 0, v3
	s_delay_alu instid0(VALU_DEP_3) | instskip(NEXT) | instid1(VALU_DEP_1)
	v_min_u32_e32 v5, 32, v5
	v_sub_nc_u32_e64 v5, v5, 4 clamp
	s_delay_alu instid0(VALU_DEP_1) | instskip(NEXT) | instid1(VALU_DEP_1)
	v_dual_lshlrev_b32 v6, v5, v3 :: v_dual_lshlrev_b32 v5, 23, v5
	v_lshrrev_b32_e32 v6, 4, v6
	s_delay_alu instid0(VALU_DEP_1) | instskip(NEXT) | instid1(VALU_DEP_1)
	v_dual_sub_nc_u32 v5, v6, v5 :: v_dual_ashrrev_i32 v6, 8, v7
	v_add_nc_u32_e32 v5, 0x3c000000, v5
	s_delay_alu instid0(VALU_DEP_1) | instskip(NEXT) | instid1(VALU_DEP_1)
	v_and_or_b32 v5, 0x7f800000, v6, v5
	v_cndmask_b32_e32 v3, 0, v5, vcc_lo
	s_delay_alu instid0(VALU_DEP_1) | instskip(NEXT) | instid1(VALU_DEP_1)
	v_and_or_b32 v2, 0x80000000, v2, v3
	v_cvt_f16_f32_e32 v3, v2
.LBB22_841:
	s_mov_b32 s23, 0
.LBB22_842:
	s_delay_alu instid0(SALU_CYCLE_1)
	s_and_not1_b32 vcc_lo, exec_lo, s23
	s_cbranch_vccnz .LBB22_844
; %bb.843:
	s_wait_loadcnt 0x0
	global_load_u8 v2, v[0:1], off
	s_wait_loadcnt 0x0
	v_lshlrev_b32_e32 v3, 25, v2
	v_lshlrev_b16 v2, 8, v2
	s_delay_alu instid0(VALU_DEP_2) | instskip(NEXT) | instid1(VALU_DEP_2)
	v_cmp_gt_u32_e32 vcc_lo, 0x8000000, v3
	v_and_or_b32 v6, 0x7f00, v2, 0.5
	v_lshrrev_b32_e32 v5, 4, v3
	v_bfe_i32 v2, v2, 0, 16
	s_delay_alu instid0(VALU_DEP_3) | instskip(NEXT) | instid1(VALU_DEP_3)
	v_add_f32_e32 v6, -0.5, v6
	v_or_b32_e32 v5, 0x70000000, v5
	s_delay_alu instid0(VALU_DEP_1) | instskip(NEXT) | instid1(VALU_DEP_1)
	v_mul_f32_e32 v5, 0x7800000, v5
	v_cndmask_b32_e32 v3, v5, v6, vcc_lo
	s_delay_alu instid0(VALU_DEP_1) | instskip(NEXT) | instid1(VALU_DEP_1)
	v_and_or_b32 v2, 0x80000000, v2, v3
	v_cvt_f16_f32_e32 v3, v2
.LBB22_844:
	s_mov_b32 s23, 0
	s_mov_b32 s24, -1
.LBB22_845:
	s_and_not1_b32 vcc_lo, exec_lo, s23
	s_mov_b32 s23, 0
	s_cbranch_vccnz .LBB22_856
; %bb.846:
	s_cmp_gt_i32 s21, 14
	s_cbranch_scc0 .LBB22_849
; %bb.847:
	s_cmp_eq_u32 s21, 15
	s_cbranch_scc0 .LBB22_852
; %bb.848:
	s_wait_loadcnt 0x0
	global_load_u16 v2, v[0:1], off
	s_mov_b32 s22, 0
	s_mov_b32 s24, -1
	s_wait_loadcnt 0x0
	v_lshlrev_b32_e32 v2, 16, v2
	s_delay_alu instid0(VALU_DEP_1)
	v_cvt_f16_f32_e32 v3, v2
	s_branch .LBB22_854
.LBB22_849:
	s_mov_b32 s23, -1
	s_branch .LBB22_853
.LBB22_850:
	s_or_saveexec_b32 s24, s24
	v_mov_b32_e32 v3, 0x7e00
	s_xor_b32 exec_lo, exec_lo, s24
	s_cbranch_execz .LBB22_831
.LBB22_851:
	v_cmp_ne_u16_e32 vcc_lo, 0, v2
	v_mov_b32_e32 v3, v2
	s_and_not1_b32 s23, s23, exec_lo
	s_and_b32 s25, vcc_lo, exec_lo
	s_delay_alu instid0(SALU_CYCLE_1)
	s_or_b32 s23, s23, s25
	s_or_b32 exec_lo, exec_lo, s24
	s_and_saveexec_b32 s24, s23
	s_cbranch_execnz .LBB22_832
	s_branch .LBB22_833
.LBB22_852:
	s_mov_b32 s22, -1
.LBB22_853:
                                        ; implicit-def: $vgpr3
.LBB22_854:
	s_and_b32 vcc_lo, exec_lo, s23
	s_mov_b32 s23, 0
	s_cbranch_vccz .LBB22_856
; %bb.855:
	s_cmp_lg_u32 s21, 11
	s_mov_b32 s23, -1
	s_cselect_b32 s21, -1, 0
	s_and_not1_b32 s22, s22, exec_lo
	s_and_b32 s21, s21, exec_lo
	s_delay_alu instid0(SALU_CYCLE_1)
	s_or_b32 s22, s22, s21
.LBB22_856:
	s_mov_b32 s21, 0
.LBB22_857:
	s_and_not1_b32 s26, s0, exec_lo
	s_and_b32 s22, s22, exec_lo
	s_and_b32 s24, s24, exec_lo
	;; [unrolled: 1-line block ×4, first 2 shown]
	s_or_b32 s22, s26, s22
.LBB22_858:
	s_wait_xcnt 0x0
	s_or_b32 exec_lo, exec_lo, s13
	s_delay_alu instid0(SALU_CYCLE_1)
	s_and_not1_b32 s0, s0, exec_lo
	s_and_b32 s13, s22, exec_lo
	s_and_b32 s24, s24, exec_lo
	;; [unrolled: 1-line block ×4, first 2 shown]
	s_or_b32 s0, s0, s13
.LBB22_859:
	s_or_b32 exec_lo, exec_lo, s19
	s_delay_alu instid0(SALU_CYCLE_1)
	s_and_not1_b32 s13, s17, exec_lo
	s_and_b32 s17, s20, exec_lo
	s_and_b32 s0, s0, exec_lo
	s_or_b32 s17, s13, s17
	s_and_not1_b32 s13, s16, exec_lo
	s_and_b32 s21, s24, exec_lo
	s_and_b32 s20, s23, exec_lo
	;; [unrolled: 1-line block ×3, first 2 shown]
	s_or_b32 s16, s13, s0
.LBB22_860:
	s_or_b32 exec_lo, exec_lo, s18
	s_delay_alu instid0(SALU_CYCLE_1)
	s_and_not1_b32 s0, s12, exec_lo
	s_and_b32 s12, s17, exec_lo
	s_and_not1_b32 s13, s14, exec_lo
	s_and_b32 s14, s16, exec_lo
	s_or_b32 s12, s0, s12
	s_and_b32 s0, s21, exec_lo
	s_and_b32 s17, s20, exec_lo
	;; [unrolled: 1-line block ×3, first 2 shown]
	s_or_b32 s14, s13, s14
	s_or_b32 exec_lo, exec_lo, s15
	s_mov_b32 s13, 0
	s_and_saveexec_b32 s15, s14
	s_cbranch_execz .LBB22_262
.LBB22_861:
	s_mov_b32 s13, exec_lo
	s_and_not1_b32 s16, s16, exec_lo
	s_trap 2
	s_or_b32 exec_lo, exec_lo, s15
	s_and_saveexec_b32 s14, s16
	s_delay_alu instid0(SALU_CYCLE_1)
	s_xor_b32 s14, exec_lo, s14
	s_cbranch_execnz .LBB22_263
.LBB22_862:
	s_or_b32 exec_lo, exec_lo, s14
	s_and_saveexec_b32 s14, s17
	s_cbranch_execz .LBB22_908
.LBB22_863:
	s_sext_i32_i16 s15, s3
	s_delay_alu instid0(SALU_CYCLE_1)
	s_cmp_lt_i32 s15, 5
	s_cbranch_scc1 .LBB22_868
; %bb.864:
	s_cmp_lt_i32 s15, 8
	s_cbranch_scc1 .LBB22_869
; %bb.865:
	;; [unrolled: 3-line block ×3, first 2 shown]
	s_cmp_gt_i32 s15, 9
	s_cbranch_scc0 .LBB22_871
; %bb.867:
	s_wait_loadcnt 0x0
	global_load_b64 v[2:3], v[0:1], off
	s_mov_b32 s15, 0
	s_wait_loadcnt 0x0
	v_and_or_b32 v2, 0x1ff, v3, v2
	v_lshrrev_b32_e32 v5, 8, v3
	v_bfe_u32 v6, v3, 20, 11
	v_lshrrev_b32_e32 v3, 16, v3
	s_delay_alu instid0(VALU_DEP_4) | instskip(NEXT) | instid1(VALU_DEP_3)
	v_cmp_ne_u32_e32 vcc_lo, 0, v2
	v_sub_nc_u32_e32 v7, 0x3f1, v6
	v_add_nc_u32_e32 v6, 0xfffffc10, v6
	v_cndmask_b32_e64 v2, 0, 1, vcc_lo
	s_delay_alu instid0(VALU_DEP_1) | instskip(NEXT) | instid1(VALU_DEP_4)
	v_and_or_b32 v2, 0xffe, v5, v2
	v_med3_i32 v5, v7, 0, 13
	s_delay_alu instid0(VALU_DEP_2) | instskip(NEXT) | instid1(VALU_DEP_1)
	v_or_b32_e32 v7, 0x1000, v2
	v_lshrrev_b32_e32 v8, v5, v7
	s_delay_alu instid0(VALU_DEP_1) | instskip(NEXT) | instid1(VALU_DEP_1)
	v_lshlrev_b32_e32 v5, v5, v8
	v_cmp_ne_u32_e32 vcc_lo, v5, v7
	v_lshl_or_b32 v7, v6, 12, v2
	v_cndmask_b32_e64 v5, 0, 1, vcc_lo
	v_cmp_gt_i32_e32 vcc_lo, 1, v6
	s_delay_alu instid0(VALU_DEP_2) | instskip(NEXT) | instid1(VALU_DEP_1)
	v_or_b32_e32 v5, v8, v5
	v_cndmask_b32_e32 v5, v7, v5, vcc_lo
	s_delay_alu instid0(VALU_DEP_1) | instskip(NEXT) | instid1(VALU_DEP_1)
	v_dual_lshrrev_b32 v5, 2, v5 :: v_dual_bitop2_b32 v7, 7, v5 bitop3:0x40
	v_cmp_lt_i32_e32 vcc_lo, 5, v7
	v_cndmask_b32_e64 v8, 0, 1, vcc_lo
	v_cmp_eq_u32_e32 vcc_lo, 3, v7
	v_cndmask_b32_e64 v7, 0, 1, vcc_lo
	v_cmp_ne_u32_e32 vcc_lo, 0, v2
	s_delay_alu instid0(VALU_DEP_2) | instskip(NEXT) | instid1(VALU_DEP_1)
	v_or_b32_e32 v7, v7, v8
	v_dual_mov_b32 v8, 0x7e00 :: v_dual_add_nc_u32 v5, v5, v7
	s_delay_alu instid0(VALU_DEP_1) | instskip(SKIP_1) | instid1(VALU_DEP_3)
	v_cndmask_b32_e32 v2, 0x7c00, v8, vcc_lo
	v_cmp_gt_i32_e32 vcc_lo, 31, v6
	v_cndmask_b32_e32 v5, 0x7c00, v5, vcc_lo
	v_cmp_eq_u32_e32 vcc_lo, 0x40f, v6
	s_delay_alu instid0(VALU_DEP_2) | instskip(NEXT) | instid1(VALU_DEP_1)
	v_cndmask_b32_e32 v2, v5, v2, vcc_lo
	v_and_or_b32 v3, 0x8000, v3, v2
	s_branch .LBB22_872
.LBB22_868:
                                        ; implicit-def: $vgpr3
	s_branch .LBB22_889
.LBB22_869:
                                        ; implicit-def: $vgpr3
	s_branch .LBB22_878
.LBB22_870:
	s_mov_b32 s15, -1
                                        ; implicit-def: $vgpr3
	s_branch .LBB22_875
.LBB22_871:
	s_mov_b32 s15, -1
                                        ; implicit-def: $vgpr3
.LBB22_872:
	s_delay_alu instid0(SALU_CYCLE_1)
	s_and_not1_b32 vcc_lo, exec_lo, s15
	s_cbranch_vccnz .LBB22_874
; %bb.873:
	s_wait_loadcnt 0x0
	global_load_b32 v2, v[0:1], off
	s_wait_loadcnt 0x0
	v_cvt_f16_f32_e32 v3, v2
.LBB22_874:
	s_mov_b32 s15, 0
.LBB22_875:
	s_delay_alu instid0(SALU_CYCLE_1)
	s_and_not1_b32 vcc_lo, exec_lo, s15
	s_cbranch_vccnz .LBB22_877
; %bb.876:
	global_load_b32 v3, v[0:1], off
.LBB22_877:
	s_cbranch_execnz .LBB22_888
.LBB22_878:
	s_sext_i32_i16 s15, s3
	s_delay_alu instid0(SALU_CYCLE_1)
	s_cmp_lt_i32 s15, 6
	s_cbranch_scc1 .LBB22_881
; %bb.879:
	s_cmp_gt_i32 s15, 6
	s_cbranch_scc0 .LBB22_882
; %bb.880:
	s_wait_loadcnt 0x0
	global_load_b64 v[2:3], v[0:1], off
	s_mov_b32 s15, 0
	s_wait_loadcnt 0x0
	v_and_or_b32 v2, 0x1ff, v3, v2
	v_lshrrev_b32_e32 v5, 8, v3
	v_bfe_u32 v6, v3, 20, 11
	v_lshrrev_b32_e32 v3, 16, v3
	s_delay_alu instid0(VALU_DEP_4) | instskip(NEXT) | instid1(VALU_DEP_3)
	v_cmp_ne_u32_e32 vcc_lo, 0, v2
	v_sub_nc_u32_e32 v7, 0x3f1, v6
	v_add_nc_u32_e32 v6, 0xfffffc10, v6
	v_cndmask_b32_e64 v2, 0, 1, vcc_lo
	s_delay_alu instid0(VALU_DEP_1) | instskip(NEXT) | instid1(VALU_DEP_4)
	v_and_or_b32 v2, 0xffe, v5, v2
	v_med3_i32 v5, v7, 0, 13
	s_delay_alu instid0(VALU_DEP_2) | instskip(NEXT) | instid1(VALU_DEP_1)
	v_or_b32_e32 v7, 0x1000, v2
	v_lshrrev_b32_e32 v8, v5, v7
	s_delay_alu instid0(VALU_DEP_1) | instskip(NEXT) | instid1(VALU_DEP_1)
	v_lshlrev_b32_e32 v5, v5, v8
	v_cmp_ne_u32_e32 vcc_lo, v5, v7
	v_lshl_or_b32 v7, v6, 12, v2
	v_cndmask_b32_e64 v5, 0, 1, vcc_lo
	v_cmp_gt_i32_e32 vcc_lo, 1, v6
	s_delay_alu instid0(VALU_DEP_2) | instskip(NEXT) | instid1(VALU_DEP_1)
	v_or_b32_e32 v5, v8, v5
	v_cndmask_b32_e32 v5, v7, v5, vcc_lo
	s_delay_alu instid0(VALU_DEP_1) | instskip(NEXT) | instid1(VALU_DEP_1)
	v_dual_lshrrev_b32 v5, 2, v5 :: v_dual_bitop2_b32 v7, 7, v5 bitop3:0x40
	v_cmp_lt_i32_e32 vcc_lo, 5, v7
	v_cndmask_b32_e64 v8, 0, 1, vcc_lo
	v_cmp_eq_u32_e32 vcc_lo, 3, v7
	v_cndmask_b32_e64 v7, 0, 1, vcc_lo
	v_cmp_ne_u32_e32 vcc_lo, 0, v2
	s_delay_alu instid0(VALU_DEP_2) | instskip(NEXT) | instid1(VALU_DEP_1)
	v_or_b32_e32 v7, v7, v8
	v_dual_mov_b32 v8, 0x7e00 :: v_dual_add_nc_u32 v5, v5, v7
	s_delay_alu instid0(VALU_DEP_1) | instskip(SKIP_1) | instid1(VALU_DEP_3)
	v_cndmask_b32_e32 v2, 0x7c00, v8, vcc_lo
	v_cmp_gt_i32_e32 vcc_lo, 31, v6
	v_cndmask_b32_e32 v5, 0x7c00, v5, vcc_lo
	v_cmp_eq_u32_e32 vcc_lo, 0x40f, v6
	s_delay_alu instid0(VALU_DEP_2) | instskip(NEXT) | instid1(VALU_DEP_1)
	v_cndmask_b32_e32 v2, v5, v2, vcc_lo
	v_and_or_b32 v3, 0x8000, v3, v2
	s_branch .LBB22_883
.LBB22_881:
	s_mov_b32 s15, -1
                                        ; implicit-def: $vgpr3
	s_branch .LBB22_886
.LBB22_882:
	s_mov_b32 s15, -1
                                        ; implicit-def: $vgpr3
.LBB22_883:
	s_delay_alu instid0(SALU_CYCLE_1)
	s_and_not1_b32 vcc_lo, exec_lo, s15
	s_cbranch_vccnz .LBB22_885
; %bb.884:
	s_wait_loadcnt 0x0
	global_load_b32 v2, v[0:1], off
	s_wait_loadcnt 0x0
	v_cvt_f16_f32_e32 v3, v2
.LBB22_885:
	s_mov_b32 s15, 0
.LBB22_886:
	s_delay_alu instid0(SALU_CYCLE_1)
	s_and_not1_b32 vcc_lo, exec_lo, s15
	s_cbranch_vccnz .LBB22_888
; %bb.887:
	s_wait_loadcnt 0x0
	global_load_u16 v3, v[0:1], off
.LBB22_888:
	s_cbranch_execnz .LBB22_907
.LBB22_889:
	s_sext_i32_i16 s15, s3
	s_delay_alu instid0(SALU_CYCLE_1)
	s_cmp_lt_i32 s15, 2
	s_cbranch_scc1 .LBB22_893
; %bb.890:
	s_cmp_lt_i32 s15, 3
	s_cbranch_scc1 .LBB22_894
; %bb.891:
	s_cmp_gt_i32 s15, 3
	s_cbranch_scc0 .LBB22_895
; %bb.892:
	s_wait_loadcnt 0x0
	global_load_b64 v[2:3], v[0:1], off
	s_mov_b32 s15, 0
	s_wait_loadcnt 0x0
	v_xor_b32_e32 v5, v2, v3
	v_cls_i32_e32 v6, v3
	s_delay_alu instid0(VALU_DEP_2) | instskip(NEXT) | instid1(VALU_DEP_1)
	v_ashrrev_i32_e32 v5, 31, v5
	v_add_nc_u32_e32 v5, 32, v5
	s_delay_alu instid0(VALU_DEP_1) | instskip(NEXT) | instid1(VALU_DEP_1)
	v_add_min_u32_e64 v5, v6, -1, v5
	v_lshlrev_b64_e32 v[2:3], v5, v[2:3]
	s_delay_alu instid0(VALU_DEP_1) | instskip(NEXT) | instid1(VALU_DEP_1)
	v_min_u32_e32 v2, 1, v2
	v_dual_sub_nc_u32 v3, 32, v5 :: v_dual_bitop2_b32 v2, v3, v2 bitop3:0x54
	s_delay_alu instid0(VALU_DEP_1) | instskip(NEXT) | instid1(VALU_DEP_1)
	v_cvt_f32_i32_e32 v2, v2
	v_ldexp_f32 v2, v2, v3
	s_delay_alu instid0(VALU_DEP_1)
	v_cvt_f16_f32_e32 v3, v2
	s_branch .LBB22_896
.LBB22_893:
                                        ; implicit-def: $vgpr3
	s_branch .LBB22_902
.LBB22_894:
	s_mov_b32 s15, -1
                                        ; implicit-def: $vgpr3
	s_branch .LBB22_899
.LBB22_895:
	s_mov_b32 s15, -1
                                        ; implicit-def: $vgpr3
.LBB22_896:
	s_delay_alu instid0(SALU_CYCLE_1)
	s_and_not1_b32 vcc_lo, exec_lo, s15
	s_cbranch_vccnz .LBB22_898
; %bb.897:
	s_wait_loadcnt 0x0
	global_load_b32 v2, v[0:1], off
	s_wait_loadcnt 0x0
	v_cvt_f32_i32_e32 v2, v2
	s_delay_alu instid0(VALU_DEP_1)
	v_cvt_f16_f32_e32 v3, v2
.LBB22_898:
	s_mov_b32 s15, 0
.LBB22_899:
	s_delay_alu instid0(SALU_CYCLE_1)
	s_and_not1_b32 vcc_lo, exec_lo, s15
	s_cbranch_vccnz .LBB22_901
; %bb.900:
	s_wait_loadcnt 0x0
	global_load_u16 v2, v[0:1], off
	s_wait_loadcnt 0x0
	v_cvt_f16_i16_e32 v3, v2
.LBB22_901:
	s_cbranch_execnz .LBB22_907
.LBB22_902:
	s_sext_i32_i16 s15, s3
	s_delay_alu instid0(SALU_CYCLE_1)
	s_cmp_gt_i32 s15, 0
	s_mov_b32 s15, 0
	s_cbranch_scc0 .LBB22_904
; %bb.903:
	s_wait_loadcnt 0x0
	global_load_i8 v2, v[0:1], off
	s_wait_loadcnt 0x0
	v_cvt_f16_i16_e32 v3, v2
	s_branch .LBB22_905
.LBB22_904:
	s_mov_b32 s15, -1
                                        ; implicit-def: $vgpr3
.LBB22_905:
	s_delay_alu instid0(SALU_CYCLE_1)
	s_and_not1_b32 vcc_lo, exec_lo, s15
	s_cbranch_vccnz .LBB22_907
; %bb.906:
	global_load_u8 v0, v[0:1], off
	s_wait_loadcnt 0x0
	v_cvt_f16_u16_e32 v3, v0
.LBB22_907:
	s_or_b32 s0, s0, exec_lo
.LBB22_908:
	s_wait_xcnt 0x0
	s_or_b32 exec_lo, exec_lo, s14
	s_mov_b32 s17, 0
	s_mov_b32 s16, 0
                                        ; implicit-def: $sgpr14
                                        ; implicit-def: $vgpr0_vgpr1
                                        ; implicit-def: $vgpr2
	s_and_saveexec_b32 s15, s0
	s_cbranch_execz .LBB22_983
; %bb.909:
	v_mul_lo_u32 v0, v4, s8
	s_wait_loadcnt 0x0
	v_cmp_nge_f16_e64 s0, v3, -s10
	v_cmp_nge_f16_e32 vcc_lo, s10, v3
	s_and_b32 s14, s2, 0xff
	s_mov_b32 s18, 0
	s_mov_b32 s17, -1
	s_or_b32 vcc_lo, s0, vcc_lo
	s_cmp_lt_i32 s14, 11
	s_mov_b32 s0, s12
	v_dual_cndmask_b32 v2, 0, v3 :: v_dual_ashrrev_i32 v1, 31, v0
	s_delay_alu instid0(VALU_DEP_1)
	v_add_nc_u64_e32 v[0:1], s[4:5], v[0:1]
	s_cbranch_scc1 .LBB22_987
; %bb.910:
	s_and_b32 s16, 0xffff, s14
	s_mov_b32 s0, s12
	s_cmp_gt_i32 s16, 25
	s_cbranch_scc0 .LBB22_943
; %bb.911:
	s_cmp_gt_i32 s16, 28
	s_mov_b32 s0, s12
	s_cbranch_scc0 .LBB22_927
; %bb.912:
	s_cmp_gt_i32 s16, 43
	s_mov_b32 s0, s12
	s_cbranch_scc0 .LBB22_923
; %bb.913:
	s_cmp_gt_i32 s16, 45
	s_mov_b32 s0, s12
	s_cbranch_scc0 .LBB22_917
; %bb.914:
	s_cmp_eq_u32 s16, 46
	s_mov_b32 s0, -1
	s_cbranch_scc0 .LBB22_916
; %bb.915:
	v_cvt_f32_f16_e32 v3, v2
	v_cmp_o_f16_e32 vcc_lo, v2, v2
	s_mov_b32 s0, 0
	s_delay_alu instid0(VALU_DEP_2) | instskip(NEXT) | instid1(VALU_DEP_1)
	v_bfe_u32 v4, v3, 16, 1
	v_add3_u32 v3, v3, v4, 0x7fff
	s_delay_alu instid0(VALU_DEP_1) | instskip(NEXT) | instid1(VALU_DEP_1)
	v_lshrrev_b32_e32 v3, 16, v3
	v_cndmask_b32_e32 v3, 0x7fc0, v3, vcc_lo
	global_store_b32 v[0:1], v3, off
.LBB22_916:
	s_mov_b32 s17, 0
.LBB22_917:
	s_delay_alu instid0(SALU_CYCLE_1)
	s_and_b32 vcc_lo, exec_lo, s17
	s_cbranch_vccz .LBB22_922
; %bb.918:
	s_cmp_eq_u32 s16, 44
	s_mov_b32 s0, -1
	s_cbranch_scc0 .LBB22_922
; %bb.919:
	s_wait_xcnt 0x0
	v_cvt_f32_f16_e32 v3, v2
	v_mov_b32_e32 v4, 0xff
	s_mov_b32 s17, exec_lo
	s_delay_alu instid0(VALU_DEP_2) | instskip(NEXT) | instid1(VALU_DEP_1)
	v_bfe_u32 v5, v3, 23, 8
	v_cmpx_ne_u32_e32 0xff, v5
	s_cbranch_execz .LBB22_921
; %bb.920:
	v_and_b32_e32 v4, 0x400000, v3
	v_and_or_b32 v5, 0x3fffff, v3, v5
	v_lshrrev_b32_e32 v3, 23, v3
	s_delay_alu instid0(VALU_DEP_3) | instskip(NEXT) | instid1(VALU_DEP_3)
	v_cmp_ne_u32_e32 vcc_lo, 0, v4
	v_cmp_ne_u32_e64 s0, 0, v5
	s_and_b32 s0, vcc_lo, s0
	s_delay_alu instid0(SALU_CYCLE_1) | instskip(NEXT) | instid1(VALU_DEP_1)
	v_cndmask_b32_e64 v4, 0, 1, s0
	v_add_nc_u32_e32 v4, v3, v4
.LBB22_921:
	s_or_b32 exec_lo, exec_lo, s17
	s_mov_b32 s0, 0
	global_store_b8 v[0:1], v4, off
.LBB22_922:
	s_mov_b32 s17, 0
.LBB22_923:
	s_delay_alu instid0(SALU_CYCLE_1)
	s_and_b32 vcc_lo, exec_lo, s17
	s_cbranch_vccz .LBB22_926
; %bb.924:
	s_cmp_eq_u32 s16, 29
	s_mov_b32 s0, -1
	s_cbranch_scc0 .LBB22_926
; %bb.925:
	s_wait_xcnt 0x0
	v_cvt_f32_f16_e32 v3, v2
	v_mov_b32_e32 v5, 0
	s_mov_b32 s0, 0
	s_delay_alu instid0(VALU_DEP_2)
	v_cvt_u32_f32_e32 v4, v3
	global_store_b64 v[0:1], v[4:5], off
.LBB22_926:
	s_mov_b32 s17, 0
.LBB22_927:
	s_delay_alu instid0(SALU_CYCLE_1)
	s_and_b32 vcc_lo, exec_lo, s17
	s_cbranch_vccz .LBB22_942
; %bb.928:
	s_cmp_lt_i32 s16, 27
	s_mov_b32 s17, -1
	s_cbranch_scc1 .LBB22_934
; %bb.929:
	s_cmp_gt_i32 s16, 27
	s_cbranch_scc0 .LBB22_931
; %bb.930:
	s_wait_xcnt 0x0
	v_cvt_f32_f16_e32 v3, v2
	s_mov_b32 s17, 0
	s_delay_alu instid0(VALU_DEP_1)
	v_cvt_u32_f32_e32 v3, v3
	global_store_b32 v[0:1], v3, off
.LBB22_931:
	s_and_not1_b32 vcc_lo, exec_lo, s17
	s_cbranch_vccnz .LBB22_933
; %bb.932:
	s_wait_xcnt 0x0
	v_cvt_u16_f16_e32 v3, v2
	global_store_b16 v[0:1], v3, off
.LBB22_933:
	s_mov_b32 s17, 0
.LBB22_934:
	s_delay_alu instid0(SALU_CYCLE_1)
	s_and_not1_b32 vcc_lo, exec_lo, s17
	s_cbranch_vccnz .LBB22_942
; %bb.935:
	s_wait_xcnt 0x0
	v_cvt_f32_f16_e32 v3, v2
	v_mov_b32_e32 v5, 0x80
	s_mov_b32 s17, exec_lo
	s_delay_alu instid0(VALU_DEP_2) | instskip(NEXT) | instid1(VALU_DEP_1)
	v_and_b32_e32 v4, 0x7fffffff, v3
	v_cmpx_gt_u32_e32 0x43800000, v4
	s_cbranch_execz .LBB22_941
; %bb.936:
	v_cmp_lt_u32_e32 vcc_lo, 0x3bffffff, v4
                                        ; implicit-def: $vgpr4
	s_and_saveexec_b32 s19, vcc_lo
	s_delay_alu instid0(SALU_CYCLE_1)
	s_xor_b32 s19, exec_lo, s19
	s_cbranch_execz .LBB22_1042
; %bb.937:
	v_bfe_u32 v4, v3, 20, 1
	s_mov_b32 s18, exec_lo
	s_delay_alu instid0(VALU_DEP_1) | instskip(NEXT) | instid1(VALU_DEP_1)
	v_add3_u32 v4, v3, v4, 0x487ffff
	v_lshrrev_b32_e32 v4, 20, v4
	s_and_not1_saveexec_b32 s19, s19
	s_cbranch_execnz .LBB22_1043
.LBB22_938:
	s_or_b32 exec_lo, exec_lo, s19
	v_mov_b32_e32 v5, 0
	s_and_saveexec_b32 s19, s18
.LBB22_939:
	v_lshrrev_b32_e32 v3, 24, v3
	s_delay_alu instid0(VALU_DEP_1)
	v_and_or_b32 v5, 0x80, v3, v4
.LBB22_940:
	s_or_b32 exec_lo, exec_lo, s19
.LBB22_941:
	s_delay_alu instid0(SALU_CYCLE_1)
	s_or_b32 exec_lo, exec_lo, s17
	global_store_b8 v[0:1], v5, off
.LBB22_942:
	s_mov_b32 s17, 0
.LBB22_943:
	s_delay_alu instid0(SALU_CYCLE_1)
	s_and_b32 vcc_lo, exec_lo, s17
	s_mov_b32 s17, 0
	s_cbranch_vccz .LBB22_986
; %bb.944:
	s_cmp_gt_i32 s16, 22
	s_mov_b32 s18, -1
	s_cbranch_scc0 .LBB22_976
; %bb.945:
	s_cmp_lt_i32 s16, 24
	s_cbranch_scc1 .LBB22_965
; %bb.946:
	s_cmp_gt_i32 s16, 24
	s_cbranch_scc0 .LBB22_954
; %bb.947:
	s_wait_xcnt 0x0
	v_cvt_f32_f16_e32 v3, v2
	v_mov_b32_e32 v5, 0x80
	s_mov_b32 s18, exec_lo
	s_delay_alu instid0(VALU_DEP_2) | instskip(NEXT) | instid1(VALU_DEP_1)
	v_and_b32_e32 v4, 0x7fffffff, v3
	v_cmpx_gt_u32_e32 0x47800000, v4
	s_cbranch_execz .LBB22_953
; %bb.948:
	v_cmp_lt_u32_e32 vcc_lo, 0x37ffffff, v4
	s_mov_b32 s19, 0
                                        ; implicit-def: $vgpr4
	s_and_saveexec_b32 s20, vcc_lo
	s_delay_alu instid0(SALU_CYCLE_1)
	s_xor_b32 s20, exec_lo, s20
	s_cbranch_execz .LBB22_1168
; %bb.949:
	v_bfe_u32 v4, v3, 21, 1
	s_mov_b32 s19, exec_lo
	s_delay_alu instid0(VALU_DEP_1) | instskip(NEXT) | instid1(VALU_DEP_1)
	v_add3_u32 v4, v3, v4, 0x88fffff
	v_lshrrev_b32_e32 v4, 21, v4
	s_and_not1_saveexec_b32 s20, s20
	s_cbranch_execnz .LBB22_1169
.LBB22_950:
	s_or_b32 exec_lo, exec_lo, s20
	v_mov_b32_e32 v5, 0
	s_and_saveexec_b32 s20, s19
.LBB22_951:
	v_lshrrev_b32_e32 v3, 24, v3
	s_delay_alu instid0(VALU_DEP_1)
	v_and_or_b32 v5, 0x80, v3, v4
.LBB22_952:
	s_or_b32 exec_lo, exec_lo, s20
.LBB22_953:
	s_delay_alu instid0(SALU_CYCLE_1)
	s_or_b32 exec_lo, exec_lo, s18
	s_mov_b32 s18, 0
	global_store_b8 v[0:1], v5, off
.LBB22_954:
	s_and_b32 vcc_lo, exec_lo, s18
	s_cbranch_vccz .LBB22_964
; %bb.955:
	s_wait_xcnt 0x0
	v_cvt_f32_f16_e32 v3, v2
	s_mov_b32 s18, exec_lo
                                        ; implicit-def: $vgpr4
	s_delay_alu instid0(VALU_DEP_1) | instskip(NEXT) | instid1(VALU_DEP_1)
	v_and_b32_e32 v5, 0x7fffffff, v3
	v_cmpx_gt_u32_e32 0x43f00000, v5
	s_xor_b32 s18, exec_lo, s18
	s_cbranch_execz .LBB22_961
; %bb.956:
	s_mov_b32 s19, exec_lo
                                        ; implicit-def: $vgpr4
	v_cmpx_lt_u32_e32 0x3c7fffff, v5
	s_xor_b32 s19, exec_lo, s19
; %bb.957:
	v_bfe_u32 v4, v3, 20, 1
	s_delay_alu instid0(VALU_DEP_1) | instskip(NEXT) | instid1(VALU_DEP_1)
	v_add3_u32 v4, v3, v4, 0x407ffff
	v_and_b32_e32 v5, 0xff00000, v4
	v_lshrrev_b32_e32 v4, 20, v4
	s_delay_alu instid0(VALU_DEP_2) | instskip(NEXT) | instid1(VALU_DEP_2)
	v_cmp_ne_u32_e32 vcc_lo, 0x7f00000, v5
	v_cndmask_b32_e32 v4, 0x7e, v4, vcc_lo
; %bb.958:
	s_and_not1_saveexec_b32 s19, s19
; %bb.959:
	v_add_f32_e64 v4, 0x46800000, |v3|
; %bb.960:
	s_or_b32 exec_lo, exec_lo, s19
                                        ; implicit-def: $vgpr5
.LBB22_961:
	s_and_not1_saveexec_b32 s18, s18
; %bb.962:
	v_mov_b32_e32 v4, 0x7f
	v_cmp_lt_u32_e32 vcc_lo, 0x7f800000, v5
	s_delay_alu instid0(VALU_DEP_2)
	v_cndmask_b32_e32 v4, 0x7e, v4, vcc_lo
; %bb.963:
	s_or_b32 exec_lo, exec_lo, s18
	v_lshrrev_b32_e32 v3, 24, v3
	s_delay_alu instid0(VALU_DEP_1)
	v_and_or_b32 v3, 0x80, v3, v4
	global_store_b8 v[0:1], v3, off
.LBB22_964:
	s_mov_b32 s18, 0
.LBB22_965:
	s_delay_alu instid0(SALU_CYCLE_1)
	s_and_not1_b32 vcc_lo, exec_lo, s18
	s_cbranch_vccnz .LBB22_975
; %bb.966:
	s_wait_xcnt 0x0
	v_cvt_f32_f16_e32 v3, v2
	s_mov_b32 s18, exec_lo
                                        ; implicit-def: $vgpr4
	s_delay_alu instid0(VALU_DEP_1) | instskip(NEXT) | instid1(VALU_DEP_1)
	v_and_b32_e32 v5, 0x7fffffff, v3
	v_cmpx_gt_u32_e32 0x47800000, v5
	s_xor_b32 s18, exec_lo, s18
	s_cbranch_execz .LBB22_972
; %bb.967:
	s_mov_b32 s19, exec_lo
                                        ; implicit-def: $vgpr4
	v_cmpx_lt_u32_e32 0x387fffff, v5
	s_xor_b32 s19, exec_lo, s19
; %bb.968:
	v_bfe_u32 v4, v3, 21, 1
	s_delay_alu instid0(VALU_DEP_1) | instskip(NEXT) | instid1(VALU_DEP_1)
	v_add3_u32 v4, v3, v4, 0x80fffff
	v_lshrrev_b32_e32 v4, 21, v4
; %bb.969:
	s_and_not1_saveexec_b32 s19, s19
; %bb.970:
	v_add_f32_e64 v4, 0x43000000, |v3|
; %bb.971:
	s_or_b32 exec_lo, exec_lo, s19
                                        ; implicit-def: $vgpr5
.LBB22_972:
	s_and_not1_saveexec_b32 s18, s18
; %bb.973:
	v_mov_b32_e32 v4, 0x7f
	v_cmp_lt_u32_e32 vcc_lo, 0x7f800000, v5
	s_delay_alu instid0(VALU_DEP_2)
	v_cndmask_b32_e32 v4, 0x7c, v4, vcc_lo
; %bb.974:
	s_or_b32 exec_lo, exec_lo, s18
	v_lshrrev_b32_e32 v3, 24, v3
	s_delay_alu instid0(VALU_DEP_1)
	v_and_or_b32 v3, 0x80, v3, v4
	global_store_b8 v[0:1], v3, off
.LBB22_975:
	s_mov_b32 s18, 0
.LBB22_976:
	s_delay_alu instid0(SALU_CYCLE_1)
	s_and_not1_b32 vcc_lo, exec_lo, s18
	s_mov_b32 s18, 0
	s_cbranch_vccnz .LBB22_987
; %bb.977:
	s_cmp_gt_i32 s16, 14
	s_mov_b32 s18, -1
	s_cbranch_scc0 .LBB22_981
; %bb.978:
	s_cmp_eq_u32 s16, 15
	s_mov_b32 s0, -1
	s_cbranch_scc0 .LBB22_980
; %bb.979:
	s_wait_xcnt 0x0
	v_cvt_f32_f16_e32 v3, v2
	v_cmp_o_f16_e32 vcc_lo, v2, v2
	s_mov_b32 s0, 0
	s_delay_alu instid0(VALU_DEP_2) | instskip(NEXT) | instid1(VALU_DEP_1)
	v_bfe_u32 v4, v3, 16, 1
	v_add3_u32 v3, v3, v4, 0x7fff
	s_delay_alu instid0(VALU_DEP_1) | instskip(NEXT) | instid1(VALU_DEP_1)
	v_lshrrev_b32_e32 v3, 16, v3
	v_cndmask_b32_e32 v3, 0x7fc0, v3, vcc_lo
	global_store_b16 v[0:1], v3, off
.LBB22_980:
	s_mov_b32 s18, 0
.LBB22_981:
	s_delay_alu instid0(SALU_CYCLE_1)
	s_and_b32 vcc_lo, exec_lo, s18
	s_mov_b32 s18, 0
	s_cbranch_vccz .LBB22_987
; %bb.982:
	s_cmp_lg_u32 s16, 11
	s_mov_b32 s18, -1
	s_cselect_b32 s16, -1, 0
	s_and_not1_b32 s0, s0, exec_lo
	s_and_b32 s16, s16, exec_lo
	s_delay_alu instid0(SALU_CYCLE_1)
	s_or_b32 s0, s0, s16
	s_branch .LBB22_987
.LBB22_983:
	s_or_b32 exec_lo, exec_lo, s15
	s_and_saveexec_b32 s0, s12
	s_cbranch_execnz .LBB22_988
.LBB22_984:
	s_or_b32 exec_lo, exec_lo, s0
	s_and_saveexec_b32 s0, s17
	s_delay_alu instid0(SALU_CYCLE_1)
	s_xor_b32 s0, exec_lo, s0
	s_cbranch_execz .LBB22_989
.LBB22_985:
	s_wait_loadcnt 0x0
	v_and_b32_e32 v3, 0x7fff, v2
	s_delay_alu instid0(VALU_DEP_1)
	v_cmp_ne_u16_e32 vcc_lo, 0, v3
	v_cndmask_b32_e64 v3, 0, 1, vcc_lo
	global_store_b8 v[0:1], v3, off
	s_wait_xcnt 0x0
	s_or_b32 exec_lo, exec_lo, s0
	s_and_saveexec_b32 s0, s16
	s_delay_alu instid0(SALU_CYCLE_1)
	s_xor_b32 s0, exec_lo, s0
	s_cbranch_execz .LBB22_1027
	s_branch .LBB22_990
.LBB22_986:
	s_mov_b32 s18, 0
.LBB22_987:
	s_and_not1_b32 s12, s12, exec_lo
	s_and_b32 s0, s0, exec_lo
	s_and_b32 s16, s17, exec_lo
	;; [unrolled: 1-line block ×3, first 2 shown]
	s_or_b32 s12, s12, s0
	s_wait_xcnt 0x0
	s_or_b32 exec_lo, exec_lo, s15
	s_and_saveexec_b32 s0, s12
	s_cbranch_execz .LBB22_984
.LBB22_988:
	s_or_b32 s13, s13, exec_lo
	s_and_not1_b32 s17, s17, exec_lo
	s_trap 2
	s_or_b32 exec_lo, exec_lo, s0
	s_and_saveexec_b32 s0, s17
	s_delay_alu instid0(SALU_CYCLE_1)
	s_xor_b32 s0, exec_lo, s0
	s_cbranch_execnz .LBB22_985
.LBB22_989:
	s_or_b32 exec_lo, exec_lo, s0
	s_and_saveexec_b32 s0, s16
	s_delay_alu instid0(SALU_CYCLE_1)
	s_xor_b32 s0, exec_lo, s0
	s_cbranch_execz .LBB22_1027
.LBB22_990:
	s_sext_i32_i16 s15, s14
	s_mov_b32 s12, -1
	s_cmp_lt_i32 s15, 5
	s_cbranch_scc1 .LBB22_1011
; %bb.991:
	s_cmp_lt_i32 s15, 8
	s_cbranch_scc1 .LBB22_1001
; %bb.992:
	;; [unrolled: 3-line block ×3, first 2 shown]
	s_cmp_gt_i32 s15, 9
	s_cbranch_scc0 .LBB22_995
; %bb.994:
	s_wait_loadcnt 0x0
	v_cvt_f32_f16_e32 v3, v2
	v_mov_b32_e32 v6, 0
	s_mov_b32 s12, 0
	s_delay_alu instid0(VALU_DEP_2) | instskip(NEXT) | instid1(VALU_DEP_2)
	v_cvt_f64_f32_e32 v[4:5], v3
	v_mov_b32_e32 v7, v6
	global_store_b128 v[0:1], v[4:7], off
.LBB22_995:
	s_and_not1_b32 vcc_lo, exec_lo, s12
	s_cbranch_vccnz .LBB22_997
; %bb.996:
	s_wait_loadcnt 0x0
	v_cvt_f32_f16_e32 v4, v2
	v_mov_b32_e32 v5, 0
	global_store_b64 v[0:1], v[4:5], off
.LBB22_997:
	s_mov_b32 s12, 0
.LBB22_998:
	s_delay_alu instid0(SALU_CYCLE_1)
	s_and_not1_b32 vcc_lo, exec_lo, s12
	s_cbranch_vccnz .LBB22_1000
; %bb.999:
	s_wait_loadcnt 0x0
	v_and_b32_e32 v3, 0xffff, v2
	global_store_b32 v[0:1], v3, off
.LBB22_1000:
	s_mov_b32 s12, 0
.LBB22_1001:
	s_delay_alu instid0(SALU_CYCLE_1)
	s_and_not1_b32 vcc_lo, exec_lo, s12
	s_cbranch_vccnz .LBB22_1010
; %bb.1002:
	s_sext_i32_i16 s15, s14
	s_mov_b32 s12, -1
	s_cmp_lt_i32 s15, 6
	s_cbranch_scc1 .LBB22_1008
; %bb.1003:
	s_cmp_gt_i32 s15, 6
	s_cbranch_scc0 .LBB22_1005
; %bb.1004:
	s_wait_loadcnt 0x0
	v_cvt_f32_f16_e32 v3, v2
	s_mov_b32 s12, 0
	s_delay_alu instid0(VALU_DEP_1)
	v_cvt_f64_f32_e32 v[4:5], v3
	global_store_b64 v[0:1], v[4:5], off
.LBB22_1005:
	s_and_not1_b32 vcc_lo, exec_lo, s12
	s_cbranch_vccnz .LBB22_1007
; %bb.1006:
	s_wait_loadcnt 0x0
	v_cvt_f32_f16_e32 v3, v2
	global_store_b32 v[0:1], v3, off
.LBB22_1007:
	s_mov_b32 s12, 0
.LBB22_1008:
	s_delay_alu instid0(SALU_CYCLE_1)
	s_and_not1_b32 vcc_lo, exec_lo, s12
	s_cbranch_vccnz .LBB22_1010
; %bb.1009:
	s_wait_loadcnt 0x0
	global_store_b16 v[0:1], v2, off
.LBB22_1010:
	s_mov_b32 s12, 0
.LBB22_1011:
	s_delay_alu instid0(SALU_CYCLE_1)
	s_and_not1_b32 vcc_lo, exec_lo, s12
	s_cbranch_vccnz .LBB22_1027
; %bb.1012:
	s_sext_i32_i16 s15, s14
	s_mov_b32 s12, -1
	s_cmp_lt_i32 s15, 2
	s_cbranch_scc1 .LBB22_1022
; %bb.1013:
	s_cmp_lt_i32 s15, 3
	s_cbranch_scc1 .LBB22_1019
; %bb.1014:
	s_cmp_gt_i32 s15, 3
	s_cbranch_scc0 .LBB22_1016
; %bb.1015:
	s_wait_loadcnt 0x0
	v_cvt_f32_f16_e32 v3, v2
	s_mov_b32 s12, 0
	s_delay_alu instid0(VALU_DEP_1) | instskip(NEXT) | instid1(VALU_DEP_1)
	v_cvt_i32_f32_e32 v4, v3
	v_ashrrev_i32_e32 v5, 31, v4
	global_store_b64 v[0:1], v[4:5], off
.LBB22_1016:
	s_and_not1_b32 vcc_lo, exec_lo, s12
	s_cbranch_vccnz .LBB22_1018
; %bb.1017:
	s_wait_loadcnt 0x0
	v_cvt_f32_f16_e32 v3, v2
	s_delay_alu instid0(VALU_DEP_1)
	v_cvt_i32_f32_e32 v3, v3
	global_store_b32 v[0:1], v3, off
.LBB22_1018:
	s_mov_b32 s12, 0
.LBB22_1019:
	s_delay_alu instid0(SALU_CYCLE_1)
	s_and_not1_b32 vcc_lo, exec_lo, s12
	s_cbranch_vccnz .LBB22_1021
; %bb.1020:
	s_wait_loadcnt 0x0
	v_cvt_i16_f16_e32 v3, v2
	global_store_b16 v[0:1], v3, off
.LBB22_1021:
	s_mov_b32 s12, 0
.LBB22_1022:
	s_delay_alu instid0(SALU_CYCLE_1)
	s_and_not1_b32 vcc_lo, exec_lo, s12
	s_cbranch_vccnz .LBB22_1027
; %bb.1023:
	s_sext_i32_i16 s12, s14
	s_delay_alu instid0(SALU_CYCLE_1)
	s_cmp_gt_i32 s12, 0
	s_mov_b32 s12, -1
	s_cbranch_scc0 .LBB22_1025
; %bb.1024:
	s_wait_loadcnt 0x0
	v_cvt_i16_f16_e32 v3, v2
	s_mov_b32 s12, 0
	global_store_b8 v[0:1], v3, off
.LBB22_1025:
	s_and_not1_b32 vcc_lo, exec_lo, s12
	s_cbranch_vccnz .LBB22_1027
; %bb.1026:
	s_wait_loadcnt 0x0
	v_cvt_f32_f16_e32 v2, v2
	s_delay_alu instid0(VALU_DEP_1)
	v_cvt_i32_f32_e32 v2, v2
	global_store_b8 v[0:1], v2, off
.LBB22_1027:
	s_wait_xcnt 0x0
	s_or_b32 exec_lo, exec_lo, s0
	s_delay_alu instid0(SALU_CYCLE_1)
	s_and_b32 s12, s13, exec_lo
                                        ; implicit-def: $vgpr4
.LBB22_1028:
	s_or_saveexec_b32 s11, s11
	s_mov_b32 s0, 0
                                        ; implicit-def: $sgpr13
                                        ; implicit-def: $vgpr0_vgpr1
                                        ; implicit-def: $vgpr2
	s_xor_b32 exec_lo, exec_lo, s11
	s_cbranch_execz .LBB22_1977
; %bb.1029:
	v_mul_lo_u32 v0, s9, v4
	s_and_b32 s0, 0xffff, s3
	s_delay_alu instid0(SALU_CYCLE_1) | instskip(NEXT) | instid1(VALU_DEP_1)
	s_cmp_lt_i32 s0, 11
	v_ashrrev_i32_e32 v1, 31, v0
	s_wait_loadcnt 0x0
	s_delay_alu instid0(VALU_DEP_1)
	v_add_nc_u64_e32 v[2:3], s[6:7], v[0:1]
	s_cbranch_scc1 .LBB22_1036
; %bb.1030:
	s_cmp_gt_i32 s0, 25
	s_mov_b32 s3, 0
	s_cbranch_scc0 .LBB22_1038
; %bb.1031:
	s_cmp_gt_i32 s0, 28
	s_cbranch_scc0 .LBB22_1039
; %bb.1032:
	s_cmp_gt_i32 s0, 43
	;; [unrolled: 3-line block ×3, first 2 shown]
	s_cbranch_scc0 .LBB22_1041
; %bb.1034:
	s_cmp_eq_u32 s0, 46
	s_mov_b32 s14, 0
	s_cbranch_scc0 .LBB22_1044
; %bb.1035:
	global_load_b32 v1, v[2:3], off
	s_mov_b32 s13, -1
	s_wait_loadcnt 0x0
	v_lshlrev_b32_e32 v1, 16, v1
	s_delay_alu instid0(VALU_DEP_1)
	v_cvt_f16_f32_e32 v5, v1
	s_branch .LBB22_1046
.LBB22_1036:
	s_mov_b32 s13, 0
	s_mov_b32 s1, s12
                                        ; implicit-def: $vgpr5
	s_cbranch_execnz .LBB22_1109
.LBB22_1037:
	s_and_not1_b32 vcc_lo, exec_lo, s13
	s_cbranch_vccz .LBB22_1154
	s_branch .LBB22_1975
.LBB22_1038:
	s_mov_b32 s13, 0
                                        ; implicit-def: $vgpr5
	s_cbranch_execnz .LBB22_1074
	s_branch .LBB22_1105
.LBB22_1039:
	s_mov_b32 s14, -1
	s_mov_b32 s13, 0
                                        ; implicit-def: $vgpr5
	s_branch .LBB22_1055
.LBB22_1040:
	s_mov_b32 s13, 0
                                        ; implicit-def: $vgpr5
	s_cbranch_execnz .LBB22_1051
	s_branch .LBB22_1054
.LBB22_1041:
	s_mov_b32 s14, -1
	s_branch .LBB22_1045
.LBB22_1042:
	s_and_not1_saveexec_b32 s19, s19
	s_cbranch_execz .LBB22_938
.LBB22_1043:
	v_add_f32_e64 v4, 0x46000000, |v3|
	s_and_not1_b32 s18, s18, exec_lo
	s_delay_alu instid0(VALU_DEP_1) | instskip(NEXT) | instid1(VALU_DEP_1)
	v_and_b32_e32 v4, 0xff, v4
	v_cmp_ne_u32_e32 vcc_lo, 0, v4
	s_and_b32 s20, vcc_lo, exec_lo
	s_delay_alu instid0(SALU_CYCLE_1)
	s_or_b32 s18, s18, s20
	s_or_b32 exec_lo, exec_lo, s19
	v_mov_b32_e32 v5, 0
	s_and_saveexec_b32 s19, s18
	s_cbranch_execnz .LBB22_939
	s_branch .LBB22_940
.LBB22_1044:
	s_mov_b32 s1, -1
.LBB22_1045:
	s_mov_b32 s13, 0
                                        ; implicit-def: $vgpr5
.LBB22_1046:
	s_and_b32 vcc_lo, exec_lo, s14
	s_cbranch_vccz .LBB22_1049
; %bb.1047:
	s_cmp_eq_u32 s0, 44
	s_cbranch_scc0 .LBB22_1050
; %bb.1048:
	global_load_u8 v1, v[2:3], off
	s_mov_b32 s1, 0
	s_mov_b32 s13, -1
	s_wait_loadcnt 0x0
	v_lshlrev_b32_e32 v5, 23, v1
	v_cmp_ne_u32_e32 vcc_lo, 0xff, v1
	s_delay_alu instid0(VALU_DEP_2) | instskip(NEXT) | instid1(VALU_DEP_1)
	v_cvt_f16_f32_e32 v5, v5
	v_cndmask_b32_e32 v5, 0x7e00, v5, vcc_lo
	v_cmp_ne_u32_e32 vcc_lo, 0, v1
	s_delay_alu instid0(VALU_DEP_2)
	v_cndmask_b32_e32 v5, 0, v5, vcc_lo
.LBB22_1049:
	s_branch .LBB22_1054
.LBB22_1050:
	s_mov_b32 s1, -1
                                        ; implicit-def: $vgpr5
	s_branch .LBB22_1054
.LBB22_1051:
	s_cmp_eq_u32 s0, 29
	s_cbranch_scc0 .LBB22_1053
; %bb.1052:
	global_load_b64 v[6:7], v[2:3], off
	s_mov_b32 s1, 0
	s_mov_b32 s13, -1
	s_mov_b32 s14, 0
	s_wait_loadcnt 0x0
	v_clz_i32_u32_e32 v1, v7
	s_delay_alu instid0(VALU_DEP_1) | instskip(NEXT) | instid1(VALU_DEP_1)
	v_min_u32_e32 v1, 32, v1
	v_lshlrev_b64_e32 v[6:7], v1, v[6:7]
	v_sub_nc_u32_e32 v1, 32, v1
	s_delay_alu instid0(VALU_DEP_2) | instskip(NEXT) | instid1(VALU_DEP_1)
	v_min_u32_e32 v5, 1, v6
	v_or_b32_e32 v5, v7, v5
	s_delay_alu instid0(VALU_DEP_1) | instskip(NEXT) | instid1(VALU_DEP_1)
	v_cvt_f32_u32_e32 v5, v5
	v_ldexp_f32 v1, v5, v1
	s_delay_alu instid0(VALU_DEP_1)
	v_cvt_f16_f32_e32 v5, v1
	s_branch .LBB22_1055
.LBB22_1053:
	s_mov_b32 s1, -1
                                        ; implicit-def: $vgpr5
.LBB22_1054:
	s_mov_b32 s14, 0
.LBB22_1055:
	s_delay_alu instid0(SALU_CYCLE_1)
	s_and_b32 vcc_lo, exec_lo, s14
	s_cbranch_vccz .LBB22_1073
; %bb.1056:
	s_cmp_lt_i32 s0, 27
	s_cbranch_scc1 .LBB22_1059
; %bb.1057:
	s_cmp_gt_i32 s0, 27
	s_cbranch_scc0 .LBB22_1060
; %bb.1058:
	global_load_b32 v1, v[2:3], off
	s_mov_b32 s13, 0
	s_wait_loadcnt 0x0
	v_cvt_f32_u32_e32 v1, v1
	s_delay_alu instid0(VALU_DEP_1)
	v_cvt_f16_f32_e32 v5, v1
	s_branch .LBB22_1061
.LBB22_1059:
	s_mov_b32 s13, -1
                                        ; implicit-def: $vgpr5
	s_branch .LBB22_1064
.LBB22_1060:
	s_mov_b32 s13, -1
                                        ; implicit-def: $vgpr5
.LBB22_1061:
	s_delay_alu instid0(SALU_CYCLE_1)
	s_and_not1_b32 vcc_lo, exec_lo, s13
	s_cbranch_vccnz .LBB22_1063
; %bb.1062:
	global_load_u16 v1, v[2:3], off
	s_wait_loadcnt 0x0
	v_cvt_f16_u16_e32 v5, v1
.LBB22_1063:
	s_mov_b32 s13, 0
.LBB22_1064:
	s_delay_alu instid0(SALU_CYCLE_1)
	s_and_not1_b32 vcc_lo, exec_lo, s13
	s_cbranch_vccnz .LBB22_1072
; %bb.1065:
	global_load_u8 v1, v[2:3], off
	s_mov_b32 s13, 0
	s_mov_b32 s14, exec_lo
	s_wait_loadcnt 0x0
	v_cmpx_lt_i16_e32 0x7f, v1
	s_xor_b32 s14, exec_lo, s14
	s_cbranch_execz .LBB22_1085
; %bb.1066:
	s_mov_b32 s13, -1
	s_mov_b32 s15, exec_lo
	v_cmpx_eq_u16_e32 0x80, v1
; %bb.1067:
	s_xor_b32 s13, exec_lo, -1
; %bb.1068:
	s_or_b32 exec_lo, exec_lo, s15
	s_delay_alu instid0(SALU_CYCLE_1)
	s_and_b32 s13, s13, exec_lo
	s_or_saveexec_b32 s14, s14
	v_mov_b32_e32 v5, 0x7e00
	s_xor_b32 exec_lo, exec_lo, s14
	s_cbranch_execnz .LBB22_1086
.LBB22_1069:
	s_or_b32 exec_lo, exec_lo, s14
	s_and_saveexec_b32 s14, s13
	s_cbranch_execz .LBB22_1071
.LBB22_1070:
	v_and_b32_e32 v5, 0xffff, v1
	s_delay_alu instid0(VALU_DEP_1) | instskip(SKIP_1) | instid1(VALU_DEP_2)
	v_and_b32_e32 v6, 7, v5
	v_bfe_u32 v9, v5, 3, 4
	v_clz_i32_u32_e32 v7, v6
	s_delay_alu instid0(VALU_DEP_2) | instskip(NEXT) | instid1(VALU_DEP_2)
	v_cmp_eq_u32_e32 vcc_lo, 0, v9
	v_min_u32_e32 v7, 32, v7
	s_delay_alu instid0(VALU_DEP_1) | instskip(NEXT) | instid1(VALU_DEP_1)
	v_subrev_nc_u32_e32 v8, 28, v7
	v_dual_lshlrev_b32 v5, v8, v5 :: v_dual_sub_nc_u32 v7, 29, v7
	s_delay_alu instid0(VALU_DEP_1) | instskip(NEXT) | instid1(VALU_DEP_2)
	v_and_b32_e32 v5, 7, v5
	v_dual_lshlrev_b32 v1, 24, v1 :: v_dual_cndmask_b32 v7, v9, v7, vcc_lo
	s_delay_alu instid0(VALU_DEP_2) | instskip(NEXT) | instid1(VALU_DEP_2)
	v_cndmask_b32_e32 v5, v6, v5, vcc_lo
	v_and_b32_e32 v1, 0x80000000, v1
	s_delay_alu instid0(VALU_DEP_3) | instskip(NEXT) | instid1(VALU_DEP_3)
	v_lshl_add_u32 v6, v7, 23, 0x3b800000
	v_lshlrev_b32_e32 v5, 20, v5
	s_delay_alu instid0(VALU_DEP_1) | instskip(NEXT) | instid1(VALU_DEP_1)
	v_or3_b32 v1, v1, v6, v5
	v_cvt_f16_f32_e32 v5, v1
.LBB22_1071:
	s_or_b32 exec_lo, exec_lo, s14
.LBB22_1072:
	s_mov_b32 s13, -1
.LBB22_1073:
	s_branch .LBB22_1105
.LBB22_1074:
	s_cmp_gt_i32 s0, 22
	s_cbranch_scc0 .LBB22_1084
; %bb.1075:
	s_cmp_lt_i32 s0, 24
	s_cbranch_scc1 .LBB22_1087
; %bb.1076:
	s_cmp_gt_i32 s0, 24
	s_cbranch_scc0 .LBB22_1088
; %bb.1077:
	global_load_u8 v1, v[2:3], off
	s_mov_b32 s13, exec_lo
	s_wait_loadcnt 0x0
	v_cmpx_lt_i16_e32 0x7f, v1
	s_xor_b32 s13, exec_lo, s13
	s_cbranch_execz .LBB22_1099
; %bb.1078:
	s_mov_b32 s3, -1
	s_mov_b32 s14, exec_lo
	v_cmpx_eq_u16_e32 0x80, v1
; %bb.1079:
	s_xor_b32 s3, exec_lo, -1
; %bb.1080:
	s_or_b32 exec_lo, exec_lo, s14
	s_delay_alu instid0(SALU_CYCLE_1)
	s_and_b32 s3, s3, exec_lo
	s_or_saveexec_b32 s13, s13
	v_mov_b32_e32 v5, 0x7e00
	s_xor_b32 exec_lo, exec_lo, s13
	s_cbranch_execnz .LBB22_1100
.LBB22_1081:
	s_or_b32 exec_lo, exec_lo, s13
	s_and_saveexec_b32 s13, s3
	s_cbranch_execz .LBB22_1083
.LBB22_1082:
	v_and_b32_e32 v5, 0xffff, v1
	s_delay_alu instid0(VALU_DEP_1) | instskip(SKIP_1) | instid1(VALU_DEP_2)
	v_and_b32_e32 v6, 3, v5
	v_bfe_u32 v9, v5, 2, 5
	v_clz_i32_u32_e32 v7, v6
	s_delay_alu instid0(VALU_DEP_2) | instskip(NEXT) | instid1(VALU_DEP_2)
	v_cmp_eq_u32_e32 vcc_lo, 0, v9
	v_min_u32_e32 v7, 32, v7
	s_delay_alu instid0(VALU_DEP_1) | instskip(NEXT) | instid1(VALU_DEP_1)
	v_subrev_nc_u32_e32 v8, 29, v7
	v_dual_lshlrev_b32 v5, v8, v5 :: v_dual_sub_nc_u32 v7, 30, v7
	s_delay_alu instid0(VALU_DEP_1) | instskip(NEXT) | instid1(VALU_DEP_2)
	v_and_b32_e32 v5, 3, v5
	v_dual_lshlrev_b32 v1, 24, v1 :: v_dual_cndmask_b32 v7, v9, v7, vcc_lo
	s_delay_alu instid0(VALU_DEP_2) | instskip(NEXT) | instid1(VALU_DEP_2)
	v_cndmask_b32_e32 v5, v6, v5, vcc_lo
	v_and_b32_e32 v1, 0x80000000, v1
	s_delay_alu instid0(VALU_DEP_3) | instskip(NEXT) | instid1(VALU_DEP_3)
	v_lshl_add_u32 v6, v7, 23, 0x37800000
	v_lshlrev_b32_e32 v5, 21, v5
	s_delay_alu instid0(VALU_DEP_1) | instskip(NEXT) | instid1(VALU_DEP_1)
	v_or3_b32 v1, v1, v6, v5
	v_cvt_f16_f32_e32 v5, v1
.LBB22_1083:
	s_or_b32 exec_lo, exec_lo, s13
	s_mov_b32 s3, 0
	s_branch .LBB22_1089
.LBB22_1084:
                                        ; implicit-def: $vgpr5
	s_mov_b32 s3, 0
	s_branch .LBB22_1095
.LBB22_1085:
	s_or_saveexec_b32 s14, s14
	v_mov_b32_e32 v5, 0x7e00
	s_xor_b32 exec_lo, exec_lo, s14
	s_cbranch_execz .LBB22_1069
.LBB22_1086:
	v_cmp_ne_u16_e32 vcc_lo, 0, v1
	v_mov_b32_e32 v5, v1
	s_and_not1_b32 s13, s13, exec_lo
	s_and_b32 s15, vcc_lo, exec_lo
	s_delay_alu instid0(SALU_CYCLE_1)
	s_or_b32 s13, s13, s15
	s_or_b32 exec_lo, exec_lo, s14
	s_and_saveexec_b32 s14, s13
	s_cbranch_execnz .LBB22_1070
	s_branch .LBB22_1071
.LBB22_1087:
	s_mov_b32 s3, -1
                                        ; implicit-def: $vgpr5
	s_branch .LBB22_1092
.LBB22_1088:
	s_mov_b32 s3, -1
                                        ; implicit-def: $vgpr5
.LBB22_1089:
	s_delay_alu instid0(SALU_CYCLE_1)
	s_and_b32 vcc_lo, exec_lo, s3
	s_cbranch_vccz .LBB22_1091
; %bb.1090:
	global_load_u8 v1, v[2:3], off
	s_wait_loadcnt 0x0
	v_lshlrev_b32_e32 v1, 24, v1
	s_delay_alu instid0(VALU_DEP_1) | instskip(NEXT) | instid1(VALU_DEP_1)
	v_and_b32_e32 v5, 0x7f000000, v1
	v_clz_i32_u32_e32 v6, v5
	v_cmp_ne_u32_e32 vcc_lo, 0, v5
	v_add_nc_u32_e32 v8, 0x1000000, v5
	s_delay_alu instid0(VALU_DEP_3) | instskip(NEXT) | instid1(VALU_DEP_1)
	v_min_u32_e32 v6, 32, v6
	v_sub_nc_u32_e64 v6, v6, 4 clamp
	s_delay_alu instid0(VALU_DEP_1) | instskip(NEXT) | instid1(VALU_DEP_1)
	v_dual_lshlrev_b32 v7, v6, v5 :: v_dual_lshlrev_b32 v6, 23, v6
	v_lshrrev_b32_e32 v7, 4, v7
	s_delay_alu instid0(VALU_DEP_1) | instskip(NEXT) | instid1(VALU_DEP_1)
	v_dual_sub_nc_u32 v6, v7, v6 :: v_dual_ashrrev_i32 v7, 8, v8
	v_add_nc_u32_e32 v6, 0x3c000000, v6
	s_delay_alu instid0(VALU_DEP_1) | instskip(NEXT) | instid1(VALU_DEP_1)
	v_and_or_b32 v6, 0x7f800000, v7, v6
	v_cndmask_b32_e32 v5, 0, v6, vcc_lo
	s_delay_alu instid0(VALU_DEP_1) | instskip(NEXT) | instid1(VALU_DEP_1)
	v_and_or_b32 v1, 0x80000000, v1, v5
	v_cvt_f16_f32_e32 v5, v1
.LBB22_1091:
	s_mov_b32 s3, 0
.LBB22_1092:
	s_delay_alu instid0(SALU_CYCLE_1)
	s_and_not1_b32 vcc_lo, exec_lo, s3
	s_cbranch_vccnz .LBB22_1094
; %bb.1093:
	global_load_u8 v1, v[2:3], off
	s_wait_loadcnt 0x0
	v_lshlrev_b32_e32 v5, 25, v1
	v_lshlrev_b16 v1, 8, v1
	s_delay_alu instid0(VALU_DEP_1) | instskip(SKIP_1) | instid1(VALU_DEP_2)
	v_and_or_b32 v7, 0x7f00, v1, 0.5
	v_bfe_i32 v1, v1, 0, 16
	v_dual_add_f32 v7, -0.5, v7 :: v_dual_lshrrev_b32 v6, 4, v5
	v_cmp_gt_u32_e32 vcc_lo, 0x8000000, v5
	s_delay_alu instid0(VALU_DEP_2) | instskip(NEXT) | instid1(VALU_DEP_1)
	v_or_b32_e32 v6, 0x70000000, v6
	v_mul_f32_e32 v6, 0x7800000, v6
	s_delay_alu instid0(VALU_DEP_1) | instskip(NEXT) | instid1(VALU_DEP_1)
	v_cndmask_b32_e32 v5, v6, v7, vcc_lo
	v_and_or_b32 v1, 0x80000000, v1, v5
	s_delay_alu instid0(VALU_DEP_1)
	v_cvt_f16_f32_e32 v5, v1
.LBB22_1094:
	s_mov_b32 s13, -1
	s_mov_b32 s3, 0
	s_cbranch_execnz .LBB22_1105
.LBB22_1095:
	s_cmp_gt_i32 s0, 14
	s_cbranch_scc0 .LBB22_1098
; %bb.1096:
	s_cmp_eq_u32 s0, 15
	s_cbranch_scc0 .LBB22_1101
; %bb.1097:
	global_load_u16 v1, v[2:3], off
	s_mov_b32 s1, 0
	s_mov_b32 s13, -1
	s_wait_loadcnt 0x0
	v_lshlrev_b32_e32 v1, 16, v1
	s_delay_alu instid0(VALU_DEP_1)
	v_cvt_f16_f32_e32 v5, v1
	s_branch .LBB22_1103
.LBB22_1098:
	s_mov_b32 s3, -1
	s_branch .LBB22_1102
.LBB22_1099:
	s_or_saveexec_b32 s13, s13
	v_mov_b32_e32 v5, 0x7e00
	s_xor_b32 exec_lo, exec_lo, s13
	s_cbranch_execz .LBB22_1081
.LBB22_1100:
	v_cmp_ne_u16_e32 vcc_lo, 0, v1
	v_mov_b32_e32 v5, v1
	s_and_not1_b32 s3, s3, exec_lo
	s_and_b32 s14, vcc_lo, exec_lo
	s_delay_alu instid0(SALU_CYCLE_1)
	s_or_b32 s3, s3, s14
	s_or_b32 exec_lo, exec_lo, s13
	s_and_saveexec_b32 s13, s3
	s_cbranch_execnz .LBB22_1082
	s_branch .LBB22_1083
.LBB22_1101:
	s_mov_b32 s1, -1
.LBB22_1102:
                                        ; implicit-def: $vgpr5
.LBB22_1103:
	s_and_b32 vcc_lo, exec_lo, s3
	s_mov_b32 s3, 0
	s_cbranch_vccz .LBB22_1105
; %bb.1104:
	s_cmp_lg_u32 s0, 11
	s_mov_b32 s3, -1
	s_cselect_b32 s1, -1, 0
.LBB22_1105:
	s_delay_alu instid0(SALU_CYCLE_1)
	s_and_b32 vcc_lo, exec_lo, s1
	s_mov_b32 s1, s12
	s_cbranch_vccnz .LBB22_1166
; %bb.1106:
	s_and_not1_b32 vcc_lo, exec_lo, s3
	s_cbranch_vccnz .LBB22_1108
.LBB22_1107:
	global_load_u8 v1, v[2:3], off
	s_mov_b32 s13, -1
	s_wait_loadcnt 0x0
	v_cmp_ne_u16_e32 vcc_lo, 0, v1
	v_cndmask_b32_e64 v5, 0, 0x3c00, vcc_lo
.LBB22_1108:
	s_branch .LBB22_1037
.LBB22_1109:
	s_cmp_lt_i32 s0, 5
	s_cbranch_scc1 .LBB22_1114
; %bb.1110:
	s_cmp_lt_i32 s0, 8
	s_cbranch_scc1 .LBB22_1115
; %bb.1111:
	;; [unrolled: 3-line block ×3, first 2 shown]
	s_cmp_gt_i32 s0, 9
	s_cbranch_scc0 .LBB22_1117
; %bb.1113:
	global_load_b64 v[6:7], v[2:3], off
	s_mov_b32 s3, 0
	s_wait_loadcnt 0x0
	v_and_or_b32 v1, 0x1ff, v7, v6
	v_lshrrev_b32_e32 v5, 8, v7
	v_bfe_u32 v6, v7, 20, 11
	s_delay_alu instid0(VALU_DEP_3) | instskip(NEXT) | instid1(VALU_DEP_2)
	v_cmp_ne_u32_e32 vcc_lo, 0, v1
	v_sub_nc_u32_e32 v8, 0x3f1, v6
	v_add_nc_u32_e32 v6, 0xfffffc10, v6
	v_cndmask_b32_e64 v1, 0, 1, vcc_lo
	s_delay_alu instid0(VALU_DEP_1) | instskip(NEXT) | instid1(VALU_DEP_4)
	v_and_or_b32 v1, 0xffe, v5, v1
	v_med3_i32 v5, v8, 0, 13
	s_delay_alu instid0(VALU_DEP_2) | instskip(NEXT) | instid1(VALU_DEP_1)
	v_or_b32_e32 v8, 0x1000, v1
	v_lshrrev_b32_e32 v9, v5, v8
	s_delay_alu instid0(VALU_DEP_1) | instskip(NEXT) | instid1(VALU_DEP_1)
	v_lshlrev_b32_e32 v5, v5, v9
	v_cmp_ne_u32_e32 vcc_lo, v5, v8
	v_lshl_or_b32 v8, v6, 12, v1
	v_cndmask_b32_e64 v5, 0, 1, vcc_lo
	v_cmp_gt_i32_e32 vcc_lo, 1, v6
	s_delay_alu instid0(VALU_DEP_2) | instskip(NEXT) | instid1(VALU_DEP_1)
	v_or_b32_e32 v5, v9, v5
	v_cndmask_b32_e32 v5, v8, v5, vcc_lo
	s_delay_alu instid0(VALU_DEP_1) | instskip(NEXT) | instid1(VALU_DEP_1)
	v_dual_lshrrev_b32 v5, 2, v5 :: v_dual_bitop2_b32 v8, 7, v5 bitop3:0x40
	v_cmp_lt_i32_e32 vcc_lo, 5, v8
	v_cndmask_b32_e64 v9, 0, 1, vcc_lo
	v_cmp_eq_u32_e32 vcc_lo, 3, v8
	v_cndmask_b32_e64 v8, 0, 1, vcc_lo
	v_cmp_ne_u32_e32 vcc_lo, 0, v1
	s_delay_alu instid0(VALU_DEP_2) | instskip(SKIP_1) | instid1(VALU_DEP_2)
	v_or_b32_e32 v8, v8, v9
	v_mov_b32_e32 v9, 0x7e00
	v_add_nc_u32_e32 v5, v5, v8
	s_delay_alu instid0(VALU_DEP_2) | instskip(SKIP_1) | instid1(VALU_DEP_3)
	v_cndmask_b32_e32 v1, 0x7c00, v9, vcc_lo
	v_cmp_gt_i32_e32 vcc_lo, 31, v6
	v_cndmask_b32_e32 v5, 0x7c00, v5, vcc_lo
	v_cmp_eq_u32_e32 vcc_lo, 0x40f, v6
	s_delay_alu instid0(VALU_DEP_2) | instskip(NEXT) | instid1(VALU_DEP_1)
	v_dual_cndmask_b32 v1, v5, v1, vcc_lo :: v_dual_lshrrev_b32 v5, 16, v7
	v_and_or_b32 v5, 0x8000, v5, v1
	s_branch .LBB22_1118
.LBB22_1114:
                                        ; implicit-def: $vgpr5
	s_branch .LBB22_1135
.LBB22_1115:
                                        ; implicit-def: $vgpr5
	s_branch .LBB22_1124
.LBB22_1116:
	s_mov_b32 s3, -1
                                        ; implicit-def: $vgpr5
	s_branch .LBB22_1121
.LBB22_1117:
	s_mov_b32 s3, -1
                                        ; implicit-def: $vgpr5
.LBB22_1118:
	s_delay_alu instid0(SALU_CYCLE_1)
	s_and_not1_b32 vcc_lo, exec_lo, s3
	s_cbranch_vccnz .LBB22_1120
; %bb.1119:
	global_load_b32 v1, v[2:3], off
	s_wait_loadcnt 0x0
	v_cvt_f16_f32_e32 v5, v1
.LBB22_1120:
	s_mov_b32 s3, 0
.LBB22_1121:
	s_delay_alu instid0(SALU_CYCLE_1)
	s_and_not1_b32 vcc_lo, exec_lo, s3
	s_cbranch_vccnz .LBB22_1123
; %bb.1122:
	global_load_b32 v5, v[2:3], off
.LBB22_1123:
	s_cbranch_execnz .LBB22_1134
.LBB22_1124:
	s_cmp_lt_i32 s0, 6
	s_cbranch_scc1 .LBB22_1127
; %bb.1125:
	s_cmp_gt_i32 s0, 6
	s_cbranch_scc0 .LBB22_1128
; %bb.1126:
	global_load_b64 v[6:7], v[2:3], off
	s_mov_b32 s3, 0
	s_wait_loadcnt 0x0
	v_and_or_b32 v1, 0x1ff, v7, v6
	v_lshrrev_b32_e32 v5, 8, v7
	v_bfe_u32 v6, v7, 20, 11
	s_delay_alu instid0(VALU_DEP_3) | instskip(NEXT) | instid1(VALU_DEP_2)
	v_cmp_ne_u32_e32 vcc_lo, 0, v1
	v_sub_nc_u32_e32 v8, 0x3f1, v6
	v_add_nc_u32_e32 v6, 0xfffffc10, v6
	v_cndmask_b32_e64 v1, 0, 1, vcc_lo
	s_delay_alu instid0(VALU_DEP_1) | instskip(NEXT) | instid1(VALU_DEP_4)
	v_and_or_b32 v1, 0xffe, v5, v1
	v_med3_i32 v5, v8, 0, 13
	s_delay_alu instid0(VALU_DEP_2) | instskip(NEXT) | instid1(VALU_DEP_1)
	v_or_b32_e32 v8, 0x1000, v1
	v_lshrrev_b32_e32 v9, v5, v8
	s_delay_alu instid0(VALU_DEP_1) | instskip(NEXT) | instid1(VALU_DEP_1)
	v_lshlrev_b32_e32 v5, v5, v9
	v_cmp_ne_u32_e32 vcc_lo, v5, v8
	v_lshl_or_b32 v8, v6, 12, v1
	v_cndmask_b32_e64 v5, 0, 1, vcc_lo
	v_cmp_gt_i32_e32 vcc_lo, 1, v6
	s_delay_alu instid0(VALU_DEP_2) | instskip(NEXT) | instid1(VALU_DEP_1)
	v_or_b32_e32 v5, v9, v5
	v_cndmask_b32_e32 v5, v8, v5, vcc_lo
	s_delay_alu instid0(VALU_DEP_1) | instskip(NEXT) | instid1(VALU_DEP_1)
	v_dual_lshrrev_b32 v5, 2, v5 :: v_dual_bitop2_b32 v8, 7, v5 bitop3:0x40
	v_cmp_lt_i32_e32 vcc_lo, 5, v8
	v_cndmask_b32_e64 v9, 0, 1, vcc_lo
	v_cmp_eq_u32_e32 vcc_lo, 3, v8
	v_cndmask_b32_e64 v8, 0, 1, vcc_lo
	v_cmp_ne_u32_e32 vcc_lo, 0, v1
	s_delay_alu instid0(VALU_DEP_2) | instskip(SKIP_1) | instid1(VALU_DEP_2)
	v_or_b32_e32 v8, v8, v9
	v_mov_b32_e32 v9, 0x7e00
	v_add_nc_u32_e32 v5, v5, v8
	s_delay_alu instid0(VALU_DEP_2) | instskip(SKIP_1) | instid1(VALU_DEP_3)
	v_cndmask_b32_e32 v1, 0x7c00, v9, vcc_lo
	v_cmp_gt_i32_e32 vcc_lo, 31, v6
	v_cndmask_b32_e32 v5, 0x7c00, v5, vcc_lo
	v_cmp_eq_u32_e32 vcc_lo, 0x40f, v6
	s_delay_alu instid0(VALU_DEP_2) | instskip(NEXT) | instid1(VALU_DEP_1)
	v_dual_cndmask_b32 v1, v5, v1, vcc_lo :: v_dual_lshrrev_b32 v5, 16, v7
	v_and_or_b32 v5, 0x8000, v5, v1
	s_branch .LBB22_1129
.LBB22_1127:
	s_mov_b32 s3, -1
                                        ; implicit-def: $vgpr5
	s_branch .LBB22_1132
.LBB22_1128:
	s_mov_b32 s3, -1
                                        ; implicit-def: $vgpr5
.LBB22_1129:
	s_delay_alu instid0(SALU_CYCLE_1)
	s_and_not1_b32 vcc_lo, exec_lo, s3
	s_cbranch_vccnz .LBB22_1131
; %bb.1130:
	global_load_b32 v1, v[2:3], off
	s_wait_loadcnt 0x0
	v_cvt_f16_f32_e32 v5, v1
.LBB22_1131:
	s_mov_b32 s3, 0
.LBB22_1132:
	s_delay_alu instid0(SALU_CYCLE_1)
	s_and_not1_b32 vcc_lo, exec_lo, s3
	s_cbranch_vccnz .LBB22_1134
; %bb.1133:
	s_wait_loadcnt 0x0
	global_load_u16 v5, v[2:3], off
.LBB22_1134:
	s_cbranch_execnz .LBB22_1153
.LBB22_1135:
	s_cmp_lt_i32 s0, 2
	s_cbranch_scc1 .LBB22_1139
; %bb.1136:
	s_cmp_lt_i32 s0, 3
	s_cbranch_scc1 .LBB22_1140
; %bb.1137:
	s_cmp_gt_i32 s0, 3
	s_cbranch_scc0 .LBB22_1141
; %bb.1138:
	global_load_b64 v[6:7], v[2:3], off
	s_mov_b32 s3, 0
	s_wait_loadcnt 0x0
	v_xor_b32_e32 v1, v6, v7
	v_cls_i32_e32 v5, v7
	s_delay_alu instid0(VALU_DEP_2) | instskip(NEXT) | instid1(VALU_DEP_1)
	v_ashrrev_i32_e32 v1, 31, v1
	v_add_nc_u32_e32 v1, 32, v1
	s_delay_alu instid0(VALU_DEP_1) | instskip(NEXT) | instid1(VALU_DEP_1)
	v_add_min_u32_e64 v1, v5, -1, v1
	v_lshlrev_b64_e32 v[6:7], v1, v[6:7]
	v_sub_nc_u32_e32 v1, 32, v1
	s_delay_alu instid0(VALU_DEP_2) | instskip(NEXT) | instid1(VALU_DEP_1)
	v_min_u32_e32 v5, 1, v6
	v_or_b32_e32 v5, v7, v5
	s_delay_alu instid0(VALU_DEP_1) | instskip(NEXT) | instid1(VALU_DEP_1)
	v_cvt_f32_i32_e32 v5, v5
	v_ldexp_f32 v1, v5, v1
	s_delay_alu instid0(VALU_DEP_1)
	v_cvt_f16_f32_e32 v5, v1
	s_branch .LBB22_1142
.LBB22_1139:
                                        ; implicit-def: $vgpr5
	s_branch .LBB22_1148
.LBB22_1140:
	s_mov_b32 s3, -1
                                        ; implicit-def: $vgpr5
	s_branch .LBB22_1145
.LBB22_1141:
	s_mov_b32 s3, -1
                                        ; implicit-def: $vgpr5
.LBB22_1142:
	s_delay_alu instid0(SALU_CYCLE_1)
	s_and_not1_b32 vcc_lo, exec_lo, s3
	s_cbranch_vccnz .LBB22_1144
; %bb.1143:
	global_load_b32 v1, v[2:3], off
	s_wait_loadcnt 0x0
	v_cvt_f32_i32_e32 v1, v1
	s_delay_alu instid0(VALU_DEP_1)
	v_cvt_f16_f32_e32 v5, v1
.LBB22_1144:
	s_mov_b32 s3, 0
.LBB22_1145:
	s_delay_alu instid0(SALU_CYCLE_1)
	s_and_not1_b32 vcc_lo, exec_lo, s3
	s_cbranch_vccnz .LBB22_1147
; %bb.1146:
	global_load_u16 v1, v[2:3], off
	s_wait_loadcnt 0x0
	v_cvt_f16_i16_e32 v5, v1
.LBB22_1147:
	s_cbranch_execnz .LBB22_1153
.LBB22_1148:
	s_cmp_gt_i32 s0, 0
	s_mov_b32 s3, 0
	s_cbranch_scc0 .LBB22_1150
; %bb.1149:
	global_load_i8 v1, v[2:3], off
	s_wait_loadcnt 0x0
	v_cvt_f16_i16_e32 v5, v1
	s_branch .LBB22_1151
.LBB22_1150:
	s_mov_b32 s3, -1
                                        ; implicit-def: $vgpr5
.LBB22_1151:
	s_delay_alu instid0(SALU_CYCLE_1)
	s_and_not1_b32 vcc_lo, exec_lo, s3
	s_cbranch_vccnz .LBB22_1153
; %bb.1152:
	global_load_u8 v1, v[2:3], off
	s_wait_loadcnt 0x0
	v_cvt_f16_u16_e32 v5, v1
.LBB22_1153:
.LBB22_1154:
	s_lshl_b32 s3, s9, 7
	s_cmp_lt_i32 s0, 11
	v_add_nc_u32_e32 v0, s3, v0
	s_delay_alu instid0(VALU_DEP_1) | instskip(SKIP_1) | instid1(VALU_DEP_1)
	v_ashrrev_i32_e32 v1, 31, v0
	s_wait_xcnt 0x0
	v_add_nc_u64_e32 v[2:3], s[6:7], v[0:1]
	s_cbranch_scc1 .LBB22_1161
; %bb.1155:
	s_cmp_gt_i32 s0, 25
	s_mov_b32 s13, 0
	s_cbranch_scc0 .LBB22_1163
; %bb.1156:
	s_cmp_gt_i32 s0, 28
	s_cbranch_scc0 .LBB22_1164
; %bb.1157:
	s_cmp_gt_i32 s0, 43
	;; [unrolled: 3-line block ×3, first 2 shown]
	s_cbranch_scc0 .LBB22_1167
; %bb.1159:
	s_cmp_eq_u32 s0, 46
	s_mov_b32 s15, 0
	s_cbranch_scc0 .LBB22_1170
; %bb.1160:
	global_load_b32 v1, v[2:3], off
	s_mov_b32 s9, 0
	s_mov_b32 s14, -1
	s_wait_loadcnt 0x0
	v_lshlrev_b32_e32 v1, 16, v1
	s_delay_alu instid0(VALU_DEP_1)
	v_cvt_f16_f32_e32 v6, v1
	s_branch .LBB22_1172
.LBB22_1161:
	s_mov_b32 s14, 0
                                        ; implicit-def: $vgpr6
	s_cbranch_execnz .LBB22_1237
.LBB22_1162:
	s_and_not1_b32 vcc_lo, exec_lo, s14
	s_cbranch_vccz .LBB22_1284
	s_branch .LBB22_1975
.LBB22_1163:
	s_mov_b32 s14, 0
	s_mov_b32 s9, 0
                                        ; implicit-def: $vgpr6
	s_cbranch_execnz .LBB22_1201
	s_branch .LBB22_1233
.LBB22_1164:
	s_mov_b32 s15, -1
	s_mov_b32 s14, 0
	s_mov_b32 s9, 0
                                        ; implicit-def: $vgpr6
	s_branch .LBB22_1182
.LBB22_1165:
	s_mov_b32 s15, -1
	s_mov_b32 s14, 0
	s_mov_b32 s9, 0
                                        ; implicit-def: $vgpr6
	s_branch .LBB22_1177
.LBB22_1166:
	s_or_b32 s1, s12, exec_lo
	s_trap 2
	s_cbranch_execz .LBB22_1107
	s_branch .LBB22_1108
.LBB22_1167:
	s_mov_b32 s15, -1
	s_mov_b32 s14, 0
	s_mov_b32 s9, 0
	s_branch .LBB22_1171
.LBB22_1168:
	s_and_not1_saveexec_b32 s20, s20
	s_cbranch_execz .LBB22_950
.LBB22_1169:
	v_add_f32_e64 v4, 0x42800000, |v3|
	s_and_not1_b32 s19, s19, exec_lo
	s_delay_alu instid0(VALU_DEP_1) | instskip(NEXT) | instid1(VALU_DEP_1)
	v_and_b32_e32 v4, 0xff, v4
	v_cmp_ne_u32_e32 vcc_lo, 0, v4
	s_and_b32 s21, vcc_lo, exec_lo
	s_delay_alu instid0(SALU_CYCLE_1)
	s_or_b32 s19, s19, s21
	s_or_b32 exec_lo, exec_lo, s20
	v_mov_b32_e32 v5, 0
	s_and_saveexec_b32 s20, s19
	s_cbranch_execnz .LBB22_951
	s_branch .LBB22_952
.LBB22_1170:
	s_mov_b32 s9, -1
	s_mov_b32 s14, 0
.LBB22_1171:
                                        ; implicit-def: $vgpr6
.LBB22_1172:
	s_and_b32 vcc_lo, exec_lo, s15
	s_cbranch_vccz .LBB22_1176
; %bb.1173:
	s_cmp_eq_u32 s0, 44
	s_cbranch_scc0 .LBB22_1175
; %bb.1174:
	global_load_u8 v1, v[2:3], off
	s_mov_b32 s9, 0
	s_mov_b32 s14, -1
	s_wait_loadcnt 0x0
	v_lshlrev_b32_e32 v6, 23, v1
	v_cmp_ne_u32_e32 vcc_lo, 0xff, v1
	s_delay_alu instid0(VALU_DEP_2) | instskip(NEXT) | instid1(VALU_DEP_1)
	v_cvt_f16_f32_e32 v6, v6
	v_cndmask_b32_e32 v6, 0x7e00, v6, vcc_lo
	v_cmp_ne_u32_e32 vcc_lo, 0, v1
	s_delay_alu instid0(VALU_DEP_2)
	v_cndmask_b32_e32 v6, 0, v6, vcc_lo
	s_branch .LBB22_1176
.LBB22_1175:
	s_mov_b32 s9, -1
                                        ; implicit-def: $vgpr6
.LBB22_1176:
	s_mov_b32 s15, 0
.LBB22_1177:
	s_delay_alu instid0(SALU_CYCLE_1)
	s_and_b32 vcc_lo, exec_lo, s15
	s_cbranch_vccz .LBB22_1181
; %bb.1178:
	s_cmp_eq_u32 s0, 29
	s_cbranch_scc0 .LBB22_1180
; %bb.1179:
	global_load_b64 v[6:7], v[2:3], off
	s_mov_b32 s9, 0
	s_mov_b32 s14, -1
	s_mov_b32 s15, 0
	s_wait_loadcnt 0x0
	v_clz_i32_u32_e32 v1, v7
	s_delay_alu instid0(VALU_DEP_1) | instskip(NEXT) | instid1(VALU_DEP_1)
	v_min_u32_e32 v1, 32, v1
	v_lshlrev_b64_e32 v[6:7], v1, v[6:7]
	v_sub_nc_u32_e32 v1, 32, v1
	s_delay_alu instid0(VALU_DEP_2) | instskip(NEXT) | instid1(VALU_DEP_1)
	v_min_u32_e32 v6, 1, v6
	v_or_b32_e32 v6, v7, v6
	s_delay_alu instid0(VALU_DEP_1) | instskip(NEXT) | instid1(VALU_DEP_1)
	v_cvt_f32_u32_e32 v6, v6
	v_ldexp_f32 v1, v6, v1
	s_delay_alu instid0(VALU_DEP_1)
	v_cvt_f16_f32_e32 v6, v1
	s_branch .LBB22_1182
.LBB22_1180:
	s_mov_b32 s9, -1
                                        ; implicit-def: $vgpr6
.LBB22_1181:
	s_mov_b32 s15, 0
.LBB22_1182:
	s_delay_alu instid0(SALU_CYCLE_1)
	s_and_b32 vcc_lo, exec_lo, s15
	s_cbranch_vccz .LBB22_1200
; %bb.1183:
	s_cmp_lt_i32 s0, 27
	s_cbranch_scc1 .LBB22_1186
; %bb.1184:
	s_cmp_gt_i32 s0, 27
	s_cbranch_scc0 .LBB22_1187
; %bb.1185:
	global_load_b32 v1, v[2:3], off
	s_mov_b32 s14, 0
	s_wait_loadcnt 0x0
	v_cvt_f32_u32_e32 v1, v1
	s_delay_alu instid0(VALU_DEP_1)
	v_cvt_f16_f32_e32 v6, v1
	s_branch .LBB22_1188
.LBB22_1186:
	s_mov_b32 s14, -1
                                        ; implicit-def: $vgpr6
	s_branch .LBB22_1191
.LBB22_1187:
	s_mov_b32 s14, -1
                                        ; implicit-def: $vgpr6
.LBB22_1188:
	s_delay_alu instid0(SALU_CYCLE_1)
	s_and_not1_b32 vcc_lo, exec_lo, s14
	s_cbranch_vccnz .LBB22_1190
; %bb.1189:
	global_load_u16 v1, v[2:3], off
	s_wait_loadcnt 0x0
	v_cvt_f16_u16_e32 v6, v1
.LBB22_1190:
	s_mov_b32 s14, 0
.LBB22_1191:
	s_delay_alu instid0(SALU_CYCLE_1)
	s_and_not1_b32 vcc_lo, exec_lo, s14
	s_cbranch_vccnz .LBB22_1199
; %bb.1192:
	global_load_u8 v1, v[2:3], off
	s_mov_b32 s14, 0
	s_mov_b32 s15, exec_lo
	s_wait_loadcnt 0x0
	v_cmpx_lt_i16_e32 0x7f, v1
	s_xor_b32 s15, exec_lo, s15
	s_cbranch_execz .LBB22_1212
; %bb.1193:
	s_mov_b32 s14, -1
	s_mov_b32 s16, exec_lo
	v_cmpx_eq_u16_e32 0x80, v1
; %bb.1194:
	s_xor_b32 s14, exec_lo, -1
; %bb.1195:
	s_or_b32 exec_lo, exec_lo, s16
	s_delay_alu instid0(SALU_CYCLE_1)
	s_and_b32 s14, s14, exec_lo
	s_or_saveexec_b32 s15, s15
	v_mov_b32_e32 v6, 0x7e00
	s_xor_b32 exec_lo, exec_lo, s15
	s_cbranch_execnz .LBB22_1213
.LBB22_1196:
	s_or_b32 exec_lo, exec_lo, s15
	s_and_saveexec_b32 s15, s14
	s_cbranch_execz .LBB22_1198
.LBB22_1197:
	v_and_b32_e32 v6, 0xffff, v1
	s_delay_alu instid0(VALU_DEP_1) | instskip(SKIP_1) | instid1(VALU_DEP_2)
	v_and_b32_e32 v7, 7, v6
	v_bfe_u32 v10, v6, 3, 4
	v_clz_i32_u32_e32 v8, v7
	s_delay_alu instid0(VALU_DEP_2) | instskip(NEXT) | instid1(VALU_DEP_2)
	v_cmp_eq_u32_e32 vcc_lo, 0, v10
	v_min_u32_e32 v8, 32, v8
	s_delay_alu instid0(VALU_DEP_1) | instskip(NEXT) | instid1(VALU_DEP_1)
	v_subrev_nc_u32_e32 v9, 28, v8
	v_dual_lshlrev_b32 v6, v9, v6 :: v_dual_sub_nc_u32 v8, 29, v8
	s_delay_alu instid0(VALU_DEP_1) | instskip(NEXT) | instid1(VALU_DEP_1)
	v_dual_lshlrev_b32 v1, 24, v1 :: v_dual_bitop2_b32 v6, 7, v6 bitop3:0x40
	v_dual_cndmask_b32 v8, v10, v8, vcc_lo :: v_dual_cndmask_b32 v6, v7, v6, vcc_lo
	s_delay_alu instid0(VALU_DEP_2) | instskip(NEXT) | instid1(VALU_DEP_2)
	v_and_b32_e32 v1, 0x80000000, v1
	v_lshl_add_u32 v7, v8, 23, 0x3b800000
	s_delay_alu instid0(VALU_DEP_3) | instskip(NEXT) | instid1(VALU_DEP_1)
	v_lshlrev_b32_e32 v6, 20, v6
	v_or3_b32 v1, v1, v7, v6
	s_delay_alu instid0(VALU_DEP_1)
	v_cvt_f16_f32_e32 v6, v1
.LBB22_1198:
	s_or_b32 exec_lo, exec_lo, s15
.LBB22_1199:
	s_mov_b32 s14, -1
.LBB22_1200:
	s_branch .LBB22_1233
.LBB22_1201:
	s_cmp_gt_i32 s0, 22
	s_cbranch_scc0 .LBB22_1211
; %bb.1202:
	s_cmp_lt_i32 s0, 24
	s_cbranch_scc1 .LBB22_1214
; %bb.1203:
	s_cmp_gt_i32 s0, 24
	s_cbranch_scc0 .LBB22_1215
; %bb.1204:
	global_load_u8 v1, v[2:3], off
	s_mov_b32 s14, exec_lo
	s_wait_loadcnt 0x0
	v_cmpx_lt_i16_e32 0x7f, v1
	s_xor_b32 s14, exec_lo, s14
	s_cbranch_execz .LBB22_1227
; %bb.1205:
	s_mov_b32 s13, -1
	s_mov_b32 s15, exec_lo
	v_cmpx_eq_u16_e32 0x80, v1
; %bb.1206:
	s_xor_b32 s13, exec_lo, -1
; %bb.1207:
	s_or_b32 exec_lo, exec_lo, s15
	s_delay_alu instid0(SALU_CYCLE_1)
	s_and_b32 s13, s13, exec_lo
	s_or_saveexec_b32 s14, s14
	v_mov_b32_e32 v6, 0x7e00
	s_xor_b32 exec_lo, exec_lo, s14
	s_cbranch_execnz .LBB22_1228
.LBB22_1208:
	s_or_b32 exec_lo, exec_lo, s14
	s_and_saveexec_b32 s14, s13
	s_cbranch_execz .LBB22_1210
.LBB22_1209:
	v_and_b32_e32 v6, 0xffff, v1
	s_delay_alu instid0(VALU_DEP_1) | instskip(SKIP_1) | instid1(VALU_DEP_2)
	v_and_b32_e32 v7, 3, v6
	v_bfe_u32 v10, v6, 2, 5
	v_clz_i32_u32_e32 v8, v7
	s_delay_alu instid0(VALU_DEP_2) | instskip(NEXT) | instid1(VALU_DEP_2)
	v_cmp_eq_u32_e32 vcc_lo, 0, v10
	v_min_u32_e32 v8, 32, v8
	s_delay_alu instid0(VALU_DEP_1) | instskip(NEXT) | instid1(VALU_DEP_1)
	v_subrev_nc_u32_e32 v9, 29, v8
	v_dual_lshlrev_b32 v6, v9, v6 :: v_dual_sub_nc_u32 v8, 30, v8
	s_delay_alu instid0(VALU_DEP_1) | instskip(NEXT) | instid1(VALU_DEP_1)
	v_dual_lshlrev_b32 v1, 24, v1 :: v_dual_bitop2_b32 v6, 3, v6 bitop3:0x40
	v_dual_cndmask_b32 v8, v10, v8, vcc_lo :: v_dual_cndmask_b32 v6, v7, v6, vcc_lo
	s_delay_alu instid0(VALU_DEP_2) | instskip(NEXT) | instid1(VALU_DEP_2)
	v_and_b32_e32 v1, 0x80000000, v1
	v_lshl_add_u32 v7, v8, 23, 0x37800000
	s_delay_alu instid0(VALU_DEP_3) | instskip(NEXT) | instid1(VALU_DEP_1)
	v_lshlrev_b32_e32 v6, 21, v6
	v_or3_b32 v1, v1, v7, v6
	s_delay_alu instid0(VALU_DEP_1)
	v_cvt_f16_f32_e32 v6, v1
.LBB22_1210:
	s_or_b32 exec_lo, exec_lo, s14
	s_mov_b32 s13, 0
	s_branch .LBB22_1216
.LBB22_1211:
	s_mov_b32 s13, -1
                                        ; implicit-def: $vgpr6
	s_branch .LBB22_1222
.LBB22_1212:
	s_or_saveexec_b32 s15, s15
	v_mov_b32_e32 v6, 0x7e00
	s_xor_b32 exec_lo, exec_lo, s15
	s_cbranch_execz .LBB22_1196
.LBB22_1213:
	v_cmp_ne_u16_e32 vcc_lo, 0, v1
	v_mov_b32_e32 v6, v1
	s_and_not1_b32 s14, s14, exec_lo
	s_and_b32 s16, vcc_lo, exec_lo
	s_delay_alu instid0(SALU_CYCLE_1)
	s_or_b32 s14, s14, s16
	s_or_b32 exec_lo, exec_lo, s15
	s_and_saveexec_b32 s15, s14
	s_cbranch_execnz .LBB22_1197
	s_branch .LBB22_1198
.LBB22_1214:
	s_mov_b32 s13, -1
                                        ; implicit-def: $vgpr6
	s_branch .LBB22_1219
.LBB22_1215:
	s_mov_b32 s13, -1
                                        ; implicit-def: $vgpr6
.LBB22_1216:
	s_delay_alu instid0(SALU_CYCLE_1)
	s_and_b32 vcc_lo, exec_lo, s13
	s_cbranch_vccz .LBB22_1218
; %bb.1217:
	global_load_u8 v1, v[2:3], off
	s_wait_loadcnt 0x0
	v_lshlrev_b32_e32 v1, 24, v1
	s_delay_alu instid0(VALU_DEP_1) | instskip(NEXT) | instid1(VALU_DEP_1)
	v_and_b32_e32 v6, 0x7f000000, v1
	v_clz_i32_u32_e32 v7, v6
	v_cmp_ne_u32_e32 vcc_lo, 0, v6
	v_add_nc_u32_e32 v9, 0x1000000, v6
	s_delay_alu instid0(VALU_DEP_3) | instskip(NEXT) | instid1(VALU_DEP_1)
	v_min_u32_e32 v7, 32, v7
	v_sub_nc_u32_e64 v7, v7, 4 clamp
	s_delay_alu instid0(VALU_DEP_1) | instskip(NEXT) | instid1(VALU_DEP_1)
	v_dual_lshlrev_b32 v8, v7, v6 :: v_dual_lshlrev_b32 v7, 23, v7
	v_lshrrev_b32_e32 v8, 4, v8
	s_delay_alu instid0(VALU_DEP_1) | instskip(NEXT) | instid1(VALU_DEP_1)
	v_dual_sub_nc_u32 v7, v8, v7 :: v_dual_ashrrev_i32 v8, 8, v9
	v_add_nc_u32_e32 v7, 0x3c000000, v7
	s_delay_alu instid0(VALU_DEP_1) | instskip(NEXT) | instid1(VALU_DEP_1)
	v_and_or_b32 v7, 0x7f800000, v8, v7
	v_cndmask_b32_e32 v6, 0, v7, vcc_lo
	s_delay_alu instid0(VALU_DEP_1) | instskip(NEXT) | instid1(VALU_DEP_1)
	v_and_or_b32 v1, 0x80000000, v1, v6
	v_cvt_f16_f32_e32 v6, v1
.LBB22_1218:
	s_mov_b32 s13, 0
.LBB22_1219:
	s_delay_alu instid0(SALU_CYCLE_1)
	s_and_not1_b32 vcc_lo, exec_lo, s13
	s_cbranch_vccnz .LBB22_1221
; %bb.1220:
	global_load_u8 v1, v[2:3], off
	s_wait_loadcnt 0x0
	v_lshlrev_b32_e32 v6, 25, v1
	v_lshlrev_b16 v1, 8, v1
	s_delay_alu instid0(VALU_DEP_1) | instskip(SKIP_1) | instid1(VALU_DEP_2)
	v_and_or_b32 v8, 0x7f00, v1, 0.5
	v_bfe_i32 v1, v1, 0, 16
	v_dual_add_f32 v8, -0.5, v8 :: v_dual_lshrrev_b32 v7, 4, v6
	v_cmp_gt_u32_e32 vcc_lo, 0x8000000, v6
	s_delay_alu instid0(VALU_DEP_2) | instskip(NEXT) | instid1(VALU_DEP_1)
	v_or_b32_e32 v7, 0x70000000, v7
	v_mul_f32_e32 v7, 0x7800000, v7
	s_delay_alu instid0(VALU_DEP_1) | instskip(NEXT) | instid1(VALU_DEP_1)
	v_cndmask_b32_e32 v6, v7, v8, vcc_lo
	v_and_or_b32 v1, 0x80000000, v1, v6
	s_delay_alu instid0(VALU_DEP_1)
	v_cvt_f16_f32_e32 v6, v1
.LBB22_1221:
	s_mov_b32 s13, 0
	s_mov_b32 s14, -1
.LBB22_1222:
	s_and_not1_b32 vcc_lo, exec_lo, s13
	s_mov_b32 s13, 0
	s_cbranch_vccnz .LBB22_1233
; %bb.1223:
	s_cmp_gt_i32 s0, 14
	s_cbranch_scc0 .LBB22_1226
; %bb.1224:
	s_cmp_eq_u32 s0, 15
	s_cbranch_scc0 .LBB22_1229
; %bb.1225:
	global_load_u16 v1, v[2:3], off
	s_mov_b32 s9, 0
	s_mov_b32 s14, -1
	s_wait_loadcnt 0x0
	v_lshlrev_b32_e32 v1, 16, v1
	s_delay_alu instid0(VALU_DEP_1)
	v_cvt_f16_f32_e32 v6, v1
	s_branch .LBB22_1231
.LBB22_1226:
	s_mov_b32 s13, -1
	s_branch .LBB22_1230
.LBB22_1227:
	s_or_saveexec_b32 s14, s14
	v_mov_b32_e32 v6, 0x7e00
	s_xor_b32 exec_lo, exec_lo, s14
	s_cbranch_execz .LBB22_1208
.LBB22_1228:
	v_cmp_ne_u16_e32 vcc_lo, 0, v1
	v_mov_b32_e32 v6, v1
	s_and_not1_b32 s13, s13, exec_lo
	s_and_b32 s15, vcc_lo, exec_lo
	s_delay_alu instid0(SALU_CYCLE_1)
	s_or_b32 s13, s13, s15
	s_or_b32 exec_lo, exec_lo, s14
	s_and_saveexec_b32 s14, s13
	s_cbranch_execnz .LBB22_1209
	s_branch .LBB22_1210
.LBB22_1229:
	s_mov_b32 s9, -1
.LBB22_1230:
                                        ; implicit-def: $vgpr6
.LBB22_1231:
	s_and_b32 vcc_lo, exec_lo, s13
	s_mov_b32 s13, 0
	s_cbranch_vccz .LBB22_1233
; %bb.1232:
	s_cmp_lg_u32 s0, 11
	s_mov_b32 s13, -1
	s_cselect_b32 s9, -1, 0
.LBB22_1233:
	s_delay_alu instid0(SALU_CYCLE_1)
	s_and_b32 vcc_lo, exec_lo, s9
	s_cbranch_vccnz .LBB22_1296
; %bb.1234:
	s_and_not1_b32 vcc_lo, exec_lo, s13
	s_cbranch_vccnz .LBB22_1236
.LBB22_1235:
	global_load_u8 v1, v[2:3], off
	s_mov_b32 s14, -1
	s_wait_loadcnt 0x0
	v_cmp_ne_u16_e32 vcc_lo, 0, v1
	v_cndmask_b32_e64 v6, 0, 0x3c00, vcc_lo
.LBB22_1236:
	s_branch .LBB22_1162
.LBB22_1237:
	s_cmp_lt_i32 s0, 5
	s_cbranch_scc1 .LBB22_1242
; %bb.1238:
	s_cmp_lt_i32 s0, 8
	s_cbranch_scc1 .LBB22_1243
; %bb.1239:
	;; [unrolled: 3-line block ×3, first 2 shown]
	s_cmp_gt_i32 s0, 9
	s_cbranch_scc0 .LBB22_1245
; %bb.1241:
	global_load_b64 v[6:7], v[2:3], off
	s_mov_b32 s9, 0
	s_wait_loadcnt 0x0
	v_and_or_b32 v1, 0x1ff, v7, v6
	v_lshrrev_b32_e32 v6, 8, v7
	v_bfe_u32 v8, v7, 20, 11
	s_delay_alu instid0(VALU_DEP_3) | instskip(NEXT) | instid1(VALU_DEP_2)
	v_cmp_ne_u32_e32 vcc_lo, 0, v1
	v_sub_nc_u32_e32 v9, 0x3f1, v8
	v_add_nc_u32_e32 v8, 0xfffffc10, v8
	v_cndmask_b32_e64 v1, 0, 1, vcc_lo
	s_delay_alu instid0(VALU_DEP_1) | instskip(NEXT) | instid1(VALU_DEP_4)
	v_and_or_b32 v1, 0xffe, v6, v1
	v_med3_i32 v6, v9, 0, 13
	s_delay_alu instid0(VALU_DEP_2) | instskip(NEXT) | instid1(VALU_DEP_1)
	v_or_b32_e32 v9, 0x1000, v1
	v_lshrrev_b32_e32 v10, v6, v9
	s_delay_alu instid0(VALU_DEP_1) | instskip(NEXT) | instid1(VALU_DEP_1)
	v_lshlrev_b32_e32 v6, v6, v10
	v_cmp_ne_u32_e32 vcc_lo, v6, v9
	v_lshl_or_b32 v9, v8, 12, v1
	v_cndmask_b32_e64 v6, 0, 1, vcc_lo
	v_cmp_gt_i32_e32 vcc_lo, 1, v8
	s_delay_alu instid0(VALU_DEP_2) | instskip(NEXT) | instid1(VALU_DEP_1)
	v_or_b32_e32 v6, v10, v6
	v_cndmask_b32_e32 v6, v9, v6, vcc_lo
	s_delay_alu instid0(VALU_DEP_1) | instskip(NEXT) | instid1(VALU_DEP_1)
	v_dual_lshrrev_b32 v6, 2, v6 :: v_dual_bitop2_b32 v9, 7, v6 bitop3:0x40
	v_cmp_lt_i32_e32 vcc_lo, 5, v9
	v_cndmask_b32_e64 v10, 0, 1, vcc_lo
	v_cmp_eq_u32_e32 vcc_lo, 3, v9
	v_cndmask_b32_e64 v9, 0, 1, vcc_lo
	v_cmp_ne_u32_e32 vcc_lo, 0, v1
	s_delay_alu instid0(VALU_DEP_2) | instskip(SKIP_1) | instid1(VALU_DEP_1)
	v_or_b32_e32 v9, v9, v10
	v_mov_b32_e32 v10, 0x7e00
	v_dual_cndmask_b32 v1, 0x7c00, v10 :: v_dual_add_nc_u32 v6, v6, v9
	v_cmp_gt_i32_e32 vcc_lo, 31, v8
	s_delay_alu instid0(VALU_DEP_2) | instskip(SKIP_1) | instid1(VALU_DEP_2)
	v_cndmask_b32_e32 v6, 0x7c00, v6, vcc_lo
	v_cmp_eq_u32_e32 vcc_lo, 0x40f, v8
	v_dual_cndmask_b32 v1, v6, v1 :: v_dual_lshrrev_b32 v6, 16, v7
	s_delay_alu instid0(VALU_DEP_1)
	v_and_or_b32 v6, 0x8000, v6, v1
	s_branch .LBB22_1246
.LBB22_1242:
                                        ; implicit-def: $vgpr6
	s_branch .LBB22_1264
.LBB22_1243:
	s_mov_b32 s9, -1
                                        ; implicit-def: $vgpr6
	s_branch .LBB22_1252
.LBB22_1244:
	s_mov_b32 s9, -1
                                        ; implicit-def: $vgpr6
	s_branch .LBB22_1249
.LBB22_1245:
	s_mov_b32 s9, -1
                                        ; implicit-def: $vgpr6
.LBB22_1246:
	s_delay_alu instid0(SALU_CYCLE_1)
	s_and_not1_b32 vcc_lo, exec_lo, s9
	s_cbranch_vccnz .LBB22_1248
; %bb.1247:
	global_load_b32 v1, v[2:3], off
	s_wait_loadcnt 0x0
	v_cvt_f16_f32_e32 v6, v1
.LBB22_1248:
	s_mov_b32 s9, 0
.LBB22_1249:
	s_delay_alu instid0(SALU_CYCLE_1)
	s_and_not1_b32 vcc_lo, exec_lo, s9
	s_cbranch_vccnz .LBB22_1251
; %bb.1250:
	global_load_b32 v6, v[2:3], off
.LBB22_1251:
	s_mov_b32 s9, 0
.LBB22_1252:
	s_delay_alu instid0(SALU_CYCLE_1)
	s_and_not1_b32 vcc_lo, exec_lo, s9
	s_cbranch_vccnz .LBB22_1263
; %bb.1253:
	s_cmp_lt_i32 s0, 6
	s_cbranch_scc1 .LBB22_1256
; %bb.1254:
	s_cmp_gt_i32 s0, 6
	s_cbranch_scc0 .LBB22_1257
; %bb.1255:
	s_wait_loadcnt 0x0
	global_load_b64 v[6:7], v[2:3], off
	s_mov_b32 s9, 0
	s_wait_loadcnt 0x0
	v_and_or_b32 v1, 0x1ff, v7, v6
	v_lshrrev_b32_e32 v6, 8, v7
	v_bfe_u32 v8, v7, 20, 11
	s_delay_alu instid0(VALU_DEP_3) | instskip(NEXT) | instid1(VALU_DEP_2)
	v_cmp_ne_u32_e32 vcc_lo, 0, v1
	v_sub_nc_u32_e32 v9, 0x3f1, v8
	v_add_nc_u32_e32 v8, 0xfffffc10, v8
	v_cndmask_b32_e64 v1, 0, 1, vcc_lo
	s_delay_alu instid0(VALU_DEP_1) | instskip(NEXT) | instid1(VALU_DEP_4)
	v_and_or_b32 v1, 0xffe, v6, v1
	v_med3_i32 v6, v9, 0, 13
	s_delay_alu instid0(VALU_DEP_2) | instskip(NEXT) | instid1(VALU_DEP_1)
	v_or_b32_e32 v9, 0x1000, v1
	v_lshrrev_b32_e32 v10, v6, v9
	s_delay_alu instid0(VALU_DEP_1) | instskip(NEXT) | instid1(VALU_DEP_1)
	v_lshlrev_b32_e32 v6, v6, v10
	v_cmp_ne_u32_e32 vcc_lo, v6, v9
	v_lshl_or_b32 v9, v8, 12, v1
	v_cndmask_b32_e64 v6, 0, 1, vcc_lo
	v_cmp_gt_i32_e32 vcc_lo, 1, v8
	s_delay_alu instid0(VALU_DEP_2) | instskip(NEXT) | instid1(VALU_DEP_1)
	v_or_b32_e32 v6, v10, v6
	v_cndmask_b32_e32 v6, v9, v6, vcc_lo
	s_delay_alu instid0(VALU_DEP_1) | instskip(NEXT) | instid1(VALU_DEP_1)
	v_dual_lshrrev_b32 v6, 2, v6 :: v_dual_bitop2_b32 v9, 7, v6 bitop3:0x40
	v_cmp_lt_i32_e32 vcc_lo, 5, v9
	v_cndmask_b32_e64 v10, 0, 1, vcc_lo
	v_cmp_eq_u32_e32 vcc_lo, 3, v9
	v_cndmask_b32_e64 v9, 0, 1, vcc_lo
	v_cmp_ne_u32_e32 vcc_lo, 0, v1
	s_delay_alu instid0(VALU_DEP_2) | instskip(SKIP_1) | instid1(VALU_DEP_1)
	v_or_b32_e32 v9, v9, v10
	v_mov_b32_e32 v10, 0x7e00
	v_dual_cndmask_b32 v1, 0x7c00, v10 :: v_dual_add_nc_u32 v6, v6, v9
	v_cmp_gt_i32_e32 vcc_lo, 31, v8
	s_delay_alu instid0(VALU_DEP_2) | instskip(SKIP_1) | instid1(VALU_DEP_2)
	v_cndmask_b32_e32 v6, 0x7c00, v6, vcc_lo
	v_cmp_eq_u32_e32 vcc_lo, 0x40f, v8
	v_dual_cndmask_b32 v1, v6, v1 :: v_dual_lshrrev_b32 v6, 16, v7
	s_delay_alu instid0(VALU_DEP_1)
	v_and_or_b32 v6, 0x8000, v6, v1
	s_branch .LBB22_1258
.LBB22_1256:
	s_mov_b32 s9, -1
                                        ; implicit-def: $vgpr6
	s_branch .LBB22_1261
.LBB22_1257:
	s_mov_b32 s9, -1
                                        ; implicit-def: $vgpr6
.LBB22_1258:
	s_delay_alu instid0(SALU_CYCLE_1)
	s_and_not1_b32 vcc_lo, exec_lo, s9
	s_cbranch_vccnz .LBB22_1260
; %bb.1259:
	global_load_b32 v1, v[2:3], off
	s_wait_loadcnt 0x0
	v_cvt_f16_f32_e32 v6, v1
.LBB22_1260:
	s_mov_b32 s9, 0
.LBB22_1261:
	s_delay_alu instid0(SALU_CYCLE_1)
	s_and_not1_b32 vcc_lo, exec_lo, s9
	s_cbranch_vccnz .LBB22_1263
; %bb.1262:
	s_wait_loadcnt 0x0
	global_load_u16 v6, v[2:3], off
.LBB22_1263:
	s_cbranch_execnz .LBB22_1283
.LBB22_1264:
	s_cmp_lt_i32 s0, 2
	s_cbranch_scc1 .LBB22_1268
; %bb.1265:
	s_cmp_lt_i32 s0, 3
	s_cbranch_scc1 .LBB22_1269
; %bb.1266:
	s_cmp_gt_i32 s0, 3
	s_cbranch_scc0 .LBB22_1270
; %bb.1267:
	s_wait_loadcnt 0x0
	global_load_b64 v[6:7], v[2:3], off
	s_mov_b32 s9, 0
	s_wait_loadcnt 0x0
	v_xor_b32_e32 v1, v6, v7
	v_cls_i32_e32 v8, v7
	s_delay_alu instid0(VALU_DEP_2) | instskip(NEXT) | instid1(VALU_DEP_1)
	v_ashrrev_i32_e32 v1, 31, v1
	v_add_nc_u32_e32 v1, 32, v1
	s_delay_alu instid0(VALU_DEP_1) | instskip(NEXT) | instid1(VALU_DEP_1)
	v_add_min_u32_e64 v1, v8, -1, v1
	v_lshlrev_b64_e32 v[6:7], v1, v[6:7]
	v_sub_nc_u32_e32 v1, 32, v1
	s_delay_alu instid0(VALU_DEP_2) | instskip(NEXT) | instid1(VALU_DEP_1)
	v_min_u32_e32 v6, 1, v6
	v_or_b32_e32 v6, v7, v6
	s_delay_alu instid0(VALU_DEP_1) | instskip(NEXT) | instid1(VALU_DEP_1)
	v_cvt_f32_i32_e32 v6, v6
	v_ldexp_f32 v1, v6, v1
	s_delay_alu instid0(VALU_DEP_1)
	v_cvt_f16_f32_e32 v6, v1
	s_branch .LBB22_1271
.LBB22_1268:
	s_mov_b32 s9, -1
                                        ; implicit-def: $vgpr6
	s_branch .LBB22_1277
.LBB22_1269:
	s_mov_b32 s9, -1
                                        ; implicit-def: $vgpr6
	s_branch .LBB22_1274
.LBB22_1270:
	s_mov_b32 s9, -1
                                        ; implicit-def: $vgpr6
.LBB22_1271:
	s_delay_alu instid0(SALU_CYCLE_1)
	s_and_not1_b32 vcc_lo, exec_lo, s9
	s_cbranch_vccnz .LBB22_1273
; %bb.1272:
	global_load_b32 v1, v[2:3], off
	s_wait_loadcnt 0x0
	v_cvt_f32_i32_e32 v1, v1
	s_delay_alu instid0(VALU_DEP_1)
	v_cvt_f16_f32_e32 v6, v1
.LBB22_1273:
	s_mov_b32 s9, 0
.LBB22_1274:
	s_delay_alu instid0(SALU_CYCLE_1)
	s_and_not1_b32 vcc_lo, exec_lo, s9
	s_cbranch_vccnz .LBB22_1276
; %bb.1275:
	global_load_u16 v1, v[2:3], off
	s_wait_loadcnt 0x0
	v_cvt_f16_i16_e32 v6, v1
.LBB22_1276:
	s_mov_b32 s9, 0
.LBB22_1277:
	s_delay_alu instid0(SALU_CYCLE_1)
	s_and_not1_b32 vcc_lo, exec_lo, s9
	s_cbranch_vccnz .LBB22_1283
; %bb.1278:
	s_cmp_gt_i32 s0, 0
	s_mov_b32 s9, 0
	s_cbranch_scc0 .LBB22_1280
; %bb.1279:
	global_load_i8 v1, v[2:3], off
	s_wait_loadcnt 0x0
	v_cvt_f16_i16_e32 v6, v1
	s_branch .LBB22_1281
.LBB22_1280:
	s_mov_b32 s9, -1
                                        ; implicit-def: $vgpr6
.LBB22_1281:
	s_delay_alu instid0(SALU_CYCLE_1)
	s_and_not1_b32 vcc_lo, exec_lo, s9
	s_cbranch_vccnz .LBB22_1283
; %bb.1282:
	global_load_u8 v1, v[2:3], off
	s_wait_loadcnt 0x0
	v_cvt_f16_u16_e32 v6, v1
.LBB22_1283:
.LBB22_1284:
	v_add_nc_u32_e32 v0, s3, v0
	s_cmp_lt_i32 s0, 11
	s_delay_alu instid0(VALU_DEP_1) | instskip(SKIP_1) | instid1(VALU_DEP_1)
	v_ashrrev_i32_e32 v1, 31, v0
	s_wait_xcnt 0x0
	v_add_nc_u64_e32 v[2:3], s[6:7], v[0:1]
	s_cbranch_scc1 .LBB22_1291
; %bb.1285:
	s_cmp_gt_i32 s0, 25
	s_mov_b32 s13, 0
	s_cbranch_scc0 .LBB22_1293
; %bb.1286:
	s_cmp_gt_i32 s0, 28
	s_cbranch_scc0 .LBB22_1294
; %bb.1287:
	s_cmp_gt_i32 s0, 43
	;; [unrolled: 3-line block ×3, first 2 shown]
	s_cbranch_scc0 .LBB22_1297
; %bb.1289:
	s_cmp_eq_u32 s0, 46
	s_mov_b32 s15, 0
	s_cbranch_scc0 .LBB22_1298
; %bb.1290:
	global_load_b32 v1, v[2:3], off
	s_mov_b32 s9, 0
	s_mov_b32 s14, -1
	s_wait_loadcnt 0x0
	v_lshlrev_b32_e32 v1, 16, v1
	s_delay_alu instid0(VALU_DEP_1)
	v_cvt_f16_f32_e32 v7, v1
	s_branch .LBB22_1300
.LBB22_1291:
	s_mov_b32 s14, 0
                                        ; implicit-def: $vgpr7
	s_cbranch_execnz .LBB22_1366
.LBB22_1292:
	s_and_not1_b32 vcc_lo, exec_lo, s14
	s_cbranch_vccz .LBB22_1414
	s_branch .LBB22_1975
.LBB22_1293:
	s_mov_b32 s15, -1
	s_mov_b32 s14, 0
	s_mov_b32 s9, 0
                                        ; implicit-def: $vgpr7
	s_branch .LBB22_1329
.LBB22_1294:
	s_mov_b32 s15, -1
	s_mov_b32 s14, 0
	s_mov_b32 s9, 0
                                        ; implicit-def: $vgpr7
	s_branch .LBB22_1310
.LBB22_1295:
	s_mov_b32 s15, -1
	s_mov_b32 s14, 0
	s_mov_b32 s9, 0
                                        ; implicit-def: $vgpr7
	s_branch .LBB22_1305
.LBB22_1296:
	s_or_b32 s1, s1, exec_lo
	s_trap 2
	s_cbranch_execz .LBB22_1235
	s_branch .LBB22_1236
.LBB22_1297:
	s_mov_b32 s15, -1
	s_mov_b32 s14, 0
	s_mov_b32 s9, 0
	s_branch .LBB22_1299
.LBB22_1298:
	s_mov_b32 s9, -1
	s_mov_b32 s14, 0
.LBB22_1299:
                                        ; implicit-def: $vgpr7
.LBB22_1300:
	s_and_b32 vcc_lo, exec_lo, s15
	s_cbranch_vccz .LBB22_1304
; %bb.1301:
	s_cmp_eq_u32 s0, 44
	s_cbranch_scc0 .LBB22_1303
; %bb.1302:
	global_load_u8 v1, v[2:3], off
	s_mov_b32 s9, 0
	s_mov_b32 s14, -1
	s_wait_loadcnt 0x0
	v_lshlrev_b32_e32 v7, 23, v1
	v_cmp_ne_u32_e32 vcc_lo, 0xff, v1
	s_delay_alu instid0(VALU_DEP_2) | instskip(NEXT) | instid1(VALU_DEP_1)
	v_cvt_f16_f32_e32 v7, v7
	v_cndmask_b32_e32 v7, 0x7e00, v7, vcc_lo
	v_cmp_ne_u32_e32 vcc_lo, 0, v1
	s_delay_alu instid0(VALU_DEP_2)
	v_cndmask_b32_e32 v7, 0, v7, vcc_lo
	s_branch .LBB22_1304
.LBB22_1303:
	s_mov_b32 s9, -1
                                        ; implicit-def: $vgpr7
.LBB22_1304:
	s_mov_b32 s15, 0
.LBB22_1305:
	s_delay_alu instid0(SALU_CYCLE_1)
	s_and_b32 vcc_lo, exec_lo, s15
	s_cbranch_vccz .LBB22_1309
; %bb.1306:
	s_cmp_eq_u32 s0, 29
	s_cbranch_scc0 .LBB22_1308
; %bb.1307:
	global_load_b64 v[8:9], v[2:3], off
	s_mov_b32 s9, 0
	s_mov_b32 s14, -1
	s_mov_b32 s15, 0
	s_wait_loadcnt 0x0
	v_clz_i32_u32_e32 v1, v9
	s_delay_alu instid0(VALU_DEP_1) | instskip(NEXT) | instid1(VALU_DEP_1)
	v_min_u32_e32 v1, 32, v1
	v_lshlrev_b64_e32 v[8:9], v1, v[8:9]
	v_sub_nc_u32_e32 v1, 32, v1
	s_delay_alu instid0(VALU_DEP_2) | instskip(NEXT) | instid1(VALU_DEP_1)
	v_min_u32_e32 v7, 1, v8
	v_or_b32_e32 v7, v9, v7
	s_delay_alu instid0(VALU_DEP_1) | instskip(NEXT) | instid1(VALU_DEP_1)
	v_cvt_f32_u32_e32 v7, v7
	v_ldexp_f32 v1, v7, v1
	s_delay_alu instid0(VALU_DEP_1)
	v_cvt_f16_f32_e32 v7, v1
	s_branch .LBB22_1310
.LBB22_1308:
	s_mov_b32 s9, -1
                                        ; implicit-def: $vgpr7
.LBB22_1309:
	s_mov_b32 s15, 0
.LBB22_1310:
	s_delay_alu instid0(SALU_CYCLE_1)
	s_and_b32 vcc_lo, exec_lo, s15
	s_cbranch_vccz .LBB22_1328
; %bb.1311:
	s_cmp_lt_i32 s0, 27
	s_cbranch_scc1 .LBB22_1314
; %bb.1312:
	s_cmp_gt_i32 s0, 27
	s_cbranch_scc0 .LBB22_1315
; %bb.1313:
	global_load_b32 v1, v[2:3], off
	s_mov_b32 s14, 0
	s_wait_loadcnt 0x0
	v_cvt_f32_u32_e32 v1, v1
	s_delay_alu instid0(VALU_DEP_1)
	v_cvt_f16_f32_e32 v7, v1
	s_branch .LBB22_1316
.LBB22_1314:
	s_mov_b32 s14, -1
                                        ; implicit-def: $vgpr7
	s_branch .LBB22_1319
.LBB22_1315:
	s_mov_b32 s14, -1
                                        ; implicit-def: $vgpr7
.LBB22_1316:
	s_delay_alu instid0(SALU_CYCLE_1)
	s_and_not1_b32 vcc_lo, exec_lo, s14
	s_cbranch_vccnz .LBB22_1318
; %bb.1317:
	global_load_u16 v1, v[2:3], off
	s_wait_loadcnt 0x0
	v_cvt_f16_u16_e32 v7, v1
.LBB22_1318:
	s_mov_b32 s14, 0
.LBB22_1319:
	s_delay_alu instid0(SALU_CYCLE_1)
	s_and_not1_b32 vcc_lo, exec_lo, s14
	s_cbranch_vccnz .LBB22_1327
; %bb.1320:
	global_load_u8 v1, v[2:3], off
	s_mov_b32 s14, 0
	s_mov_b32 s15, exec_lo
	s_wait_loadcnt 0x0
	v_cmpx_lt_i16_e32 0x7f, v1
	s_xor_b32 s15, exec_lo, s15
	s_cbranch_execz .LBB22_1341
; %bb.1321:
	s_mov_b32 s14, -1
	s_mov_b32 s16, exec_lo
	v_cmpx_eq_u16_e32 0x80, v1
; %bb.1322:
	s_xor_b32 s14, exec_lo, -1
; %bb.1323:
	s_or_b32 exec_lo, exec_lo, s16
	s_delay_alu instid0(SALU_CYCLE_1)
	s_and_b32 s14, s14, exec_lo
	s_or_saveexec_b32 s15, s15
	v_mov_b32_e32 v7, 0x7e00
	s_xor_b32 exec_lo, exec_lo, s15
	s_cbranch_execnz .LBB22_1342
.LBB22_1324:
	s_or_b32 exec_lo, exec_lo, s15
	s_and_saveexec_b32 s15, s14
	s_cbranch_execz .LBB22_1326
.LBB22_1325:
	v_and_b32_e32 v7, 0xffff, v1
	s_delay_alu instid0(VALU_DEP_1) | instskip(SKIP_1) | instid1(VALU_DEP_2)
	v_and_b32_e32 v8, 7, v7
	v_bfe_u32 v11, v7, 3, 4
	v_clz_i32_u32_e32 v9, v8
	s_delay_alu instid0(VALU_DEP_2) | instskip(NEXT) | instid1(VALU_DEP_2)
	v_cmp_eq_u32_e32 vcc_lo, 0, v11
	v_min_u32_e32 v9, 32, v9
	s_delay_alu instid0(VALU_DEP_1) | instskip(NEXT) | instid1(VALU_DEP_1)
	v_subrev_nc_u32_e32 v10, 28, v9
	v_dual_lshlrev_b32 v7, v10, v7 :: v_dual_sub_nc_u32 v9, 29, v9
	s_delay_alu instid0(VALU_DEP_1) | instskip(NEXT) | instid1(VALU_DEP_1)
	v_dual_lshlrev_b32 v1, 24, v1 :: v_dual_bitop2_b32 v7, 7, v7 bitop3:0x40
	v_dual_cndmask_b32 v7, v8, v7, vcc_lo :: v_dual_cndmask_b32 v9, v11, v9, vcc_lo
	s_delay_alu instid0(VALU_DEP_2) | instskip(NEXT) | instid1(VALU_DEP_2)
	v_and_b32_e32 v1, 0x80000000, v1
	v_lshlrev_b32_e32 v7, 20, v7
	s_delay_alu instid0(VALU_DEP_3) | instskip(NEXT) | instid1(VALU_DEP_1)
	v_lshl_add_u32 v8, v9, 23, 0x3b800000
	v_or3_b32 v1, v1, v8, v7
	s_delay_alu instid0(VALU_DEP_1)
	v_cvt_f16_f32_e32 v7, v1
.LBB22_1326:
	s_or_b32 exec_lo, exec_lo, s15
.LBB22_1327:
	s_mov_b32 s14, -1
.LBB22_1328:
	s_mov_b32 s15, 0
.LBB22_1329:
	s_delay_alu instid0(SALU_CYCLE_1)
	s_and_b32 vcc_lo, exec_lo, s15
	s_cbranch_vccz .LBB22_1362
; %bb.1330:
	s_cmp_gt_i32 s0, 22
	s_cbranch_scc0 .LBB22_1340
; %bb.1331:
	s_cmp_lt_i32 s0, 24
	s_cbranch_scc1 .LBB22_1343
; %bb.1332:
	s_cmp_gt_i32 s0, 24
	s_cbranch_scc0 .LBB22_1344
; %bb.1333:
	global_load_u8 v1, v[2:3], off
	s_mov_b32 s14, exec_lo
	s_wait_loadcnt 0x0
	v_cmpx_lt_i16_e32 0x7f, v1
	s_xor_b32 s14, exec_lo, s14
	s_cbranch_execz .LBB22_1356
; %bb.1334:
	s_mov_b32 s13, -1
	s_mov_b32 s15, exec_lo
	v_cmpx_eq_u16_e32 0x80, v1
; %bb.1335:
	s_xor_b32 s13, exec_lo, -1
; %bb.1336:
	s_or_b32 exec_lo, exec_lo, s15
	s_delay_alu instid0(SALU_CYCLE_1)
	s_and_b32 s13, s13, exec_lo
	s_or_saveexec_b32 s14, s14
	v_mov_b32_e32 v7, 0x7e00
	s_xor_b32 exec_lo, exec_lo, s14
	s_cbranch_execnz .LBB22_1357
.LBB22_1337:
	s_or_b32 exec_lo, exec_lo, s14
	s_and_saveexec_b32 s14, s13
	s_cbranch_execz .LBB22_1339
.LBB22_1338:
	v_and_b32_e32 v7, 0xffff, v1
	s_delay_alu instid0(VALU_DEP_1) | instskip(SKIP_1) | instid1(VALU_DEP_2)
	v_and_b32_e32 v8, 3, v7
	v_bfe_u32 v11, v7, 2, 5
	v_clz_i32_u32_e32 v9, v8
	s_delay_alu instid0(VALU_DEP_2) | instskip(NEXT) | instid1(VALU_DEP_2)
	v_cmp_eq_u32_e32 vcc_lo, 0, v11
	v_min_u32_e32 v9, 32, v9
	s_delay_alu instid0(VALU_DEP_1) | instskip(NEXT) | instid1(VALU_DEP_1)
	v_subrev_nc_u32_e32 v10, 29, v9
	v_dual_lshlrev_b32 v7, v10, v7 :: v_dual_sub_nc_u32 v9, 30, v9
	s_delay_alu instid0(VALU_DEP_1) | instskip(NEXT) | instid1(VALU_DEP_1)
	v_dual_lshlrev_b32 v1, 24, v1 :: v_dual_bitop2_b32 v7, 3, v7 bitop3:0x40
	v_dual_cndmask_b32 v7, v8, v7, vcc_lo :: v_dual_cndmask_b32 v9, v11, v9, vcc_lo
	s_delay_alu instid0(VALU_DEP_2) | instskip(NEXT) | instid1(VALU_DEP_2)
	v_and_b32_e32 v1, 0x80000000, v1
	v_lshlrev_b32_e32 v7, 21, v7
	s_delay_alu instid0(VALU_DEP_3) | instskip(NEXT) | instid1(VALU_DEP_1)
	v_lshl_add_u32 v8, v9, 23, 0x37800000
	v_or3_b32 v1, v1, v8, v7
	s_delay_alu instid0(VALU_DEP_1)
	v_cvt_f16_f32_e32 v7, v1
.LBB22_1339:
	s_or_b32 exec_lo, exec_lo, s14
	s_mov_b32 s13, 0
	s_branch .LBB22_1345
.LBB22_1340:
	s_mov_b32 s13, -1
                                        ; implicit-def: $vgpr7
	s_branch .LBB22_1351
.LBB22_1341:
	s_or_saveexec_b32 s15, s15
	v_mov_b32_e32 v7, 0x7e00
	s_xor_b32 exec_lo, exec_lo, s15
	s_cbranch_execz .LBB22_1324
.LBB22_1342:
	v_cmp_ne_u16_e32 vcc_lo, 0, v1
	v_mov_b32_e32 v7, v1
	s_and_not1_b32 s14, s14, exec_lo
	s_and_b32 s16, vcc_lo, exec_lo
	s_delay_alu instid0(SALU_CYCLE_1)
	s_or_b32 s14, s14, s16
	s_or_b32 exec_lo, exec_lo, s15
	s_and_saveexec_b32 s15, s14
	s_cbranch_execnz .LBB22_1325
	s_branch .LBB22_1326
.LBB22_1343:
	s_mov_b32 s13, -1
                                        ; implicit-def: $vgpr7
	s_branch .LBB22_1348
.LBB22_1344:
	s_mov_b32 s13, -1
                                        ; implicit-def: $vgpr7
.LBB22_1345:
	s_delay_alu instid0(SALU_CYCLE_1)
	s_and_b32 vcc_lo, exec_lo, s13
	s_cbranch_vccz .LBB22_1347
; %bb.1346:
	global_load_u8 v1, v[2:3], off
	s_wait_loadcnt 0x0
	v_lshlrev_b32_e32 v1, 24, v1
	s_delay_alu instid0(VALU_DEP_1) | instskip(NEXT) | instid1(VALU_DEP_1)
	v_and_b32_e32 v7, 0x7f000000, v1
	v_clz_i32_u32_e32 v8, v7
	v_cmp_ne_u32_e32 vcc_lo, 0, v7
	v_add_nc_u32_e32 v10, 0x1000000, v7
	s_delay_alu instid0(VALU_DEP_3) | instskip(NEXT) | instid1(VALU_DEP_1)
	v_min_u32_e32 v8, 32, v8
	v_sub_nc_u32_e64 v8, v8, 4 clamp
	s_delay_alu instid0(VALU_DEP_1) | instskip(NEXT) | instid1(VALU_DEP_1)
	v_dual_lshlrev_b32 v9, v8, v7 :: v_dual_lshlrev_b32 v8, 23, v8
	v_lshrrev_b32_e32 v9, 4, v9
	s_delay_alu instid0(VALU_DEP_1) | instskip(NEXT) | instid1(VALU_DEP_1)
	v_dual_sub_nc_u32 v8, v9, v8 :: v_dual_ashrrev_i32 v9, 8, v10
	v_add_nc_u32_e32 v8, 0x3c000000, v8
	s_delay_alu instid0(VALU_DEP_1) | instskip(NEXT) | instid1(VALU_DEP_1)
	v_and_or_b32 v8, 0x7f800000, v9, v8
	v_cndmask_b32_e32 v7, 0, v8, vcc_lo
	s_delay_alu instid0(VALU_DEP_1) | instskip(NEXT) | instid1(VALU_DEP_1)
	v_and_or_b32 v1, 0x80000000, v1, v7
	v_cvt_f16_f32_e32 v7, v1
.LBB22_1347:
	s_mov_b32 s13, 0
.LBB22_1348:
	s_delay_alu instid0(SALU_CYCLE_1)
	s_and_not1_b32 vcc_lo, exec_lo, s13
	s_cbranch_vccnz .LBB22_1350
; %bb.1349:
	global_load_u8 v1, v[2:3], off
	s_wait_loadcnt 0x0
	v_lshlrev_b32_e32 v7, 25, v1
	v_lshlrev_b16 v1, 8, v1
	s_delay_alu instid0(VALU_DEP_1) | instskip(NEXT) | instid1(VALU_DEP_3)
	v_and_or_b32 v9, 0x7f00, v1, 0.5
	v_lshrrev_b32_e32 v8, 4, v7
	v_bfe_i32 v1, v1, 0, 16
	s_delay_alu instid0(VALU_DEP_3) | instskip(NEXT) | instid1(VALU_DEP_3)
	v_add_f32_e32 v9, -0.5, v9
	v_or_b32_e32 v8, 0x70000000, v8
	s_delay_alu instid0(VALU_DEP_1) | instskip(SKIP_1) | instid1(VALU_DEP_2)
	v_mul_f32_e32 v8, 0x7800000, v8
	v_cmp_gt_u32_e32 vcc_lo, 0x8000000, v7
	v_cndmask_b32_e32 v7, v8, v9, vcc_lo
	s_delay_alu instid0(VALU_DEP_1) | instskip(NEXT) | instid1(VALU_DEP_1)
	v_and_or_b32 v1, 0x80000000, v1, v7
	v_cvt_f16_f32_e32 v7, v1
.LBB22_1350:
	s_mov_b32 s13, 0
	s_mov_b32 s14, -1
.LBB22_1351:
	s_and_not1_b32 vcc_lo, exec_lo, s13
	s_mov_b32 s13, 0
	s_cbranch_vccnz .LBB22_1362
; %bb.1352:
	s_cmp_gt_i32 s0, 14
	s_cbranch_scc0 .LBB22_1355
; %bb.1353:
	s_cmp_eq_u32 s0, 15
	s_cbranch_scc0 .LBB22_1358
; %bb.1354:
	global_load_u16 v1, v[2:3], off
	s_mov_b32 s9, 0
	s_mov_b32 s14, -1
	s_wait_loadcnt 0x0
	v_lshlrev_b32_e32 v1, 16, v1
	s_delay_alu instid0(VALU_DEP_1)
	v_cvt_f16_f32_e32 v7, v1
	s_branch .LBB22_1360
.LBB22_1355:
	s_mov_b32 s13, -1
	s_branch .LBB22_1359
.LBB22_1356:
	s_or_saveexec_b32 s14, s14
	v_mov_b32_e32 v7, 0x7e00
	s_xor_b32 exec_lo, exec_lo, s14
	s_cbranch_execz .LBB22_1337
.LBB22_1357:
	v_cmp_ne_u16_e32 vcc_lo, 0, v1
	v_mov_b32_e32 v7, v1
	s_and_not1_b32 s13, s13, exec_lo
	s_and_b32 s15, vcc_lo, exec_lo
	s_delay_alu instid0(SALU_CYCLE_1)
	s_or_b32 s13, s13, s15
	s_or_b32 exec_lo, exec_lo, s14
	s_and_saveexec_b32 s14, s13
	s_cbranch_execnz .LBB22_1338
	s_branch .LBB22_1339
.LBB22_1358:
	s_mov_b32 s9, -1
.LBB22_1359:
                                        ; implicit-def: $vgpr7
.LBB22_1360:
	s_and_b32 vcc_lo, exec_lo, s13
	s_mov_b32 s13, 0
	s_cbranch_vccz .LBB22_1362
; %bb.1361:
	s_cmp_lg_u32 s0, 11
	s_mov_b32 s13, -1
	s_cselect_b32 s9, -1, 0
.LBB22_1362:
	s_delay_alu instid0(SALU_CYCLE_1)
	s_and_b32 vcc_lo, exec_lo, s9
	s_cbranch_vccnz .LBB22_1425
; %bb.1363:
	s_and_not1_b32 vcc_lo, exec_lo, s13
	s_cbranch_vccnz .LBB22_1365
.LBB22_1364:
	global_load_u8 v1, v[2:3], off
	s_mov_b32 s14, -1
	s_wait_loadcnt 0x0
	v_cmp_ne_u16_e32 vcc_lo, 0, v1
	v_cndmask_b32_e64 v7, 0, 0x3c00, vcc_lo
.LBB22_1365:
	s_branch .LBB22_1292
.LBB22_1366:
	s_cmp_lt_i32 s0, 5
	s_cbranch_scc1 .LBB22_1371
; %bb.1367:
	s_cmp_lt_i32 s0, 8
	s_cbranch_scc1 .LBB22_1372
; %bb.1368:
	;; [unrolled: 3-line block ×3, first 2 shown]
	s_cmp_gt_i32 s0, 9
	s_cbranch_scc0 .LBB22_1374
; %bb.1370:
	global_load_b64 v[8:9], v[2:3], off
	s_mov_b32 s9, 0
	s_wait_loadcnt 0x0
	v_and_or_b32 v1, 0x1ff, v9, v8
	v_lshrrev_b32_e32 v7, 8, v9
	v_bfe_u32 v8, v9, 20, 11
	s_delay_alu instid0(VALU_DEP_3) | instskip(NEXT) | instid1(VALU_DEP_2)
	v_cmp_ne_u32_e32 vcc_lo, 0, v1
	v_sub_nc_u32_e32 v10, 0x3f1, v8
	v_add_nc_u32_e32 v8, 0xfffffc10, v8
	v_cndmask_b32_e64 v1, 0, 1, vcc_lo
	s_delay_alu instid0(VALU_DEP_1) | instskip(NEXT) | instid1(VALU_DEP_4)
	v_and_or_b32 v1, 0xffe, v7, v1
	v_med3_i32 v7, v10, 0, 13
	s_delay_alu instid0(VALU_DEP_2) | instskip(NEXT) | instid1(VALU_DEP_1)
	v_or_b32_e32 v10, 0x1000, v1
	v_lshrrev_b32_e32 v11, v7, v10
	s_delay_alu instid0(VALU_DEP_1) | instskip(NEXT) | instid1(VALU_DEP_1)
	v_lshlrev_b32_e32 v7, v7, v11
	v_cmp_ne_u32_e32 vcc_lo, v7, v10
	v_lshl_or_b32 v10, v8, 12, v1
	v_cndmask_b32_e64 v7, 0, 1, vcc_lo
	v_cmp_gt_i32_e32 vcc_lo, 1, v8
	s_delay_alu instid0(VALU_DEP_2) | instskip(NEXT) | instid1(VALU_DEP_1)
	v_or_b32_e32 v7, v11, v7
	v_cndmask_b32_e32 v7, v10, v7, vcc_lo
	s_delay_alu instid0(VALU_DEP_1) | instskip(NEXT) | instid1(VALU_DEP_1)
	v_dual_lshrrev_b32 v7, 2, v7 :: v_dual_bitop2_b32 v10, 7, v7 bitop3:0x40
	v_cmp_lt_i32_e32 vcc_lo, 5, v10
	v_cndmask_b32_e64 v11, 0, 1, vcc_lo
	v_cmp_eq_u32_e32 vcc_lo, 3, v10
	v_cndmask_b32_e64 v10, 0, 1, vcc_lo
	v_cmp_ne_u32_e32 vcc_lo, 0, v1
	s_delay_alu instid0(VALU_DEP_2) | instskip(SKIP_1) | instid1(VALU_DEP_2)
	v_or_b32_e32 v10, v10, v11
	v_mov_b32_e32 v11, 0x7e00
	v_add_nc_u32_e32 v7, v7, v10
	s_delay_alu instid0(VALU_DEP_2) | instskip(SKIP_1) | instid1(VALU_DEP_3)
	v_cndmask_b32_e32 v1, 0x7c00, v11, vcc_lo
	v_cmp_gt_i32_e32 vcc_lo, 31, v8
	v_cndmask_b32_e32 v7, 0x7c00, v7, vcc_lo
	v_cmp_eq_u32_e32 vcc_lo, 0x40f, v8
	s_delay_alu instid0(VALU_DEP_2) | instskip(SKIP_1) | instid1(VALU_DEP_1)
	v_cndmask_b32_e32 v1, v7, v1, vcc_lo
	v_lshrrev_b32_e32 v7, 16, v9
	v_and_or_b32 v7, 0x8000, v7, v1
	s_branch .LBB22_1375
.LBB22_1371:
	s_mov_b32 s9, -1
                                        ; implicit-def: $vgpr7
	s_branch .LBB22_1393
.LBB22_1372:
	s_mov_b32 s9, -1
                                        ; implicit-def: $vgpr7
	s_branch .LBB22_1381
.LBB22_1373:
	s_mov_b32 s9, -1
                                        ; implicit-def: $vgpr7
	s_branch .LBB22_1378
.LBB22_1374:
	s_mov_b32 s9, -1
                                        ; implicit-def: $vgpr7
.LBB22_1375:
	s_delay_alu instid0(SALU_CYCLE_1)
	s_and_not1_b32 vcc_lo, exec_lo, s9
	s_cbranch_vccnz .LBB22_1377
; %bb.1376:
	global_load_b32 v1, v[2:3], off
	s_wait_loadcnt 0x0
	v_cvt_f16_f32_e32 v7, v1
.LBB22_1377:
	s_mov_b32 s9, 0
.LBB22_1378:
	s_delay_alu instid0(SALU_CYCLE_1)
	s_and_not1_b32 vcc_lo, exec_lo, s9
	s_cbranch_vccnz .LBB22_1380
; %bb.1379:
	global_load_b32 v7, v[2:3], off
.LBB22_1380:
	s_mov_b32 s9, 0
.LBB22_1381:
	s_delay_alu instid0(SALU_CYCLE_1)
	s_and_not1_b32 vcc_lo, exec_lo, s9
	s_cbranch_vccnz .LBB22_1392
; %bb.1382:
	s_cmp_lt_i32 s0, 6
	s_cbranch_scc1 .LBB22_1385
; %bb.1383:
	s_cmp_gt_i32 s0, 6
	s_cbranch_scc0 .LBB22_1386
; %bb.1384:
	global_load_b64 v[8:9], v[2:3], off
	s_mov_b32 s9, 0
	s_wait_loadcnt 0x0
	v_and_or_b32 v1, 0x1ff, v9, v8
	v_lshrrev_b32_e32 v7, 8, v9
	v_bfe_u32 v8, v9, 20, 11
	s_delay_alu instid0(VALU_DEP_3) | instskip(NEXT) | instid1(VALU_DEP_2)
	v_cmp_ne_u32_e32 vcc_lo, 0, v1
	v_sub_nc_u32_e32 v10, 0x3f1, v8
	v_add_nc_u32_e32 v8, 0xfffffc10, v8
	v_cndmask_b32_e64 v1, 0, 1, vcc_lo
	s_delay_alu instid0(VALU_DEP_1) | instskip(NEXT) | instid1(VALU_DEP_4)
	v_and_or_b32 v1, 0xffe, v7, v1
	v_med3_i32 v7, v10, 0, 13
	s_delay_alu instid0(VALU_DEP_2) | instskip(NEXT) | instid1(VALU_DEP_1)
	v_or_b32_e32 v10, 0x1000, v1
	v_lshrrev_b32_e32 v11, v7, v10
	s_delay_alu instid0(VALU_DEP_1) | instskip(NEXT) | instid1(VALU_DEP_1)
	v_lshlrev_b32_e32 v7, v7, v11
	v_cmp_ne_u32_e32 vcc_lo, v7, v10
	v_lshl_or_b32 v10, v8, 12, v1
	v_cndmask_b32_e64 v7, 0, 1, vcc_lo
	v_cmp_gt_i32_e32 vcc_lo, 1, v8
	s_delay_alu instid0(VALU_DEP_2) | instskip(NEXT) | instid1(VALU_DEP_1)
	v_or_b32_e32 v7, v11, v7
	v_cndmask_b32_e32 v7, v10, v7, vcc_lo
	s_delay_alu instid0(VALU_DEP_1) | instskip(NEXT) | instid1(VALU_DEP_1)
	v_dual_lshrrev_b32 v7, 2, v7 :: v_dual_bitop2_b32 v10, 7, v7 bitop3:0x40
	v_cmp_lt_i32_e32 vcc_lo, 5, v10
	v_cndmask_b32_e64 v11, 0, 1, vcc_lo
	v_cmp_eq_u32_e32 vcc_lo, 3, v10
	v_cndmask_b32_e64 v10, 0, 1, vcc_lo
	v_cmp_ne_u32_e32 vcc_lo, 0, v1
	s_delay_alu instid0(VALU_DEP_2) | instskip(SKIP_1) | instid1(VALU_DEP_2)
	v_or_b32_e32 v10, v10, v11
	v_mov_b32_e32 v11, 0x7e00
	v_add_nc_u32_e32 v7, v7, v10
	s_delay_alu instid0(VALU_DEP_2) | instskip(SKIP_1) | instid1(VALU_DEP_3)
	v_cndmask_b32_e32 v1, 0x7c00, v11, vcc_lo
	v_cmp_gt_i32_e32 vcc_lo, 31, v8
	v_cndmask_b32_e32 v7, 0x7c00, v7, vcc_lo
	v_cmp_eq_u32_e32 vcc_lo, 0x40f, v8
	s_delay_alu instid0(VALU_DEP_2) | instskip(SKIP_1) | instid1(VALU_DEP_1)
	v_cndmask_b32_e32 v1, v7, v1, vcc_lo
	v_lshrrev_b32_e32 v7, 16, v9
	v_and_or_b32 v7, 0x8000, v7, v1
	s_branch .LBB22_1387
.LBB22_1385:
	s_mov_b32 s9, -1
                                        ; implicit-def: $vgpr7
	s_branch .LBB22_1390
.LBB22_1386:
	s_mov_b32 s9, -1
                                        ; implicit-def: $vgpr7
.LBB22_1387:
	s_delay_alu instid0(SALU_CYCLE_1)
	s_and_not1_b32 vcc_lo, exec_lo, s9
	s_cbranch_vccnz .LBB22_1389
; %bb.1388:
	global_load_b32 v1, v[2:3], off
	s_wait_loadcnt 0x0
	v_cvt_f16_f32_e32 v7, v1
.LBB22_1389:
	s_mov_b32 s9, 0
.LBB22_1390:
	s_delay_alu instid0(SALU_CYCLE_1)
	s_and_not1_b32 vcc_lo, exec_lo, s9
	s_cbranch_vccnz .LBB22_1392
; %bb.1391:
	s_wait_loadcnt 0x0
	global_load_u16 v7, v[2:3], off
.LBB22_1392:
	s_mov_b32 s9, 0
.LBB22_1393:
	s_delay_alu instid0(SALU_CYCLE_1)
	s_and_not1_b32 vcc_lo, exec_lo, s9
	s_cbranch_vccnz .LBB22_1413
; %bb.1394:
	s_cmp_lt_i32 s0, 2
	s_cbranch_scc1 .LBB22_1398
; %bb.1395:
	s_cmp_lt_i32 s0, 3
	s_cbranch_scc1 .LBB22_1399
; %bb.1396:
	s_cmp_gt_i32 s0, 3
	s_cbranch_scc0 .LBB22_1400
; %bb.1397:
	global_load_b64 v[8:9], v[2:3], off
	s_mov_b32 s9, 0
	s_wait_loadcnt 0x0
	v_xor_b32_e32 v1, v8, v9
	v_cls_i32_e32 v7, v9
	s_delay_alu instid0(VALU_DEP_2) | instskip(NEXT) | instid1(VALU_DEP_1)
	v_ashrrev_i32_e32 v1, 31, v1
	v_add_nc_u32_e32 v1, 32, v1
	s_delay_alu instid0(VALU_DEP_1) | instskip(NEXT) | instid1(VALU_DEP_1)
	v_add_min_u32_e64 v1, v7, -1, v1
	v_lshlrev_b64_e32 v[8:9], v1, v[8:9]
	v_sub_nc_u32_e32 v1, 32, v1
	s_delay_alu instid0(VALU_DEP_2) | instskip(NEXT) | instid1(VALU_DEP_1)
	v_min_u32_e32 v7, 1, v8
	v_or_b32_e32 v7, v9, v7
	s_delay_alu instid0(VALU_DEP_1) | instskip(NEXT) | instid1(VALU_DEP_1)
	v_cvt_f32_i32_e32 v7, v7
	v_ldexp_f32 v1, v7, v1
	s_delay_alu instid0(VALU_DEP_1)
	v_cvt_f16_f32_e32 v7, v1
	s_branch .LBB22_1401
.LBB22_1398:
	s_mov_b32 s9, -1
                                        ; implicit-def: $vgpr7
	s_branch .LBB22_1407
.LBB22_1399:
	s_mov_b32 s9, -1
                                        ; implicit-def: $vgpr7
	s_branch .LBB22_1404
.LBB22_1400:
	s_mov_b32 s9, -1
                                        ; implicit-def: $vgpr7
.LBB22_1401:
	s_delay_alu instid0(SALU_CYCLE_1)
	s_and_not1_b32 vcc_lo, exec_lo, s9
	s_cbranch_vccnz .LBB22_1403
; %bb.1402:
	global_load_b32 v1, v[2:3], off
	s_wait_loadcnt 0x0
	v_cvt_f32_i32_e32 v1, v1
	s_delay_alu instid0(VALU_DEP_1)
	v_cvt_f16_f32_e32 v7, v1
.LBB22_1403:
	s_mov_b32 s9, 0
.LBB22_1404:
	s_delay_alu instid0(SALU_CYCLE_1)
	s_and_not1_b32 vcc_lo, exec_lo, s9
	s_cbranch_vccnz .LBB22_1406
; %bb.1405:
	global_load_u16 v1, v[2:3], off
	s_wait_loadcnt 0x0
	v_cvt_f16_i16_e32 v7, v1
.LBB22_1406:
	s_mov_b32 s9, 0
.LBB22_1407:
	s_delay_alu instid0(SALU_CYCLE_1)
	s_and_not1_b32 vcc_lo, exec_lo, s9
	s_cbranch_vccnz .LBB22_1413
; %bb.1408:
	s_cmp_gt_i32 s0, 0
	s_mov_b32 s9, 0
	s_cbranch_scc0 .LBB22_1410
; %bb.1409:
	global_load_i8 v1, v[2:3], off
	s_wait_loadcnt 0x0
	v_cvt_f16_i16_e32 v7, v1
	s_branch .LBB22_1411
.LBB22_1410:
	s_mov_b32 s9, -1
                                        ; implicit-def: $vgpr7
.LBB22_1411:
	s_delay_alu instid0(SALU_CYCLE_1)
	s_and_not1_b32 vcc_lo, exec_lo, s9
	s_cbranch_vccnz .LBB22_1413
; %bb.1412:
	global_load_u8 v1, v[2:3], off
	s_wait_loadcnt 0x0
	v_cvt_f16_u16_e32 v7, v1
.LBB22_1413:
.LBB22_1414:
	v_add_nc_u32_e32 v0, s3, v0
	s_cmp_lt_i32 s0, 11
	s_delay_alu instid0(VALU_DEP_1) | instskip(NEXT) | instid1(VALU_DEP_1)
	v_ashrrev_i32_e32 v1, 31, v0
	v_add_nc_u64_e32 v[0:1], s[6:7], v[0:1]
	s_cbranch_scc1 .LBB22_1421
; %bb.1415:
	s_cmp_gt_i32 s0, 25
	s_mov_b32 s6, 0
	s_cbranch_scc0 .LBB22_1422
; %bb.1416:
	s_cmp_gt_i32 s0, 28
	s_cbranch_scc0 .LBB22_1423
; %bb.1417:
	s_cmp_gt_i32 s0, 43
	;; [unrolled: 3-line block ×3, first 2 shown]
	s_cbranch_scc0 .LBB22_1426
; %bb.1419:
	s_cmp_eq_u32 s0, 46
	s_mov_b32 s9, 0
	s_cbranch_scc0 .LBB22_1427
; %bb.1420:
	global_load_b32 v2, v[0:1], off
	s_mov_b32 s3, 0
	s_mov_b32 s7, -1
	s_wait_loadcnt 0x0
	v_lshlrev_b32_e32 v2, 16, v2
	s_delay_alu instid0(VALU_DEP_1)
	v_cvt_f16_f32_e32 v8, v2
	s_branch .LBB22_1429
.LBB22_1421:
	s_mov_b32 s3, -1
	s_mov_b32 s7, 0
                                        ; implicit-def: $vgpr8
	s_branch .LBB22_1495
.LBB22_1422:
	s_mov_b32 s9, -1
	s_mov_b32 s7, 0
	s_mov_b32 s3, 0
                                        ; implicit-def: $vgpr8
	s_branch .LBB22_1458
.LBB22_1423:
	s_mov_b32 s9, -1
	s_mov_b32 s7, 0
	s_mov_b32 s3, 0
                                        ; implicit-def: $vgpr8
	s_branch .LBB22_1439
.LBB22_1424:
	s_mov_b32 s9, -1
	s_mov_b32 s7, 0
	s_mov_b32 s3, 0
                                        ; implicit-def: $vgpr8
	s_branch .LBB22_1434
.LBB22_1425:
	s_or_b32 s1, s1, exec_lo
	s_trap 2
	s_cbranch_execz .LBB22_1364
	s_branch .LBB22_1365
.LBB22_1426:
	s_mov_b32 s9, -1
	s_mov_b32 s7, 0
	s_mov_b32 s3, 0
	s_branch .LBB22_1428
.LBB22_1427:
	s_mov_b32 s3, -1
	s_mov_b32 s7, 0
.LBB22_1428:
                                        ; implicit-def: $vgpr8
.LBB22_1429:
	s_and_b32 vcc_lo, exec_lo, s9
	s_cbranch_vccz .LBB22_1433
; %bb.1430:
	s_cmp_eq_u32 s0, 44
	s_cbranch_scc0 .LBB22_1432
; %bb.1431:
	global_load_u8 v2, v[0:1], off
	s_mov_b32 s3, 0
	s_mov_b32 s7, -1
	s_wait_loadcnt 0x0
	v_lshlrev_b32_e32 v3, 23, v2
	v_cmp_ne_u32_e32 vcc_lo, 0xff, v2
	s_delay_alu instid0(VALU_DEP_2) | instskip(NEXT) | instid1(VALU_DEP_1)
	v_cvt_f16_f32_e32 v3, v3
	v_cndmask_b32_e32 v3, 0x7e00, v3, vcc_lo
	v_cmp_ne_u32_e32 vcc_lo, 0, v2
	s_delay_alu instid0(VALU_DEP_2)
	v_cndmask_b32_e32 v8, 0, v3, vcc_lo
	s_branch .LBB22_1433
.LBB22_1432:
	s_mov_b32 s3, -1
                                        ; implicit-def: $vgpr8
.LBB22_1433:
	s_mov_b32 s9, 0
.LBB22_1434:
	s_delay_alu instid0(SALU_CYCLE_1)
	s_and_b32 vcc_lo, exec_lo, s9
	s_cbranch_vccz .LBB22_1438
; %bb.1435:
	s_cmp_eq_u32 s0, 29
	s_cbranch_scc0 .LBB22_1437
; %bb.1436:
	global_load_b64 v[2:3], v[0:1], off
	s_mov_b32 s3, 0
	s_mov_b32 s7, -1
	s_mov_b32 s9, 0
	s_wait_loadcnt 0x0
	v_clz_i32_u32_e32 v8, v3
	s_delay_alu instid0(VALU_DEP_1) | instskip(NEXT) | instid1(VALU_DEP_1)
	v_min_u32_e32 v8, 32, v8
	v_lshlrev_b64_e32 v[2:3], v8, v[2:3]
	s_delay_alu instid0(VALU_DEP_1) | instskip(NEXT) | instid1(VALU_DEP_1)
	v_min_u32_e32 v2, 1, v2
	v_dual_sub_nc_u32 v3, 32, v8 :: v_dual_bitop2_b32 v2, v3, v2 bitop3:0x54
	s_delay_alu instid0(VALU_DEP_1) | instskip(NEXT) | instid1(VALU_DEP_1)
	v_cvt_f32_u32_e32 v2, v2
	v_ldexp_f32 v2, v2, v3
	s_delay_alu instid0(VALU_DEP_1)
	v_cvt_f16_f32_e32 v8, v2
	s_branch .LBB22_1439
.LBB22_1437:
	s_mov_b32 s3, -1
                                        ; implicit-def: $vgpr8
.LBB22_1438:
	s_mov_b32 s9, 0
.LBB22_1439:
	s_delay_alu instid0(SALU_CYCLE_1)
	s_and_b32 vcc_lo, exec_lo, s9
	s_cbranch_vccz .LBB22_1457
; %bb.1440:
	s_cmp_lt_i32 s0, 27
	s_cbranch_scc1 .LBB22_1443
; %bb.1441:
	s_cmp_gt_i32 s0, 27
	s_cbranch_scc0 .LBB22_1444
; %bb.1442:
	global_load_b32 v2, v[0:1], off
	s_mov_b32 s7, 0
	s_wait_loadcnt 0x0
	v_cvt_f32_u32_e32 v2, v2
	s_delay_alu instid0(VALU_DEP_1)
	v_cvt_f16_f32_e32 v8, v2
	s_branch .LBB22_1445
.LBB22_1443:
	s_mov_b32 s7, -1
                                        ; implicit-def: $vgpr8
	s_branch .LBB22_1448
.LBB22_1444:
	s_mov_b32 s7, -1
                                        ; implicit-def: $vgpr8
.LBB22_1445:
	s_delay_alu instid0(SALU_CYCLE_1)
	s_and_not1_b32 vcc_lo, exec_lo, s7
	s_cbranch_vccnz .LBB22_1447
; %bb.1446:
	global_load_u16 v2, v[0:1], off
	s_wait_loadcnt 0x0
	v_cvt_f16_u16_e32 v8, v2
.LBB22_1447:
	s_mov_b32 s7, 0
.LBB22_1448:
	s_delay_alu instid0(SALU_CYCLE_1)
	s_and_not1_b32 vcc_lo, exec_lo, s7
	s_cbranch_vccnz .LBB22_1456
; %bb.1449:
	global_load_u8 v2, v[0:1], off
	s_mov_b32 s7, 0
	s_mov_b32 s9, exec_lo
	s_wait_loadcnt 0x0
	v_cmpx_lt_i16_e32 0x7f, v2
	s_xor_b32 s9, exec_lo, s9
	s_cbranch_execz .LBB22_1470
; %bb.1450:
	s_mov_b32 s7, -1
	s_mov_b32 s13, exec_lo
	v_cmpx_eq_u16_e32 0x80, v2
; %bb.1451:
	s_xor_b32 s7, exec_lo, -1
; %bb.1452:
	s_or_b32 exec_lo, exec_lo, s13
	s_delay_alu instid0(SALU_CYCLE_1)
	s_and_b32 s7, s7, exec_lo
	s_or_saveexec_b32 s9, s9
	v_mov_b32_e32 v8, 0x7e00
	s_xor_b32 exec_lo, exec_lo, s9
	s_cbranch_execnz .LBB22_1471
.LBB22_1453:
	s_or_b32 exec_lo, exec_lo, s9
	s_and_saveexec_b32 s9, s7
	s_cbranch_execz .LBB22_1455
.LBB22_1454:
	v_and_b32_e32 v3, 0xffff, v2
	s_delay_alu instid0(VALU_DEP_1) | instskip(SKIP_1) | instid1(VALU_DEP_2)
	v_and_b32_e32 v8, 7, v3
	v_bfe_u32 v11, v3, 3, 4
	v_clz_i32_u32_e32 v9, v8
	s_delay_alu instid0(VALU_DEP_2) | instskip(NEXT) | instid1(VALU_DEP_2)
	v_cmp_eq_u32_e32 vcc_lo, 0, v11
	v_min_u32_e32 v9, 32, v9
	s_delay_alu instid0(VALU_DEP_1) | instskip(NEXT) | instid1(VALU_DEP_1)
	v_subrev_nc_u32_e32 v10, 28, v9
	v_dual_lshlrev_b32 v3, v10, v3 :: v_dual_sub_nc_u32 v9, 29, v9
	s_delay_alu instid0(VALU_DEP_1) | instskip(NEXT) | instid1(VALU_DEP_1)
	v_dual_lshlrev_b32 v2, 24, v2 :: v_dual_bitop2_b32 v3, 7, v3 bitop3:0x40
	v_dual_cndmask_b32 v9, v11, v9, vcc_lo :: v_dual_cndmask_b32 v3, v8, v3, vcc_lo
	s_delay_alu instid0(VALU_DEP_2) | instskip(NEXT) | instid1(VALU_DEP_2)
	v_and_b32_e32 v2, 0x80000000, v2
	v_lshl_add_u32 v8, v9, 23, 0x3b800000
	s_delay_alu instid0(VALU_DEP_3) | instskip(NEXT) | instid1(VALU_DEP_1)
	v_lshlrev_b32_e32 v3, 20, v3
	v_or3_b32 v2, v2, v8, v3
	s_delay_alu instid0(VALU_DEP_1)
	v_cvt_f16_f32_e32 v8, v2
.LBB22_1455:
	s_or_b32 exec_lo, exec_lo, s9
.LBB22_1456:
	s_mov_b32 s7, -1
.LBB22_1457:
	s_mov_b32 s9, 0
.LBB22_1458:
	s_delay_alu instid0(SALU_CYCLE_1)
	s_and_b32 vcc_lo, exec_lo, s9
	s_cbranch_vccz .LBB22_1491
; %bb.1459:
	s_cmp_gt_i32 s0, 22
	s_cbranch_scc0 .LBB22_1469
; %bb.1460:
	s_cmp_lt_i32 s0, 24
	s_cbranch_scc1 .LBB22_1472
; %bb.1461:
	s_cmp_gt_i32 s0, 24
	s_cbranch_scc0 .LBB22_1473
; %bb.1462:
	global_load_u8 v2, v[0:1], off
	s_mov_b32 s7, exec_lo
	s_wait_loadcnt 0x0
	v_cmpx_lt_i16_e32 0x7f, v2
	s_xor_b32 s7, exec_lo, s7
	s_cbranch_execz .LBB22_1485
; %bb.1463:
	s_mov_b32 s6, -1
	s_mov_b32 s9, exec_lo
	v_cmpx_eq_u16_e32 0x80, v2
; %bb.1464:
	s_xor_b32 s6, exec_lo, -1
; %bb.1465:
	s_or_b32 exec_lo, exec_lo, s9
	s_delay_alu instid0(SALU_CYCLE_1)
	s_and_b32 s6, s6, exec_lo
	s_or_saveexec_b32 s7, s7
	v_mov_b32_e32 v8, 0x7e00
	s_xor_b32 exec_lo, exec_lo, s7
	s_cbranch_execnz .LBB22_1486
.LBB22_1466:
	s_or_b32 exec_lo, exec_lo, s7
	s_and_saveexec_b32 s7, s6
	s_cbranch_execz .LBB22_1468
.LBB22_1467:
	v_and_b32_e32 v3, 0xffff, v2
	s_delay_alu instid0(VALU_DEP_1) | instskip(SKIP_1) | instid1(VALU_DEP_2)
	v_and_b32_e32 v8, 3, v3
	v_bfe_u32 v11, v3, 2, 5
	v_clz_i32_u32_e32 v9, v8
	s_delay_alu instid0(VALU_DEP_2) | instskip(NEXT) | instid1(VALU_DEP_2)
	v_cmp_eq_u32_e32 vcc_lo, 0, v11
	v_min_u32_e32 v9, 32, v9
	s_delay_alu instid0(VALU_DEP_1) | instskip(NEXT) | instid1(VALU_DEP_1)
	v_subrev_nc_u32_e32 v10, 29, v9
	v_dual_lshlrev_b32 v3, v10, v3 :: v_dual_sub_nc_u32 v9, 30, v9
	s_delay_alu instid0(VALU_DEP_1) | instskip(NEXT) | instid1(VALU_DEP_1)
	v_dual_lshlrev_b32 v2, 24, v2 :: v_dual_bitop2_b32 v3, 3, v3 bitop3:0x40
	v_dual_cndmask_b32 v9, v11, v9, vcc_lo :: v_dual_cndmask_b32 v3, v8, v3, vcc_lo
	s_delay_alu instid0(VALU_DEP_2) | instskip(NEXT) | instid1(VALU_DEP_2)
	v_and_b32_e32 v2, 0x80000000, v2
	v_lshl_add_u32 v8, v9, 23, 0x37800000
	s_delay_alu instid0(VALU_DEP_3) | instskip(NEXT) | instid1(VALU_DEP_1)
	v_lshlrev_b32_e32 v3, 21, v3
	v_or3_b32 v2, v2, v8, v3
	s_delay_alu instid0(VALU_DEP_1)
	v_cvt_f16_f32_e32 v8, v2
.LBB22_1468:
	s_or_b32 exec_lo, exec_lo, s7
	s_mov_b32 s6, 0
	s_branch .LBB22_1474
.LBB22_1469:
	s_mov_b32 s6, -1
                                        ; implicit-def: $vgpr8
	s_branch .LBB22_1480
.LBB22_1470:
	s_or_saveexec_b32 s9, s9
	v_mov_b32_e32 v8, 0x7e00
	s_xor_b32 exec_lo, exec_lo, s9
	s_cbranch_execz .LBB22_1453
.LBB22_1471:
	v_cmp_ne_u16_e32 vcc_lo, 0, v2
	v_mov_b32_e32 v8, v2
	s_and_not1_b32 s7, s7, exec_lo
	s_and_b32 s13, vcc_lo, exec_lo
	s_delay_alu instid0(SALU_CYCLE_1)
	s_or_b32 s7, s7, s13
	s_or_b32 exec_lo, exec_lo, s9
	s_and_saveexec_b32 s9, s7
	s_cbranch_execnz .LBB22_1454
	s_branch .LBB22_1455
.LBB22_1472:
	s_mov_b32 s6, -1
                                        ; implicit-def: $vgpr8
	s_branch .LBB22_1477
.LBB22_1473:
	s_mov_b32 s6, -1
                                        ; implicit-def: $vgpr8
.LBB22_1474:
	s_delay_alu instid0(SALU_CYCLE_1)
	s_and_b32 vcc_lo, exec_lo, s6
	s_cbranch_vccz .LBB22_1476
; %bb.1475:
	global_load_u8 v2, v[0:1], off
	s_wait_loadcnt 0x0
	v_lshlrev_b32_e32 v2, 24, v2
	s_delay_alu instid0(VALU_DEP_1) | instskip(NEXT) | instid1(VALU_DEP_1)
	v_and_b32_e32 v3, 0x7f000000, v2
	v_clz_i32_u32_e32 v8, v3
	v_cmp_ne_u32_e32 vcc_lo, 0, v3
	v_add_nc_u32_e32 v10, 0x1000000, v3
	s_delay_alu instid0(VALU_DEP_3) | instskip(NEXT) | instid1(VALU_DEP_1)
	v_min_u32_e32 v8, 32, v8
	v_sub_nc_u32_e64 v8, v8, 4 clamp
	s_delay_alu instid0(VALU_DEP_1) | instskip(NEXT) | instid1(VALU_DEP_1)
	v_dual_lshlrev_b32 v9, v8, v3 :: v_dual_lshlrev_b32 v8, 23, v8
	v_lshrrev_b32_e32 v9, 4, v9
	s_delay_alu instid0(VALU_DEP_1) | instskip(NEXT) | instid1(VALU_DEP_1)
	v_dual_sub_nc_u32 v8, v9, v8 :: v_dual_ashrrev_i32 v9, 8, v10
	v_add_nc_u32_e32 v8, 0x3c000000, v8
	s_delay_alu instid0(VALU_DEP_1) | instskip(NEXT) | instid1(VALU_DEP_1)
	v_and_or_b32 v8, 0x7f800000, v9, v8
	v_cndmask_b32_e32 v3, 0, v8, vcc_lo
	s_delay_alu instid0(VALU_DEP_1) | instskip(NEXT) | instid1(VALU_DEP_1)
	v_and_or_b32 v2, 0x80000000, v2, v3
	v_cvt_f16_f32_e32 v8, v2
.LBB22_1476:
	s_mov_b32 s6, 0
.LBB22_1477:
	s_delay_alu instid0(SALU_CYCLE_1)
	s_and_not1_b32 vcc_lo, exec_lo, s6
	s_cbranch_vccnz .LBB22_1479
; %bb.1478:
	global_load_u8 v2, v[0:1], off
	s_wait_loadcnt 0x0
	v_lshlrev_b32_e32 v3, 25, v2
	v_lshlrev_b16 v2, 8, v2
	s_delay_alu instid0(VALU_DEP_1) | instskip(SKIP_1) | instid1(VALU_DEP_2)
	v_and_or_b32 v9, 0x7f00, v2, 0.5
	v_bfe_i32 v2, v2, 0, 16
	v_dual_add_f32 v9, -0.5, v9 :: v_dual_lshrrev_b32 v8, 4, v3
	v_cmp_gt_u32_e32 vcc_lo, 0x8000000, v3
	s_delay_alu instid0(VALU_DEP_2) | instskip(NEXT) | instid1(VALU_DEP_1)
	v_or_b32_e32 v8, 0x70000000, v8
	v_mul_f32_e32 v8, 0x7800000, v8
	s_delay_alu instid0(VALU_DEP_1) | instskip(NEXT) | instid1(VALU_DEP_1)
	v_cndmask_b32_e32 v3, v8, v9, vcc_lo
	v_and_or_b32 v2, 0x80000000, v2, v3
	s_delay_alu instid0(VALU_DEP_1)
	v_cvt_f16_f32_e32 v8, v2
.LBB22_1479:
	s_mov_b32 s6, 0
	s_mov_b32 s7, -1
.LBB22_1480:
	s_and_not1_b32 vcc_lo, exec_lo, s6
	s_mov_b32 s6, 0
	s_cbranch_vccnz .LBB22_1491
; %bb.1481:
	s_cmp_gt_i32 s0, 14
	s_cbranch_scc0 .LBB22_1484
; %bb.1482:
	s_cmp_eq_u32 s0, 15
	s_cbranch_scc0 .LBB22_1487
; %bb.1483:
	global_load_u16 v2, v[0:1], off
	s_mov_b32 s3, 0
	s_mov_b32 s7, -1
	s_wait_loadcnt 0x0
	v_lshlrev_b32_e32 v2, 16, v2
	s_delay_alu instid0(VALU_DEP_1)
	v_cvt_f16_f32_e32 v8, v2
	s_branch .LBB22_1489
.LBB22_1484:
	s_mov_b32 s6, -1
	s_branch .LBB22_1488
.LBB22_1485:
	s_or_saveexec_b32 s7, s7
	v_mov_b32_e32 v8, 0x7e00
	s_xor_b32 exec_lo, exec_lo, s7
	s_cbranch_execz .LBB22_1466
.LBB22_1486:
	v_cmp_ne_u16_e32 vcc_lo, 0, v2
	v_mov_b32_e32 v8, v2
	s_and_not1_b32 s6, s6, exec_lo
	s_and_b32 s9, vcc_lo, exec_lo
	s_delay_alu instid0(SALU_CYCLE_1)
	s_or_b32 s6, s6, s9
	s_or_b32 exec_lo, exec_lo, s7
	s_and_saveexec_b32 s7, s6
	s_cbranch_execnz .LBB22_1467
	s_branch .LBB22_1468
.LBB22_1487:
	s_mov_b32 s3, -1
.LBB22_1488:
                                        ; implicit-def: $vgpr8
.LBB22_1489:
	s_and_b32 vcc_lo, exec_lo, s6
	s_mov_b32 s6, 0
	s_cbranch_vccz .LBB22_1491
; %bb.1490:
	s_cmp_lg_u32 s0, 11
	s_mov_b32 s6, -1
	s_cselect_b32 s3, -1, 0
.LBB22_1491:
	s_delay_alu instid0(SALU_CYCLE_1)
	s_and_b32 vcc_lo, exec_lo, s3
	s_cbranch_vccnz .LBB22_2020
; %bb.1492:
	s_and_not1_b32 vcc_lo, exec_lo, s6
	s_cbranch_vccnz .LBB22_1494
.LBB22_1493:
	global_load_u8 v2, v[0:1], off
	s_mov_b32 s7, -1
	s_wait_loadcnt 0x0
	v_cmp_ne_u16_e32 vcc_lo, 0, v2
	v_cndmask_b32_e64 v8, 0, 0x3c00, vcc_lo
.LBB22_1494:
	s_mov_b32 s3, 0
.LBB22_1495:
	s_delay_alu instid0(SALU_CYCLE_1)
	s_and_b32 vcc_lo, exec_lo, s3
	s_cbranch_vccz .LBB22_1544
; %bb.1496:
	s_cmp_lt_i32 s0, 5
	s_cbranch_scc1 .LBB22_1501
; %bb.1497:
	s_cmp_lt_i32 s0, 8
	s_cbranch_scc1 .LBB22_1502
	;; [unrolled: 3-line block ×3, first 2 shown]
; %bb.1499:
	s_cmp_gt_i32 s0, 9
	s_cbranch_scc0 .LBB22_1504
; %bb.1500:
	global_load_b64 v[2:3], v[0:1], off
	s_mov_b32 s3, 0
	s_wait_loadcnt 0x0
	v_and_or_b32 v2, 0x1ff, v3, v2
	v_lshrrev_b32_e32 v8, 8, v3
	v_bfe_u32 v9, v3, 20, 11
	v_lshrrev_b32_e32 v3, 16, v3
	s_delay_alu instid0(VALU_DEP_4) | instskip(NEXT) | instid1(VALU_DEP_3)
	v_cmp_ne_u32_e32 vcc_lo, 0, v2
	v_sub_nc_u32_e32 v10, 0x3f1, v9
	v_add_nc_u32_e32 v9, 0xfffffc10, v9
	v_cndmask_b32_e64 v2, 0, 1, vcc_lo
	s_delay_alu instid0(VALU_DEP_1) | instskip(NEXT) | instid1(VALU_DEP_4)
	v_and_or_b32 v2, 0xffe, v8, v2
	v_med3_i32 v8, v10, 0, 13
	s_delay_alu instid0(VALU_DEP_2) | instskip(NEXT) | instid1(VALU_DEP_1)
	v_or_b32_e32 v10, 0x1000, v2
	v_lshrrev_b32_e32 v11, v8, v10
	s_delay_alu instid0(VALU_DEP_1) | instskip(NEXT) | instid1(VALU_DEP_1)
	v_lshlrev_b32_e32 v8, v8, v11
	v_cmp_ne_u32_e32 vcc_lo, v8, v10
	v_lshl_or_b32 v10, v9, 12, v2
	v_cndmask_b32_e64 v8, 0, 1, vcc_lo
	v_cmp_gt_i32_e32 vcc_lo, 1, v9
	s_delay_alu instid0(VALU_DEP_2) | instskip(NEXT) | instid1(VALU_DEP_1)
	v_or_b32_e32 v8, v11, v8
	v_cndmask_b32_e32 v8, v10, v8, vcc_lo
	s_delay_alu instid0(VALU_DEP_1) | instskip(NEXT) | instid1(VALU_DEP_1)
	v_dual_lshrrev_b32 v8, 2, v8 :: v_dual_bitop2_b32 v10, 7, v8 bitop3:0x40
	v_cmp_lt_i32_e32 vcc_lo, 5, v10
	v_cndmask_b32_e64 v11, 0, 1, vcc_lo
	v_cmp_eq_u32_e32 vcc_lo, 3, v10
	v_cndmask_b32_e64 v10, 0, 1, vcc_lo
	v_cmp_ne_u32_e32 vcc_lo, 0, v2
	s_delay_alu instid0(VALU_DEP_2) | instskip(NEXT) | instid1(VALU_DEP_1)
	v_or_b32_e32 v10, v10, v11
	v_dual_mov_b32 v11, 0x7e00 :: v_dual_add_nc_u32 v8, v8, v10
	s_delay_alu instid0(VALU_DEP_1) | instskip(SKIP_1) | instid1(VALU_DEP_3)
	v_cndmask_b32_e32 v2, 0x7c00, v11, vcc_lo
	v_cmp_gt_i32_e32 vcc_lo, 31, v9
	v_cndmask_b32_e32 v8, 0x7c00, v8, vcc_lo
	v_cmp_eq_u32_e32 vcc_lo, 0x40f, v9
	s_delay_alu instid0(VALU_DEP_2) | instskip(NEXT) | instid1(VALU_DEP_1)
	v_cndmask_b32_e32 v2, v8, v2, vcc_lo
	v_and_or_b32 v8, 0x8000, v3, v2
	s_branch .LBB22_1505
.LBB22_1501:
	s_mov_b32 s3, -1
                                        ; implicit-def: $vgpr8
	s_branch .LBB22_1523
.LBB22_1502:
	s_mov_b32 s3, -1
                                        ; implicit-def: $vgpr8
	s_branch .LBB22_1511
.LBB22_1503:
	s_mov_b32 s3, -1
                                        ; implicit-def: $vgpr8
	s_branch .LBB22_1508
.LBB22_1504:
	s_mov_b32 s3, -1
                                        ; implicit-def: $vgpr8
.LBB22_1505:
	s_delay_alu instid0(SALU_CYCLE_1)
	s_and_not1_b32 vcc_lo, exec_lo, s3
	s_cbranch_vccnz .LBB22_1507
; %bb.1506:
	global_load_b32 v2, v[0:1], off
	s_wait_loadcnt 0x0
	v_cvt_f16_f32_e32 v8, v2
.LBB22_1507:
	s_mov_b32 s3, 0
.LBB22_1508:
	s_delay_alu instid0(SALU_CYCLE_1)
	s_and_not1_b32 vcc_lo, exec_lo, s3
	s_cbranch_vccnz .LBB22_1510
; %bb.1509:
	global_load_b32 v8, v[0:1], off
.LBB22_1510:
	s_mov_b32 s3, 0
.LBB22_1511:
	s_delay_alu instid0(SALU_CYCLE_1)
	s_and_not1_b32 vcc_lo, exec_lo, s3
	s_cbranch_vccnz .LBB22_1522
; %bb.1512:
	s_cmp_lt_i32 s0, 6
	s_cbranch_scc1 .LBB22_1515
; %bb.1513:
	s_cmp_gt_i32 s0, 6
	s_cbranch_scc0 .LBB22_1516
; %bb.1514:
	global_load_b64 v[2:3], v[0:1], off
	s_mov_b32 s3, 0
	s_wait_loadcnt 0x0
	v_and_or_b32 v2, 0x1ff, v3, v2
	v_lshrrev_b32_e32 v8, 8, v3
	v_bfe_u32 v9, v3, 20, 11
	v_lshrrev_b32_e32 v3, 16, v3
	s_delay_alu instid0(VALU_DEP_4) | instskip(NEXT) | instid1(VALU_DEP_3)
	v_cmp_ne_u32_e32 vcc_lo, 0, v2
	v_sub_nc_u32_e32 v10, 0x3f1, v9
	v_add_nc_u32_e32 v9, 0xfffffc10, v9
	v_cndmask_b32_e64 v2, 0, 1, vcc_lo
	s_delay_alu instid0(VALU_DEP_1) | instskip(NEXT) | instid1(VALU_DEP_4)
	v_and_or_b32 v2, 0xffe, v8, v2
	v_med3_i32 v8, v10, 0, 13
	s_delay_alu instid0(VALU_DEP_2) | instskip(NEXT) | instid1(VALU_DEP_1)
	v_or_b32_e32 v10, 0x1000, v2
	v_lshrrev_b32_e32 v11, v8, v10
	s_delay_alu instid0(VALU_DEP_1) | instskip(NEXT) | instid1(VALU_DEP_1)
	v_lshlrev_b32_e32 v8, v8, v11
	v_cmp_ne_u32_e32 vcc_lo, v8, v10
	v_lshl_or_b32 v10, v9, 12, v2
	v_cndmask_b32_e64 v8, 0, 1, vcc_lo
	v_cmp_gt_i32_e32 vcc_lo, 1, v9
	s_delay_alu instid0(VALU_DEP_2) | instskip(NEXT) | instid1(VALU_DEP_1)
	v_or_b32_e32 v8, v11, v8
	v_cndmask_b32_e32 v8, v10, v8, vcc_lo
	s_delay_alu instid0(VALU_DEP_1) | instskip(NEXT) | instid1(VALU_DEP_1)
	v_dual_lshrrev_b32 v8, 2, v8 :: v_dual_bitop2_b32 v10, 7, v8 bitop3:0x40
	v_cmp_lt_i32_e32 vcc_lo, 5, v10
	v_cndmask_b32_e64 v11, 0, 1, vcc_lo
	v_cmp_eq_u32_e32 vcc_lo, 3, v10
	v_cndmask_b32_e64 v10, 0, 1, vcc_lo
	v_cmp_ne_u32_e32 vcc_lo, 0, v2
	s_delay_alu instid0(VALU_DEP_2) | instskip(NEXT) | instid1(VALU_DEP_1)
	v_or_b32_e32 v10, v10, v11
	v_dual_mov_b32 v11, 0x7e00 :: v_dual_add_nc_u32 v8, v8, v10
	s_delay_alu instid0(VALU_DEP_1) | instskip(SKIP_1) | instid1(VALU_DEP_3)
	v_cndmask_b32_e32 v2, 0x7c00, v11, vcc_lo
	v_cmp_gt_i32_e32 vcc_lo, 31, v9
	v_cndmask_b32_e32 v8, 0x7c00, v8, vcc_lo
	v_cmp_eq_u32_e32 vcc_lo, 0x40f, v9
	s_delay_alu instid0(VALU_DEP_2) | instskip(NEXT) | instid1(VALU_DEP_1)
	v_cndmask_b32_e32 v2, v8, v2, vcc_lo
	v_and_or_b32 v8, 0x8000, v3, v2
	s_branch .LBB22_1517
.LBB22_1515:
	s_mov_b32 s3, -1
                                        ; implicit-def: $vgpr8
	s_branch .LBB22_1520
.LBB22_1516:
	s_mov_b32 s3, -1
                                        ; implicit-def: $vgpr8
.LBB22_1517:
	s_delay_alu instid0(SALU_CYCLE_1)
	s_and_not1_b32 vcc_lo, exec_lo, s3
	s_cbranch_vccnz .LBB22_1519
; %bb.1518:
	global_load_b32 v2, v[0:1], off
	s_wait_loadcnt 0x0
	v_cvt_f16_f32_e32 v8, v2
.LBB22_1519:
	s_mov_b32 s3, 0
.LBB22_1520:
	s_delay_alu instid0(SALU_CYCLE_1)
	s_and_not1_b32 vcc_lo, exec_lo, s3
	s_cbranch_vccnz .LBB22_1522
; %bb.1521:
	s_wait_loadcnt 0x0
	global_load_u16 v8, v[0:1], off
.LBB22_1522:
	s_mov_b32 s3, 0
.LBB22_1523:
	s_delay_alu instid0(SALU_CYCLE_1)
	s_and_not1_b32 vcc_lo, exec_lo, s3
	s_cbranch_vccnz .LBB22_1543
; %bb.1524:
	s_cmp_lt_i32 s0, 2
	s_cbranch_scc1 .LBB22_1528
; %bb.1525:
	s_cmp_lt_i32 s0, 3
	s_cbranch_scc1 .LBB22_1529
; %bb.1526:
	s_cmp_gt_i32 s0, 3
	s_cbranch_scc0 .LBB22_1530
; %bb.1527:
	global_load_b64 v[2:3], v[0:1], off
	s_mov_b32 s3, 0
	s_wait_loadcnt 0x0
	v_xor_b32_e32 v8, v2, v3
	v_cls_i32_e32 v9, v3
	s_delay_alu instid0(VALU_DEP_2) | instskip(NEXT) | instid1(VALU_DEP_1)
	v_ashrrev_i32_e32 v8, 31, v8
	v_add_nc_u32_e32 v8, 32, v8
	s_delay_alu instid0(VALU_DEP_1) | instskip(NEXT) | instid1(VALU_DEP_1)
	v_add_min_u32_e64 v8, v9, -1, v8
	v_lshlrev_b64_e32 v[2:3], v8, v[2:3]
	s_delay_alu instid0(VALU_DEP_1) | instskip(NEXT) | instid1(VALU_DEP_1)
	v_min_u32_e32 v2, 1, v2
	v_dual_sub_nc_u32 v3, 32, v8 :: v_dual_bitop2_b32 v2, v3, v2 bitop3:0x54
	s_delay_alu instid0(VALU_DEP_1) | instskip(NEXT) | instid1(VALU_DEP_1)
	v_cvt_f32_i32_e32 v2, v2
	v_ldexp_f32 v2, v2, v3
	s_delay_alu instid0(VALU_DEP_1)
	v_cvt_f16_f32_e32 v8, v2
	s_branch .LBB22_1531
.LBB22_1528:
	s_mov_b32 s3, -1
                                        ; implicit-def: $vgpr8
	s_branch .LBB22_1537
.LBB22_1529:
	s_mov_b32 s3, -1
                                        ; implicit-def: $vgpr8
	s_branch .LBB22_1534
.LBB22_1530:
	s_mov_b32 s3, -1
                                        ; implicit-def: $vgpr8
.LBB22_1531:
	s_delay_alu instid0(SALU_CYCLE_1)
	s_and_not1_b32 vcc_lo, exec_lo, s3
	s_cbranch_vccnz .LBB22_1533
; %bb.1532:
	global_load_b32 v2, v[0:1], off
	s_wait_loadcnt 0x0
	v_cvt_f32_i32_e32 v2, v2
	s_delay_alu instid0(VALU_DEP_1)
	v_cvt_f16_f32_e32 v8, v2
.LBB22_1533:
	s_mov_b32 s3, 0
.LBB22_1534:
	s_delay_alu instid0(SALU_CYCLE_1)
	s_and_not1_b32 vcc_lo, exec_lo, s3
	s_cbranch_vccnz .LBB22_1536
; %bb.1535:
	global_load_u16 v2, v[0:1], off
	s_wait_loadcnt 0x0
	v_cvt_f16_i16_e32 v8, v2
.LBB22_1536:
	s_mov_b32 s3, 0
.LBB22_1537:
	s_delay_alu instid0(SALU_CYCLE_1)
	s_and_not1_b32 vcc_lo, exec_lo, s3
	s_cbranch_vccnz .LBB22_1543
; %bb.1538:
	s_cmp_gt_i32 s0, 0
	s_mov_b32 s0, 0
	s_cbranch_scc0 .LBB22_1540
; %bb.1539:
	global_load_i8 v2, v[0:1], off
	s_wait_loadcnt 0x0
	v_cvt_f16_i16_e32 v8, v2
	s_branch .LBB22_1541
.LBB22_1540:
	s_mov_b32 s0, -1
                                        ; implicit-def: $vgpr8
.LBB22_1541:
	s_delay_alu instid0(SALU_CYCLE_1)
	s_and_not1_b32 vcc_lo, exec_lo, s0
	s_cbranch_vccnz .LBB22_1543
; %bb.1542:
	global_load_u8 v0, v[0:1], off
	s_wait_loadcnt 0x0
	v_cvt_f16_u16_e32 v8, v0
.LBB22_1543:
	s_mov_b32 s7, -1
.LBB22_1544:
	s_delay_alu instid0(SALU_CYCLE_1)
	s_and_not1_b32 vcc_lo, exec_lo, s7
	s_cbranch_vccnz .LBB22_1975
; %bb.1545:
	s_wait_xcnt 0x0
	v_mul_lo_u32 v0, s8, v4
	s_wait_loadcnt 0x0
	v_cmp_nge_f16_e64 s0, v5, -s10
	v_cmp_nge_f16_e32 vcc_lo, s10, v5
	s_and_b32 s13, s2, 0xff
	s_mov_b32 s6, 0
	s_or_b32 vcc_lo, s0, vcc_lo
	s_cmp_lt_i32 s13, 11
	s_mov_b32 s0, -1
	v_ashrrev_i32_e32 v1, 31, v0
	s_delay_alu instid0(VALU_DEP_1)
	v_add_nc_u64_e32 v[2:3], s[4:5], v[0:1]
	v_cndmask_b32_e32 v1, 0, v5, vcc_lo
	s_cbranch_scc1 .LBB22_1624
; %bb.1546:
	s_and_b32 s2, 0xffff, s13
	s_mov_b32 s7, -1
	s_mov_b32 s3, 0
	s_cmp_gt_i32 s2, 25
	s_mov_b32 s0, 0
	s_cbranch_scc0 .LBB22_1579
; %bb.1547:
	s_cmp_gt_i32 s2, 28
	s_cbranch_scc0 .LBB22_1562
; %bb.1548:
	s_cmp_gt_i32 s2, 43
	;; [unrolled: 3-line block ×3, first 2 shown]
	s_cbranch_scc0 .LBB22_1552
; %bb.1550:
	s_mov_b32 s0, -1
	s_mov_b32 s7, 0
	s_cmp_eq_u32 s2, 46
	s_cbranch_scc0 .LBB22_1552
; %bb.1551:
	v_cvt_f32_f16_e32 v4, v1
	v_cmp_o_f16_e32 vcc_lo, v1, v1
	s_mov_b32 s0, 0
	s_mov_b32 s6, -1
	s_delay_alu instid0(VALU_DEP_2) | instskip(NEXT) | instid1(VALU_DEP_1)
	v_bfe_u32 v5, v4, 16, 1
	v_add3_u32 v4, v4, v5, 0x7fff
	s_delay_alu instid0(VALU_DEP_1) | instskip(NEXT) | instid1(VALU_DEP_1)
	v_lshrrev_b32_e32 v4, 16, v4
	v_cndmask_b32_e32 v4, 0x7fc0, v4, vcc_lo
	global_store_b32 v[2:3], v4, off
.LBB22_1552:
	s_and_b32 vcc_lo, exec_lo, s7
	s_cbranch_vccz .LBB22_1557
; %bb.1553:
	s_cmp_eq_u32 s2, 44
	s_mov_b32 s0, -1
	s_cbranch_scc0 .LBB22_1557
; %bb.1554:
	s_wait_xcnt 0x0
	v_cvt_f32_f16_e32 v4, v1
	v_mov_b32_e32 v5, 0xff
	s_mov_b32 s6, exec_lo
	s_delay_alu instid0(VALU_DEP_2) | instskip(NEXT) | instid1(VALU_DEP_1)
	v_bfe_u32 v9, v4, 23, 8
	v_cmpx_ne_u32_e32 0xff, v9
	s_cbranch_execz .LBB22_1556
; %bb.1555:
	v_and_b32_e32 v5, 0x400000, v4
	v_and_or_b32 v9, 0x3fffff, v4, v9
	v_lshrrev_b32_e32 v4, 23, v4
	s_delay_alu instid0(VALU_DEP_3) | instskip(NEXT) | instid1(VALU_DEP_3)
	v_cmp_ne_u32_e32 vcc_lo, 0, v5
	v_cmp_ne_u32_e64 s0, 0, v9
	s_and_b32 s0, vcc_lo, s0
	s_delay_alu instid0(SALU_CYCLE_1) | instskip(NEXT) | instid1(VALU_DEP_1)
	v_cndmask_b32_e64 v5, 0, 1, s0
	v_add_nc_u32_e32 v5, v4, v5
.LBB22_1556:
	s_or_b32 exec_lo, exec_lo, s6
	s_mov_b32 s0, 0
	s_mov_b32 s6, -1
	global_store_b8 v[2:3], v5, off
.LBB22_1557:
	s_mov_b32 s7, 0
.LBB22_1558:
	s_delay_alu instid0(SALU_CYCLE_1)
	s_and_b32 vcc_lo, exec_lo, s7
	s_cbranch_vccz .LBB22_1561
; %bb.1559:
	s_cmp_eq_u32 s2, 29
	s_mov_b32 s0, -1
	s_cbranch_scc0 .LBB22_1561
; %bb.1560:
	s_wait_xcnt 0x0
	v_cvt_f32_f16_e32 v4, v1
	v_mov_b32_e32 v5, 0
	s_mov_b32 s0, 0
	s_mov_b32 s6, -1
	s_delay_alu instid0(VALU_DEP_2)
	v_cvt_u32_f32_e32 v4, v4
	global_store_b64 v[2:3], v[4:5], off
.LBB22_1561:
	s_mov_b32 s7, 0
.LBB22_1562:
	s_delay_alu instid0(SALU_CYCLE_1)
	s_and_b32 vcc_lo, exec_lo, s7
	s_cbranch_vccz .LBB22_1578
; %bb.1563:
	s_cmp_lt_i32 s2, 27
	s_mov_b32 s6, -1
	s_cbranch_scc1 .LBB22_1569
; %bb.1564:
	s_cmp_gt_i32 s2, 27
	s_cbranch_scc0 .LBB22_1566
; %bb.1565:
	s_wait_xcnt 0x0
	v_cvt_f32_f16_e32 v4, v1
	s_mov_b32 s6, 0
	s_delay_alu instid0(VALU_DEP_1)
	v_cvt_u32_f32_e32 v4, v4
	global_store_b32 v[2:3], v4, off
.LBB22_1566:
	s_and_not1_b32 vcc_lo, exec_lo, s6
	s_cbranch_vccnz .LBB22_1568
; %bb.1567:
	s_wait_xcnt 0x0
	v_cvt_u16_f16_e32 v4, v1
	global_store_b16 v[2:3], v4, off
.LBB22_1568:
	s_mov_b32 s6, 0
.LBB22_1569:
	s_delay_alu instid0(SALU_CYCLE_1)
	s_and_not1_b32 vcc_lo, exec_lo, s6
	s_cbranch_vccnz .LBB22_1577
; %bb.1570:
	s_wait_xcnt 0x0
	v_cvt_f32_f16_e32 v4, v1
	v_mov_b32_e32 v9, 0x80
	s_mov_b32 s6, exec_lo
	s_delay_alu instid0(VALU_DEP_2) | instskip(NEXT) | instid1(VALU_DEP_1)
	v_and_b32_e32 v5, 0x7fffffff, v4
	v_cmpx_gt_u32_e32 0x43800000, v5
	s_cbranch_execz .LBB22_1576
; %bb.1571:
	v_cmp_lt_u32_e32 vcc_lo, 0x3bffffff, v5
	s_mov_b32 s7, 0
                                        ; implicit-def: $vgpr5
	s_and_saveexec_b32 s9, vcc_lo
	s_delay_alu instid0(SALU_CYCLE_1)
	s_xor_b32 s9, exec_lo, s9
	s_cbranch_execz .LBB22_2021
; %bb.1572:
	v_bfe_u32 v5, v4, 20, 1
	s_mov_b32 s7, exec_lo
	s_delay_alu instid0(VALU_DEP_1) | instskip(NEXT) | instid1(VALU_DEP_1)
	v_add3_u32 v5, v4, v5, 0x487ffff
	v_lshrrev_b32_e32 v5, 20, v5
	s_and_not1_saveexec_b32 s9, s9
	s_cbranch_execnz .LBB22_2022
.LBB22_1573:
	s_or_b32 exec_lo, exec_lo, s9
	v_mov_b32_e32 v9, 0
	s_and_saveexec_b32 s9, s7
.LBB22_1574:
	v_lshrrev_b32_e32 v4, 24, v4
	s_delay_alu instid0(VALU_DEP_1)
	v_and_or_b32 v9, 0x80, v4, v5
.LBB22_1575:
	s_or_b32 exec_lo, exec_lo, s9
.LBB22_1576:
	s_delay_alu instid0(SALU_CYCLE_1)
	s_or_b32 exec_lo, exec_lo, s6
	global_store_b8 v[2:3], v9, off
.LBB22_1577:
	s_mov_b32 s6, -1
.LBB22_1578:
	s_mov_b32 s7, 0
.LBB22_1579:
	s_delay_alu instid0(SALU_CYCLE_1)
	s_and_b32 vcc_lo, exec_lo, s7
	s_cbranch_vccz .LBB22_1619
; %bb.1580:
	s_cmp_gt_i32 s2, 22
	s_mov_b32 s3, -1
	s_cbranch_scc0 .LBB22_1612
; %bb.1581:
	s_cmp_lt_i32 s2, 24
	s_cbranch_scc1 .LBB22_1601
; %bb.1582:
	s_cmp_gt_i32 s2, 24
	s_cbranch_scc0 .LBB22_1590
; %bb.1583:
	s_wait_xcnt 0x0
	v_cvt_f32_f16_e32 v4, v1
	v_mov_b32_e32 v9, 0x80
	s_mov_b32 s3, exec_lo
	s_delay_alu instid0(VALU_DEP_2) | instskip(NEXT) | instid1(VALU_DEP_1)
	v_and_b32_e32 v5, 0x7fffffff, v4
	v_cmpx_gt_u32_e32 0x47800000, v5
	s_cbranch_execz .LBB22_1589
; %bb.1584:
	v_cmp_lt_u32_e32 vcc_lo, 0x37ffffff, v5
	s_mov_b32 s6, 0
                                        ; implicit-def: $vgpr5
	s_and_saveexec_b32 s7, vcc_lo
	s_delay_alu instid0(SALU_CYCLE_1)
	s_xor_b32 s7, exec_lo, s7
	s_cbranch_execz .LBB22_2024
; %bb.1585:
	v_bfe_u32 v5, v4, 21, 1
	s_mov_b32 s6, exec_lo
	s_delay_alu instid0(VALU_DEP_1) | instskip(NEXT) | instid1(VALU_DEP_1)
	v_add3_u32 v5, v4, v5, 0x88fffff
	v_lshrrev_b32_e32 v5, 21, v5
	s_and_not1_saveexec_b32 s7, s7
	s_cbranch_execnz .LBB22_2025
.LBB22_1586:
	s_or_b32 exec_lo, exec_lo, s7
	v_mov_b32_e32 v9, 0
	s_and_saveexec_b32 s7, s6
.LBB22_1587:
	v_lshrrev_b32_e32 v4, 24, v4
	s_delay_alu instid0(VALU_DEP_1)
	v_and_or_b32 v9, 0x80, v4, v5
.LBB22_1588:
	s_or_b32 exec_lo, exec_lo, s7
.LBB22_1589:
	s_delay_alu instid0(SALU_CYCLE_1)
	s_or_b32 exec_lo, exec_lo, s3
	s_mov_b32 s3, 0
	global_store_b8 v[2:3], v9, off
.LBB22_1590:
	s_and_b32 vcc_lo, exec_lo, s3
	s_cbranch_vccz .LBB22_1600
; %bb.1591:
	s_wait_xcnt 0x0
	v_cvt_f32_f16_e32 v4, v1
	s_mov_b32 s3, exec_lo
                                        ; implicit-def: $vgpr5
	s_delay_alu instid0(VALU_DEP_1) | instskip(NEXT) | instid1(VALU_DEP_1)
	v_and_b32_e32 v9, 0x7fffffff, v4
	v_cmpx_gt_u32_e32 0x43f00000, v9
	s_xor_b32 s3, exec_lo, s3
	s_cbranch_execz .LBB22_1597
; %bb.1592:
	s_mov_b32 s6, exec_lo
                                        ; implicit-def: $vgpr5
	v_cmpx_lt_u32_e32 0x3c7fffff, v9
	s_xor_b32 s6, exec_lo, s6
; %bb.1593:
	v_bfe_u32 v5, v4, 20, 1
	s_delay_alu instid0(VALU_DEP_1) | instskip(NEXT) | instid1(VALU_DEP_1)
	v_add3_u32 v5, v4, v5, 0x407ffff
	v_and_b32_e32 v9, 0xff00000, v5
	v_lshrrev_b32_e32 v5, 20, v5
	s_delay_alu instid0(VALU_DEP_2) | instskip(NEXT) | instid1(VALU_DEP_2)
	v_cmp_ne_u32_e32 vcc_lo, 0x7f00000, v9
	v_cndmask_b32_e32 v5, 0x7e, v5, vcc_lo
; %bb.1594:
	s_and_not1_saveexec_b32 s6, s6
; %bb.1595:
	v_add_f32_e64 v5, 0x46800000, |v4|
; %bb.1596:
	s_or_b32 exec_lo, exec_lo, s6
                                        ; implicit-def: $vgpr9
.LBB22_1597:
	s_and_not1_saveexec_b32 s3, s3
; %bb.1598:
	v_mov_b32_e32 v5, 0x7f
	v_cmp_lt_u32_e32 vcc_lo, 0x7f800000, v9
	s_delay_alu instid0(VALU_DEP_2)
	v_cndmask_b32_e32 v5, 0x7e, v5, vcc_lo
; %bb.1599:
	s_or_b32 exec_lo, exec_lo, s3
	v_lshrrev_b32_e32 v4, 24, v4
	s_delay_alu instid0(VALU_DEP_1)
	v_and_or_b32 v4, 0x80, v4, v5
	global_store_b8 v[2:3], v4, off
.LBB22_1600:
	s_mov_b32 s3, 0
.LBB22_1601:
	s_delay_alu instid0(SALU_CYCLE_1)
	s_and_not1_b32 vcc_lo, exec_lo, s3
	s_cbranch_vccnz .LBB22_1611
; %bb.1602:
	s_wait_xcnt 0x0
	v_cvt_f32_f16_e32 v4, v1
	s_mov_b32 s3, exec_lo
                                        ; implicit-def: $vgpr5
	s_delay_alu instid0(VALU_DEP_1) | instskip(NEXT) | instid1(VALU_DEP_1)
	v_and_b32_e32 v9, 0x7fffffff, v4
	v_cmpx_gt_u32_e32 0x47800000, v9
	s_xor_b32 s3, exec_lo, s3
	s_cbranch_execz .LBB22_1608
; %bb.1603:
	s_mov_b32 s6, exec_lo
                                        ; implicit-def: $vgpr5
	v_cmpx_lt_u32_e32 0x387fffff, v9
	s_xor_b32 s6, exec_lo, s6
; %bb.1604:
	v_bfe_u32 v5, v4, 21, 1
	s_delay_alu instid0(VALU_DEP_1) | instskip(NEXT) | instid1(VALU_DEP_1)
	v_add3_u32 v5, v4, v5, 0x80fffff
	v_lshrrev_b32_e32 v5, 21, v5
; %bb.1605:
	s_and_not1_saveexec_b32 s6, s6
; %bb.1606:
	v_add_f32_e64 v5, 0x43000000, |v4|
; %bb.1607:
	s_or_b32 exec_lo, exec_lo, s6
                                        ; implicit-def: $vgpr9
.LBB22_1608:
	s_and_not1_saveexec_b32 s3, s3
; %bb.1609:
	v_mov_b32_e32 v5, 0x7f
	v_cmp_lt_u32_e32 vcc_lo, 0x7f800000, v9
	s_delay_alu instid0(VALU_DEP_2)
	v_cndmask_b32_e32 v5, 0x7c, v5, vcc_lo
; %bb.1610:
	s_or_b32 exec_lo, exec_lo, s3
	v_lshrrev_b32_e32 v4, 24, v4
	s_delay_alu instid0(VALU_DEP_1)
	v_and_or_b32 v4, 0x80, v4, v5
	global_store_b8 v[2:3], v4, off
.LBB22_1611:
	s_mov_b32 s3, 0
	s_mov_b32 s6, -1
.LBB22_1612:
	s_and_not1_b32 vcc_lo, exec_lo, s3
	s_mov_b32 s3, 0
	s_cbranch_vccnz .LBB22_1619
; %bb.1613:
	s_cmp_gt_i32 s2, 14
	s_mov_b32 s3, -1
	s_cbranch_scc0 .LBB22_1617
; %bb.1614:
	s_cmp_eq_u32 s2, 15
	s_mov_b32 s0, -1
	s_cbranch_scc0 .LBB22_1616
; %bb.1615:
	s_wait_xcnt 0x0
	v_cvt_f32_f16_e32 v4, v1
	v_cmp_o_f16_e32 vcc_lo, v1, v1
	s_mov_b32 s0, 0
	s_mov_b32 s6, -1
	s_delay_alu instid0(VALU_DEP_2) | instskip(NEXT) | instid1(VALU_DEP_1)
	v_bfe_u32 v5, v4, 16, 1
	v_add3_u32 v4, v4, v5, 0x7fff
	s_delay_alu instid0(VALU_DEP_1) | instskip(NEXT) | instid1(VALU_DEP_1)
	v_lshrrev_b32_e32 v4, 16, v4
	v_cndmask_b32_e32 v4, 0x7fc0, v4, vcc_lo
	global_store_b16 v[2:3], v4, off
.LBB22_1616:
	s_mov_b32 s3, 0
.LBB22_1617:
	s_delay_alu instid0(SALU_CYCLE_1)
	s_and_b32 vcc_lo, exec_lo, s3
	s_mov_b32 s3, 0
	s_cbranch_vccz .LBB22_1619
; %bb.1618:
	s_cmp_lg_u32 s2, 11
	s_mov_b32 s3, -1
	s_cselect_b32 s0, -1, 0
.LBB22_1619:
	s_delay_alu instid0(SALU_CYCLE_1)
	s_and_b32 vcc_lo, exec_lo, s0
	s_cbranch_vccnz .LBB22_2023
; %bb.1620:
	s_and_not1_b32 vcc_lo, exec_lo, s3
	s_cbranch_vccnz .LBB22_1622
.LBB22_1621:
	s_wait_xcnt 0x0
	v_and_b32_e32 v4, 0x7fff, v1
	s_mov_b32 s6, -1
	s_delay_alu instid0(VALU_DEP_1)
	v_cmp_ne_u16_e32 vcc_lo, 0, v4
	v_cndmask_b32_e64 v4, 0, 1, vcc_lo
	global_store_b8 v[2:3], v4, off
.LBB22_1622:
.LBB22_1623:
	s_and_not1_b32 vcc_lo, exec_lo, s6
	s_cbranch_vccz .LBB22_1663
	s_branch .LBB22_1975
.LBB22_1624:
	s_and_b32 vcc_lo, exec_lo, s0
	s_cbranch_vccz .LBB22_1623
; %bb.1625:
	s_and_b32 s0, 0xffff, s13
	s_mov_b32 s2, -1
	s_cmp_lt_i32 s0, 5
	s_cbranch_scc1 .LBB22_1646
; %bb.1626:
	s_cmp_lt_i32 s0, 8
	s_cbranch_scc1 .LBB22_1636
; %bb.1627:
	;; [unrolled: 3-line block ×3, first 2 shown]
	s_cmp_gt_i32 s0, 9
	s_cbranch_scc0 .LBB22_1630
; %bb.1629:
	s_wait_xcnt 0x0
	v_cvt_f32_f16_e32 v4, v1
	v_mov_b32_e32 v12, 0
	s_mov_b32 s2, 0
	s_delay_alu instid0(VALU_DEP_2) | instskip(NEXT) | instid1(VALU_DEP_2)
	v_cvt_f64_f32_e32 v[10:11], v4
	v_mov_b32_e32 v13, v12
	global_store_b128 v[2:3], v[10:13], off
.LBB22_1630:
	s_and_not1_b32 vcc_lo, exec_lo, s2
	s_cbranch_vccnz .LBB22_1632
; %bb.1631:
	s_wait_xcnt 0x0
	v_cvt_f32_f16_e32 v4, v1
	v_mov_b32_e32 v5, 0
	global_store_b64 v[2:3], v[4:5], off
.LBB22_1632:
	s_mov_b32 s2, 0
.LBB22_1633:
	s_delay_alu instid0(SALU_CYCLE_1)
	s_and_not1_b32 vcc_lo, exec_lo, s2
	s_cbranch_vccnz .LBB22_1635
; %bb.1634:
	s_wait_xcnt 0x0
	v_and_b32_e32 v4, 0xffff, v1
	global_store_b32 v[2:3], v4, off
.LBB22_1635:
	s_mov_b32 s2, 0
.LBB22_1636:
	s_delay_alu instid0(SALU_CYCLE_1)
	s_and_not1_b32 vcc_lo, exec_lo, s2
	s_cbranch_vccnz .LBB22_1645
; %bb.1637:
	s_cmp_lt_i32 s0, 6
	s_mov_b32 s2, -1
	s_cbranch_scc1 .LBB22_1643
; %bb.1638:
	s_cmp_gt_i32 s0, 6
	s_cbranch_scc0 .LBB22_1640
; %bb.1639:
	s_wait_xcnt 0x0
	v_cvt_f32_f16_e32 v4, v1
	s_mov_b32 s2, 0
	s_delay_alu instid0(VALU_DEP_1)
	v_cvt_f64_f32_e32 v[4:5], v4
	global_store_b64 v[2:3], v[4:5], off
.LBB22_1640:
	s_and_not1_b32 vcc_lo, exec_lo, s2
	s_cbranch_vccnz .LBB22_1642
; %bb.1641:
	s_wait_xcnt 0x0
	v_cvt_f32_f16_e32 v4, v1
	global_store_b32 v[2:3], v4, off
.LBB22_1642:
	s_mov_b32 s2, 0
.LBB22_1643:
	s_delay_alu instid0(SALU_CYCLE_1)
	s_and_not1_b32 vcc_lo, exec_lo, s2
	s_cbranch_vccnz .LBB22_1645
; %bb.1644:
	global_store_b16 v[2:3], v1, off
.LBB22_1645:
	s_mov_b32 s2, 0
.LBB22_1646:
	s_delay_alu instid0(SALU_CYCLE_1)
	s_and_not1_b32 vcc_lo, exec_lo, s2
	s_cbranch_vccnz .LBB22_1662
; %bb.1647:
	s_cmp_lt_i32 s0, 2
	s_mov_b32 s2, -1
	s_cbranch_scc1 .LBB22_1657
; %bb.1648:
	s_cmp_lt_i32 s0, 3
	s_cbranch_scc1 .LBB22_1654
; %bb.1649:
	s_cmp_gt_i32 s0, 3
	s_cbranch_scc0 .LBB22_1651
; %bb.1650:
	s_wait_xcnt 0x0
	v_cvt_f32_f16_e32 v4, v1
	s_mov_b32 s2, 0
	s_delay_alu instid0(VALU_DEP_1) | instskip(NEXT) | instid1(VALU_DEP_1)
	v_cvt_i32_f32_e32 v4, v4
	v_ashrrev_i32_e32 v5, 31, v4
	global_store_b64 v[2:3], v[4:5], off
.LBB22_1651:
	s_and_not1_b32 vcc_lo, exec_lo, s2
	s_cbranch_vccnz .LBB22_1653
; %bb.1652:
	s_wait_xcnt 0x0
	v_cvt_f32_f16_e32 v4, v1
	s_delay_alu instid0(VALU_DEP_1)
	v_cvt_i32_f32_e32 v4, v4
	global_store_b32 v[2:3], v4, off
.LBB22_1653:
	s_mov_b32 s2, 0
.LBB22_1654:
	s_delay_alu instid0(SALU_CYCLE_1)
	s_and_not1_b32 vcc_lo, exec_lo, s2
	s_cbranch_vccnz .LBB22_1656
; %bb.1655:
	s_wait_xcnt 0x0
	v_cvt_i16_f16_e32 v4, v1
	global_store_b16 v[2:3], v4, off
.LBB22_1656:
	s_mov_b32 s2, 0
.LBB22_1657:
	s_delay_alu instid0(SALU_CYCLE_1)
	s_and_not1_b32 vcc_lo, exec_lo, s2
	s_cbranch_vccnz .LBB22_1662
; %bb.1658:
	s_cmp_gt_i32 s0, 0
	s_mov_b32 s0, -1
	s_cbranch_scc0 .LBB22_1660
; %bb.1659:
	s_wait_xcnt 0x0
	v_cvt_i16_f16_e32 v4, v1
	s_mov_b32 s0, 0
	global_store_b8 v[2:3], v4, off
.LBB22_1660:
	s_and_not1_b32 vcc_lo, exec_lo, s0
	s_cbranch_vccnz .LBB22_1662
; %bb.1661:
	s_wait_xcnt 0x0
	v_cvt_f32_f16_e32 v1, v1
	s_delay_alu instid0(VALU_DEP_1)
	v_cvt_i32_f32_e32 v1, v1
	global_store_b8 v[2:3], v1, off
.LBB22_1662:
.LBB22_1663:
	v_cmp_nge_f16_e64 s0, v6, -s10
	v_cmp_nge_f16_e32 vcc_lo, s10, v6
	s_lshl_b32 s2, s8, 7
	s_mov_b32 s7, 0
	s_or_b32 vcc_lo, s0, vcc_lo
	v_add_nc_u32_e32 v0, s2, v0
	s_cmp_lt_i32 s13, 11
	s_mov_b32 s0, -1
	s_wait_xcnt 0x0
	s_delay_alu instid0(VALU_DEP_1) | instskip(NEXT) | instid1(VALU_DEP_1)
	v_ashrrev_i32_e32 v1, 31, v0
	v_add_nc_u64_e32 v[2:3], s[4:5], v[0:1]
	v_cndmask_b32_e32 v1, 0, v6, vcc_lo
	s_cbranch_scc1 .LBB22_1742
; %bb.1664:
	s_and_b32 s3, 0xffff, s13
	s_mov_b32 s8, -1
	s_mov_b32 s6, 0
	s_cmp_gt_i32 s3, 25
	s_mov_b32 s0, 0
	s_cbranch_scc0 .LBB22_1697
; %bb.1665:
	s_cmp_gt_i32 s3, 28
	s_cbranch_scc0 .LBB22_1680
; %bb.1666:
	s_cmp_gt_i32 s3, 43
	;; [unrolled: 3-line block ×3, first 2 shown]
	s_cbranch_scc0 .LBB22_1670
; %bb.1668:
	s_mov_b32 s0, -1
	s_mov_b32 s8, 0
	s_cmp_eq_u32 s3, 46
	s_cbranch_scc0 .LBB22_1670
; %bb.1669:
	v_cvt_f32_f16_e32 v4, v1
	v_cmp_o_f16_e32 vcc_lo, v1, v1
	s_mov_b32 s0, 0
	s_mov_b32 s7, -1
	s_delay_alu instid0(VALU_DEP_2) | instskip(NEXT) | instid1(VALU_DEP_1)
	v_bfe_u32 v5, v4, 16, 1
	v_add3_u32 v4, v4, v5, 0x7fff
	s_delay_alu instid0(VALU_DEP_1) | instskip(NEXT) | instid1(VALU_DEP_1)
	v_lshrrev_b32_e32 v4, 16, v4
	v_cndmask_b32_e32 v4, 0x7fc0, v4, vcc_lo
	global_store_b32 v[2:3], v4, off
.LBB22_1670:
	s_and_b32 vcc_lo, exec_lo, s8
	s_cbranch_vccz .LBB22_1675
; %bb.1671:
	s_cmp_eq_u32 s3, 44
	s_mov_b32 s0, -1
	s_cbranch_scc0 .LBB22_1675
; %bb.1672:
	s_wait_xcnt 0x0
	v_cvt_f32_f16_e32 v4, v1
	v_mov_b32_e32 v5, 0xff
	s_mov_b32 s7, exec_lo
	s_delay_alu instid0(VALU_DEP_2) | instskip(NEXT) | instid1(VALU_DEP_1)
	v_bfe_u32 v6, v4, 23, 8
	v_cmpx_ne_u32_e32 0xff, v6
	s_cbranch_execz .LBB22_1674
; %bb.1673:
	v_and_b32_e32 v5, 0x400000, v4
	v_and_or_b32 v6, 0x3fffff, v4, v6
	v_lshrrev_b32_e32 v4, 23, v4
	s_delay_alu instid0(VALU_DEP_3) | instskip(NEXT) | instid1(VALU_DEP_3)
	v_cmp_ne_u32_e32 vcc_lo, 0, v5
	v_cmp_ne_u32_e64 s0, 0, v6
	s_and_b32 s0, vcc_lo, s0
	s_delay_alu instid0(SALU_CYCLE_1) | instskip(NEXT) | instid1(VALU_DEP_1)
	v_cndmask_b32_e64 v5, 0, 1, s0
	v_add_nc_u32_e32 v5, v4, v5
.LBB22_1674:
	s_or_b32 exec_lo, exec_lo, s7
	s_mov_b32 s0, 0
	s_mov_b32 s7, -1
	global_store_b8 v[2:3], v5, off
.LBB22_1675:
	s_mov_b32 s8, 0
.LBB22_1676:
	s_delay_alu instid0(SALU_CYCLE_1)
	s_and_b32 vcc_lo, exec_lo, s8
	s_cbranch_vccz .LBB22_1679
; %bb.1677:
	s_cmp_eq_u32 s3, 29
	s_mov_b32 s0, -1
	s_cbranch_scc0 .LBB22_1679
; %bb.1678:
	s_wait_xcnt 0x0
	v_cvt_f32_f16_e32 v4, v1
	v_mov_b32_e32 v5, 0
	s_mov_b32 s0, 0
	s_mov_b32 s7, -1
	s_delay_alu instid0(VALU_DEP_2)
	v_cvt_u32_f32_e32 v4, v4
	global_store_b64 v[2:3], v[4:5], off
.LBB22_1679:
	s_mov_b32 s8, 0
.LBB22_1680:
	s_delay_alu instid0(SALU_CYCLE_1)
	s_and_b32 vcc_lo, exec_lo, s8
	s_cbranch_vccz .LBB22_1696
; %bb.1681:
	s_cmp_lt_i32 s3, 27
	s_mov_b32 s7, -1
	s_cbranch_scc1 .LBB22_1687
; %bb.1682:
	s_cmp_gt_i32 s3, 27
	s_cbranch_scc0 .LBB22_1684
; %bb.1683:
	s_wait_xcnt 0x0
	v_cvt_f32_f16_e32 v4, v1
	s_mov_b32 s7, 0
	s_delay_alu instid0(VALU_DEP_1)
	v_cvt_u32_f32_e32 v4, v4
	global_store_b32 v[2:3], v4, off
.LBB22_1684:
	s_and_not1_b32 vcc_lo, exec_lo, s7
	s_cbranch_vccnz .LBB22_1686
; %bb.1685:
	s_wait_xcnt 0x0
	v_cvt_u16_f16_e32 v4, v1
	global_store_b16 v[2:3], v4, off
.LBB22_1686:
	s_mov_b32 s7, 0
.LBB22_1687:
	s_delay_alu instid0(SALU_CYCLE_1)
	s_and_not1_b32 vcc_lo, exec_lo, s7
	s_cbranch_vccnz .LBB22_1695
; %bb.1688:
	s_wait_xcnt 0x0
	v_cvt_f32_f16_e32 v4, v1
	v_mov_b32_e32 v6, 0x80
	s_mov_b32 s7, exec_lo
	s_delay_alu instid0(VALU_DEP_2) | instskip(NEXT) | instid1(VALU_DEP_1)
	v_and_b32_e32 v5, 0x7fffffff, v4
	v_cmpx_gt_u32_e32 0x43800000, v5
	s_cbranch_execz .LBB22_1694
; %bb.1689:
	v_cmp_lt_u32_e32 vcc_lo, 0x3bffffff, v5
	s_mov_b32 s8, 0
                                        ; implicit-def: $vgpr5
	s_and_saveexec_b32 s9, vcc_lo
	s_delay_alu instid0(SALU_CYCLE_1)
	s_xor_b32 s9, exec_lo, s9
	s_cbranch_execz .LBB22_2026
; %bb.1690:
	v_bfe_u32 v5, v4, 20, 1
	s_mov_b32 s8, exec_lo
	s_delay_alu instid0(VALU_DEP_1) | instskip(NEXT) | instid1(VALU_DEP_1)
	v_add3_u32 v5, v4, v5, 0x487ffff
	v_lshrrev_b32_e32 v5, 20, v5
	s_and_not1_saveexec_b32 s9, s9
	s_cbranch_execnz .LBB22_2027
.LBB22_1691:
	s_or_b32 exec_lo, exec_lo, s9
	v_mov_b32_e32 v6, 0
	s_and_saveexec_b32 s9, s8
.LBB22_1692:
	v_lshrrev_b32_e32 v4, 24, v4
	s_delay_alu instid0(VALU_DEP_1)
	v_and_or_b32 v6, 0x80, v4, v5
.LBB22_1693:
	s_or_b32 exec_lo, exec_lo, s9
.LBB22_1694:
	s_delay_alu instid0(SALU_CYCLE_1)
	s_or_b32 exec_lo, exec_lo, s7
	global_store_b8 v[2:3], v6, off
.LBB22_1695:
	s_mov_b32 s7, -1
.LBB22_1696:
	s_mov_b32 s8, 0
.LBB22_1697:
	s_delay_alu instid0(SALU_CYCLE_1)
	s_and_b32 vcc_lo, exec_lo, s8
	s_cbranch_vccz .LBB22_1737
; %bb.1698:
	s_cmp_gt_i32 s3, 22
	s_mov_b32 s6, -1
	s_cbranch_scc0 .LBB22_1730
; %bb.1699:
	s_cmp_lt_i32 s3, 24
	s_cbranch_scc1 .LBB22_1719
; %bb.1700:
	s_cmp_gt_i32 s3, 24
	s_cbranch_scc0 .LBB22_1708
; %bb.1701:
	s_wait_xcnt 0x0
	v_cvt_f32_f16_e32 v4, v1
	v_mov_b32_e32 v6, 0x80
	s_mov_b32 s6, exec_lo
	s_delay_alu instid0(VALU_DEP_2) | instskip(NEXT) | instid1(VALU_DEP_1)
	v_and_b32_e32 v5, 0x7fffffff, v4
	v_cmpx_gt_u32_e32 0x47800000, v5
	s_cbranch_execz .LBB22_1707
; %bb.1702:
	v_cmp_lt_u32_e32 vcc_lo, 0x37ffffff, v5
	s_mov_b32 s7, 0
                                        ; implicit-def: $vgpr5
	s_and_saveexec_b32 s8, vcc_lo
	s_delay_alu instid0(SALU_CYCLE_1)
	s_xor_b32 s8, exec_lo, s8
	s_cbranch_execz .LBB22_2029
; %bb.1703:
	v_bfe_u32 v5, v4, 21, 1
	s_mov_b32 s7, exec_lo
	s_delay_alu instid0(VALU_DEP_1) | instskip(NEXT) | instid1(VALU_DEP_1)
	v_add3_u32 v5, v4, v5, 0x88fffff
	v_lshrrev_b32_e32 v5, 21, v5
	s_and_not1_saveexec_b32 s8, s8
	s_cbranch_execnz .LBB22_2030
.LBB22_1704:
	s_or_b32 exec_lo, exec_lo, s8
	v_mov_b32_e32 v6, 0
	s_and_saveexec_b32 s8, s7
.LBB22_1705:
	v_lshrrev_b32_e32 v4, 24, v4
	s_delay_alu instid0(VALU_DEP_1)
	v_and_or_b32 v6, 0x80, v4, v5
.LBB22_1706:
	s_or_b32 exec_lo, exec_lo, s8
.LBB22_1707:
	s_delay_alu instid0(SALU_CYCLE_1)
	s_or_b32 exec_lo, exec_lo, s6
	s_mov_b32 s6, 0
	global_store_b8 v[2:3], v6, off
.LBB22_1708:
	s_and_b32 vcc_lo, exec_lo, s6
	s_cbranch_vccz .LBB22_1718
; %bb.1709:
	s_wait_xcnt 0x0
	v_cvt_f32_f16_e32 v4, v1
	s_mov_b32 s6, exec_lo
                                        ; implicit-def: $vgpr5
	s_delay_alu instid0(VALU_DEP_1) | instskip(NEXT) | instid1(VALU_DEP_1)
	v_and_b32_e32 v6, 0x7fffffff, v4
	v_cmpx_gt_u32_e32 0x43f00000, v6
	s_xor_b32 s6, exec_lo, s6
	s_cbranch_execz .LBB22_1715
; %bb.1710:
	s_mov_b32 s7, exec_lo
                                        ; implicit-def: $vgpr5
	v_cmpx_lt_u32_e32 0x3c7fffff, v6
	s_xor_b32 s7, exec_lo, s7
; %bb.1711:
	v_bfe_u32 v5, v4, 20, 1
	s_delay_alu instid0(VALU_DEP_1) | instskip(NEXT) | instid1(VALU_DEP_1)
	v_add3_u32 v5, v4, v5, 0x407ffff
	v_and_b32_e32 v6, 0xff00000, v5
	v_lshrrev_b32_e32 v5, 20, v5
	s_delay_alu instid0(VALU_DEP_2) | instskip(NEXT) | instid1(VALU_DEP_2)
	v_cmp_ne_u32_e32 vcc_lo, 0x7f00000, v6
	v_cndmask_b32_e32 v5, 0x7e, v5, vcc_lo
; %bb.1712:
	s_and_not1_saveexec_b32 s7, s7
; %bb.1713:
	v_add_f32_e64 v5, 0x46800000, |v4|
; %bb.1714:
	s_or_b32 exec_lo, exec_lo, s7
                                        ; implicit-def: $vgpr6
.LBB22_1715:
	s_and_not1_saveexec_b32 s6, s6
; %bb.1716:
	v_mov_b32_e32 v5, 0x7f
	v_cmp_lt_u32_e32 vcc_lo, 0x7f800000, v6
	s_delay_alu instid0(VALU_DEP_2)
	v_cndmask_b32_e32 v5, 0x7e, v5, vcc_lo
; %bb.1717:
	s_or_b32 exec_lo, exec_lo, s6
	v_lshrrev_b32_e32 v4, 24, v4
	s_delay_alu instid0(VALU_DEP_1)
	v_and_or_b32 v4, 0x80, v4, v5
	global_store_b8 v[2:3], v4, off
.LBB22_1718:
	s_mov_b32 s6, 0
.LBB22_1719:
	s_delay_alu instid0(SALU_CYCLE_1)
	s_and_not1_b32 vcc_lo, exec_lo, s6
	s_cbranch_vccnz .LBB22_1729
; %bb.1720:
	s_wait_xcnt 0x0
	v_cvt_f32_f16_e32 v4, v1
	s_mov_b32 s6, exec_lo
                                        ; implicit-def: $vgpr5
	s_delay_alu instid0(VALU_DEP_1) | instskip(NEXT) | instid1(VALU_DEP_1)
	v_and_b32_e32 v6, 0x7fffffff, v4
	v_cmpx_gt_u32_e32 0x47800000, v6
	s_xor_b32 s6, exec_lo, s6
	s_cbranch_execz .LBB22_1726
; %bb.1721:
	s_mov_b32 s7, exec_lo
                                        ; implicit-def: $vgpr5
	v_cmpx_lt_u32_e32 0x387fffff, v6
	s_xor_b32 s7, exec_lo, s7
; %bb.1722:
	v_bfe_u32 v5, v4, 21, 1
	s_delay_alu instid0(VALU_DEP_1) | instskip(NEXT) | instid1(VALU_DEP_1)
	v_add3_u32 v5, v4, v5, 0x80fffff
	v_lshrrev_b32_e32 v5, 21, v5
; %bb.1723:
	s_and_not1_saveexec_b32 s7, s7
; %bb.1724:
	v_add_f32_e64 v5, 0x43000000, |v4|
; %bb.1725:
	s_or_b32 exec_lo, exec_lo, s7
                                        ; implicit-def: $vgpr6
.LBB22_1726:
	s_and_not1_saveexec_b32 s6, s6
; %bb.1727:
	v_mov_b32_e32 v5, 0x7f
	v_cmp_lt_u32_e32 vcc_lo, 0x7f800000, v6
	s_delay_alu instid0(VALU_DEP_2)
	v_cndmask_b32_e32 v5, 0x7c, v5, vcc_lo
; %bb.1728:
	s_or_b32 exec_lo, exec_lo, s6
	v_lshrrev_b32_e32 v4, 24, v4
	s_delay_alu instid0(VALU_DEP_1)
	v_and_or_b32 v4, 0x80, v4, v5
	global_store_b8 v[2:3], v4, off
.LBB22_1729:
	s_mov_b32 s6, 0
	s_mov_b32 s7, -1
.LBB22_1730:
	s_and_not1_b32 vcc_lo, exec_lo, s6
	s_mov_b32 s6, 0
	s_cbranch_vccnz .LBB22_1737
; %bb.1731:
	s_cmp_gt_i32 s3, 14
	s_mov_b32 s6, -1
	s_cbranch_scc0 .LBB22_1735
; %bb.1732:
	s_cmp_eq_u32 s3, 15
	s_mov_b32 s0, -1
	s_cbranch_scc0 .LBB22_1734
; %bb.1733:
	s_wait_xcnt 0x0
	v_cvt_f32_f16_e32 v4, v1
	v_cmp_o_f16_e32 vcc_lo, v1, v1
	s_mov_b32 s0, 0
	s_mov_b32 s7, -1
	s_delay_alu instid0(VALU_DEP_2) | instskip(NEXT) | instid1(VALU_DEP_1)
	v_bfe_u32 v5, v4, 16, 1
	v_add3_u32 v4, v4, v5, 0x7fff
	s_delay_alu instid0(VALU_DEP_1) | instskip(NEXT) | instid1(VALU_DEP_1)
	v_lshrrev_b32_e32 v4, 16, v4
	v_cndmask_b32_e32 v4, 0x7fc0, v4, vcc_lo
	global_store_b16 v[2:3], v4, off
.LBB22_1734:
	s_mov_b32 s6, 0
.LBB22_1735:
	s_delay_alu instid0(SALU_CYCLE_1)
	s_and_b32 vcc_lo, exec_lo, s6
	s_mov_b32 s6, 0
	s_cbranch_vccz .LBB22_1737
; %bb.1736:
	s_cmp_lg_u32 s3, 11
	s_mov_b32 s6, -1
	s_cselect_b32 s0, -1, 0
.LBB22_1737:
	s_delay_alu instid0(SALU_CYCLE_1)
	s_and_b32 vcc_lo, exec_lo, s0
	s_cbranch_vccnz .LBB22_2028
; %bb.1738:
	s_and_not1_b32 vcc_lo, exec_lo, s6
	s_cbranch_vccnz .LBB22_1740
.LBB22_1739:
	s_wait_xcnt 0x0
	v_and_b32_e32 v4, 0x7fff, v1
	s_mov_b32 s7, -1
	s_delay_alu instid0(VALU_DEP_1)
	v_cmp_ne_u16_e32 vcc_lo, 0, v4
	v_cndmask_b32_e64 v4, 0, 1, vcc_lo
	global_store_b8 v[2:3], v4, off
.LBB22_1740:
.LBB22_1741:
	s_and_not1_b32 vcc_lo, exec_lo, s7
	s_cbranch_vccz .LBB22_1781
	s_branch .LBB22_1975
.LBB22_1742:
	s_and_b32 vcc_lo, exec_lo, s0
	s_cbranch_vccz .LBB22_1741
; %bb.1743:
	s_and_b32 s0, 0xffff, s13
	s_mov_b32 s3, -1
	s_cmp_lt_i32 s0, 5
	s_cbranch_scc1 .LBB22_1764
; %bb.1744:
	s_cmp_lt_i32 s0, 8
	s_cbranch_scc1 .LBB22_1754
; %bb.1745:
	;; [unrolled: 3-line block ×3, first 2 shown]
	s_cmp_gt_i32 s0, 9
	s_cbranch_scc0 .LBB22_1748
; %bb.1747:
	s_wait_xcnt 0x0
	v_cvt_f32_f16_e32 v4, v1
	v_mov_b32_e32 v12, 0
	s_mov_b32 s3, 0
	s_delay_alu instid0(VALU_DEP_2) | instskip(NEXT) | instid1(VALU_DEP_2)
	v_cvt_f64_f32_e32 v[10:11], v4
	v_mov_b32_e32 v13, v12
	global_store_b128 v[2:3], v[10:13], off
.LBB22_1748:
	s_and_not1_b32 vcc_lo, exec_lo, s3
	s_cbranch_vccnz .LBB22_1750
; %bb.1749:
	s_wait_xcnt 0x0
	v_cvt_f32_f16_e32 v4, v1
	v_mov_b32_e32 v5, 0
	global_store_b64 v[2:3], v[4:5], off
.LBB22_1750:
	s_mov_b32 s3, 0
.LBB22_1751:
	s_delay_alu instid0(SALU_CYCLE_1)
	s_and_not1_b32 vcc_lo, exec_lo, s3
	s_cbranch_vccnz .LBB22_1753
; %bb.1752:
	s_wait_xcnt 0x0
	v_and_b32_e32 v4, 0xffff, v1
	global_store_b32 v[2:3], v4, off
.LBB22_1753:
	s_mov_b32 s3, 0
.LBB22_1754:
	s_delay_alu instid0(SALU_CYCLE_1)
	s_and_not1_b32 vcc_lo, exec_lo, s3
	s_cbranch_vccnz .LBB22_1763
; %bb.1755:
	s_cmp_lt_i32 s0, 6
	s_mov_b32 s3, -1
	s_cbranch_scc1 .LBB22_1761
; %bb.1756:
	s_cmp_gt_i32 s0, 6
	s_cbranch_scc0 .LBB22_1758
; %bb.1757:
	s_wait_xcnt 0x0
	v_cvt_f32_f16_e32 v4, v1
	s_mov_b32 s3, 0
	s_delay_alu instid0(VALU_DEP_1)
	v_cvt_f64_f32_e32 v[4:5], v4
	global_store_b64 v[2:3], v[4:5], off
.LBB22_1758:
	s_and_not1_b32 vcc_lo, exec_lo, s3
	s_cbranch_vccnz .LBB22_1760
; %bb.1759:
	s_wait_xcnt 0x0
	v_cvt_f32_f16_e32 v4, v1
	global_store_b32 v[2:3], v4, off
.LBB22_1760:
	s_mov_b32 s3, 0
.LBB22_1761:
	s_delay_alu instid0(SALU_CYCLE_1)
	s_and_not1_b32 vcc_lo, exec_lo, s3
	s_cbranch_vccnz .LBB22_1763
; %bb.1762:
	global_store_b16 v[2:3], v1, off
.LBB22_1763:
	s_mov_b32 s3, 0
.LBB22_1764:
	s_delay_alu instid0(SALU_CYCLE_1)
	s_and_not1_b32 vcc_lo, exec_lo, s3
	s_cbranch_vccnz .LBB22_1780
; %bb.1765:
	s_cmp_lt_i32 s0, 2
	s_mov_b32 s3, -1
	s_cbranch_scc1 .LBB22_1775
; %bb.1766:
	s_cmp_lt_i32 s0, 3
	s_cbranch_scc1 .LBB22_1772
; %bb.1767:
	s_cmp_gt_i32 s0, 3
	s_cbranch_scc0 .LBB22_1769
; %bb.1768:
	s_wait_xcnt 0x0
	v_cvt_f32_f16_e32 v4, v1
	s_mov_b32 s3, 0
	s_delay_alu instid0(VALU_DEP_1) | instskip(NEXT) | instid1(VALU_DEP_1)
	v_cvt_i32_f32_e32 v4, v4
	v_ashrrev_i32_e32 v5, 31, v4
	global_store_b64 v[2:3], v[4:5], off
.LBB22_1769:
	s_and_not1_b32 vcc_lo, exec_lo, s3
	s_cbranch_vccnz .LBB22_1771
; %bb.1770:
	s_wait_xcnt 0x0
	v_cvt_f32_f16_e32 v4, v1
	s_delay_alu instid0(VALU_DEP_1)
	v_cvt_i32_f32_e32 v4, v4
	global_store_b32 v[2:3], v4, off
.LBB22_1771:
	s_mov_b32 s3, 0
.LBB22_1772:
	s_delay_alu instid0(SALU_CYCLE_1)
	s_and_not1_b32 vcc_lo, exec_lo, s3
	s_cbranch_vccnz .LBB22_1774
; %bb.1773:
	s_wait_xcnt 0x0
	v_cvt_i16_f16_e32 v4, v1
	global_store_b16 v[2:3], v4, off
.LBB22_1774:
	s_mov_b32 s3, 0
.LBB22_1775:
	s_delay_alu instid0(SALU_CYCLE_1)
	s_and_not1_b32 vcc_lo, exec_lo, s3
	s_cbranch_vccnz .LBB22_1780
; %bb.1776:
	s_cmp_gt_i32 s0, 0
	s_mov_b32 s0, -1
	s_cbranch_scc0 .LBB22_1778
; %bb.1777:
	s_wait_xcnt 0x0
	v_cvt_i16_f16_e32 v4, v1
	s_mov_b32 s0, 0
	global_store_b8 v[2:3], v4, off
.LBB22_1778:
	s_and_not1_b32 vcc_lo, exec_lo, s0
	s_cbranch_vccnz .LBB22_1780
; %bb.1779:
	s_wait_xcnt 0x0
	v_cvt_f32_f16_e32 v1, v1
	s_delay_alu instid0(VALU_DEP_1)
	v_cvt_i32_f32_e32 v1, v1
	global_store_b8 v[2:3], v1, off
.LBB22_1780:
.LBB22_1781:
	v_cmp_nge_f16_e64 s0, v7, -s10
	v_cmp_nge_f16_e32 vcc_lo, s10, v7
	s_mov_b32 s7, 0
	s_or_b32 vcc_lo, s0, vcc_lo
	v_add_nc_u32_e32 v0, s2, v0
	s_cmp_lt_i32 s13, 11
	s_mov_b32 s0, -1
	s_wait_xcnt 0x0
	s_delay_alu instid0(VALU_DEP_1) | instskip(NEXT) | instid1(VALU_DEP_1)
	v_ashrrev_i32_e32 v1, 31, v0
	v_add_nc_u64_e32 v[2:3], s[4:5], v[0:1]
	v_cndmask_b32_e32 v1, 0, v7, vcc_lo
	s_cbranch_scc1 .LBB22_1936
; %bb.1782:
	s_and_b32 s3, 0xffff, s13
	s_mov_b32 s8, -1
	s_mov_b32 s6, 0
	s_cmp_gt_i32 s3, 25
	s_mov_b32 s0, 0
	s_cbranch_scc0 .LBB22_1815
; %bb.1783:
	s_cmp_gt_i32 s3, 28
	s_cbranch_scc0 .LBB22_1798
; %bb.1784:
	s_cmp_gt_i32 s3, 43
	;; [unrolled: 3-line block ×3, first 2 shown]
	s_cbranch_scc0 .LBB22_1788
; %bb.1786:
	s_mov_b32 s0, -1
	s_mov_b32 s8, 0
	s_cmp_eq_u32 s3, 46
	s_cbranch_scc0 .LBB22_1788
; %bb.1787:
	v_cvt_f32_f16_e32 v4, v1
	v_cmp_o_f16_e32 vcc_lo, v1, v1
	s_mov_b32 s0, 0
	s_mov_b32 s7, -1
	s_delay_alu instid0(VALU_DEP_2) | instskip(NEXT) | instid1(VALU_DEP_1)
	v_bfe_u32 v5, v4, 16, 1
	v_add3_u32 v4, v4, v5, 0x7fff
	s_delay_alu instid0(VALU_DEP_1) | instskip(NEXT) | instid1(VALU_DEP_1)
	v_lshrrev_b32_e32 v4, 16, v4
	v_cndmask_b32_e32 v4, 0x7fc0, v4, vcc_lo
	global_store_b32 v[2:3], v4, off
.LBB22_1788:
	s_and_b32 vcc_lo, exec_lo, s8
	s_cbranch_vccz .LBB22_1793
; %bb.1789:
	s_cmp_eq_u32 s3, 44
	s_mov_b32 s0, -1
	s_cbranch_scc0 .LBB22_1793
; %bb.1790:
	s_wait_xcnt 0x0
	v_cvt_f32_f16_e32 v4, v1
	v_mov_b32_e32 v5, 0xff
	s_mov_b32 s7, exec_lo
	s_delay_alu instid0(VALU_DEP_2) | instskip(NEXT) | instid1(VALU_DEP_1)
	v_bfe_u32 v6, v4, 23, 8
	v_cmpx_ne_u32_e32 0xff, v6
	s_cbranch_execz .LBB22_1792
; %bb.1791:
	v_and_b32_e32 v5, 0x400000, v4
	v_and_or_b32 v6, 0x3fffff, v4, v6
	v_lshrrev_b32_e32 v4, 23, v4
	s_delay_alu instid0(VALU_DEP_3) | instskip(NEXT) | instid1(VALU_DEP_3)
	v_cmp_ne_u32_e32 vcc_lo, 0, v5
	v_cmp_ne_u32_e64 s0, 0, v6
	s_and_b32 s0, vcc_lo, s0
	s_delay_alu instid0(SALU_CYCLE_1) | instskip(NEXT) | instid1(VALU_DEP_1)
	v_cndmask_b32_e64 v5, 0, 1, s0
	v_add_nc_u32_e32 v5, v4, v5
.LBB22_1792:
	s_or_b32 exec_lo, exec_lo, s7
	s_mov_b32 s0, 0
	s_mov_b32 s7, -1
	global_store_b8 v[2:3], v5, off
.LBB22_1793:
	s_mov_b32 s8, 0
.LBB22_1794:
	s_delay_alu instid0(SALU_CYCLE_1)
	s_and_b32 vcc_lo, exec_lo, s8
	s_cbranch_vccz .LBB22_1797
; %bb.1795:
	s_cmp_eq_u32 s3, 29
	s_mov_b32 s0, -1
	s_cbranch_scc0 .LBB22_1797
; %bb.1796:
	s_wait_xcnt 0x0
	v_cvt_f32_f16_e32 v4, v1
	v_mov_b32_e32 v5, 0
	s_mov_b32 s0, 0
	s_mov_b32 s7, -1
	s_delay_alu instid0(VALU_DEP_2)
	v_cvt_u32_f32_e32 v4, v4
	global_store_b64 v[2:3], v[4:5], off
.LBB22_1797:
	s_mov_b32 s8, 0
.LBB22_1798:
	s_delay_alu instid0(SALU_CYCLE_1)
	s_and_b32 vcc_lo, exec_lo, s8
	s_cbranch_vccz .LBB22_1814
; %bb.1799:
	s_cmp_lt_i32 s3, 27
	s_mov_b32 s7, -1
	s_cbranch_scc1 .LBB22_1805
; %bb.1800:
	s_cmp_gt_i32 s3, 27
	s_cbranch_scc0 .LBB22_1802
; %bb.1801:
	s_wait_xcnt 0x0
	v_cvt_f32_f16_e32 v4, v1
	s_mov_b32 s7, 0
	s_delay_alu instid0(VALU_DEP_1)
	v_cvt_u32_f32_e32 v4, v4
	global_store_b32 v[2:3], v4, off
.LBB22_1802:
	s_and_not1_b32 vcc_lo, exec_lo, s7
	s_cbranch_vccnz .LBB22_1804
; %bb.1803:
	s_wait_xcnt 0x0
	v_cvt_u16_f16_e32 v4, v1
	global_store_b16 v[2:3], v4, off
.LBB22_1804:
	s_mov_b32 s7, 0
.LBB22_1805:
	s_delay_alu instid0(SALU_CYCLE_1)
	s_and_not1_b32 vcc_lo, exec_lo, s7
	s_cbranch_vccnz .LBB22_1813
; %bb.1806:
	s_wait_xcnt 0x0
	v_cvt_f32_f16_e32 v4, v1
	v_mov_b32_e32 v6, 0x80
	s_mov_b32 s7, exec_lo
	s_delay_alu instid0(VALU_DEP_2) | instskip(NEXT) | instid1(VALU_DEP_1)
	v_and_b32_e32 v5, 0x7fffffff, v4
	v_cmpx_gt_u32_e32 0x43800000, v5
	s_cbranch_execz .LBB22_1812
; %bb.1807:
	v_cmp_lt_u32_e32 vcc_lo, 0x3bffffff, v5
	s_mov_b32 s8, 0
                                        ; implicit-def: $vgpr5
	s_and_saveexec_b32 s9, vcc_lo
	s_delay_alu instid0(SALU_CYCLE_1)
	s_xor_b32 s9, exec_lo, s9
	s_cbranch_execz .LBB22_2031
; %bb.1808:
	v_bfe_u32 v5, v4, 20, 1
	s_mov_b32 s8, exec_lo
	s_delay_alu instid0(VALU_DEP_1) | instskip(NEXT) | instid1(VALU_DEP_1)
	v_add3_u32 v5, v4, v5, 0x487ffff
	v_lshrrev_b32_e32 v5, 20, v5
	s_and_not1_saveexec_b32 s9, s9
	s_cbranch_execnz .LBB22_2032
.LBB22_1809:
	s_or_b32 exec_lo, exec_lo, s9
	v_mov_b32_e32 v6, 0
	s_and_saveexec_b32 s9, s8
.LBB22_1810:
	v_lshrrev_b32_e32 v4, 24, v4
	s_delay_alu instid0(VALU_DEP_1)
	v_and_or_b32 v6, 0x80, v4, v5
.LBB22_1811:
	s_or_b32 exec_lo, exec_lo, s9
.LBB22_1812:
	s_delay_alu instid0(SALU_CYCLE_1)
	s_or_b32 exec_lo, exec_lo, s7
	global_store_b8 v[2:3], v6, off
.LBB22_1813:
	s_mov_b32 s7, -1
.LBB22_1814:
	s_mov_b32 s8, 0
.LBB22_1815:
	s_delay_alu instid0(SALU_CYCLE_1)
	s_and_b32 vcc_lo, exec_lo, s8
	s_cbranch_vccz .LBB22_1855
; %bb.1816:
	s_cmp_gt_i32 s3, 22
	s_mov_b32 s6, -1
	s_cbranch_scc0 .LBB22_1848
; %bb.1817:
	s_cmp_lt_i32 s3, 24
	s_cbranch_scc1 .LBB22_1837
; %bb.1818:
	s_cmp_gt_i32 s3, 24
	s_cbranch_scc0 .LBB22_1826
; %bb.1819:
	s_wait_xcnt 0x0
	v_cvt_f32_f16_e32 v4, v1
	v_mov_b32_e32 v6, 0x80
	s_mov_b32 s6, exec_lo
	s_delay_alu instid0(VALU_DEP_2) | instskip(NEXT) | instid1(VALU_DEP_1)
	v_and_b32_e32 v5, 0x7fffffff, v4
	v_cmpx_gt_u32_e32 0x47800000, v5
	s_cbranch_execz .LBB22_1825
; %bb.1820:
	v_cmp_lt_u32_e32 vcc_lo, 0x37ffffff, v5
	s_mov_b32 s7, 0
                                        ; implicit-def: $vgpr5
	s_and_saveexec_b32 s8, vcc_lo
	s_delay_alu instid0(SALU_CYCLE_1)
	s_xor_b32 s8, exec_lo, s8
	s_cbranch_execz .LBB22_2034
; %bb.1821:
	v_bfe_u32 v5, v4, 21, 1
	s_mov_b32 s7, exec_lo
	s_delay_alu instid0(VALU_DEP_1) | instskip(NEXT) | instid1(VALU_DEP_1)
	v_add3_u32 v5, v4, v5, 0x88fffff
	v_lshrrev_b32_e32 v5, 21, v5
	s_and_not1_saveexec_b32 s8, s8
	s_cbranch_execnz .LBB22_2035
.LBB22_1822:
	s_or_b32 exec_lo, exec_lo, s8
	v_mov_b32_e32 v6, 0
	s_and_saveexec_b32 s8, s7
.LBB22_1823:
	v_lshrrev_b32_e32 v4, 24, v4
	s_delay_alu instid0(VALU_DEP_1)
	v_and_or_b32 v6, 0x80, v4, v5
.LBB22_1824:
	s_or_b32 exec_lo, exec_lo, s8
.LBB22_1825:
	s_delay_alu instid0(SALU_CYCLE_1)
	s_or_b32 exec_lo, exec_lo, s6
	s_mov_b32 s6, 0
	global_store_b8 v[2:3], v6, off
.LBB22_1826:
	s_and_b32 vcc_lo, exec_lo, s6
	s_cbranch_vccz .LBB22_1836
; %bb.1827:
	s_wait_xcnt 0x0
	v_cvt_f32_f16_e32 v4, v1
	s_mov_b32 s6, exec_lo
                                        ; implicit-def: $vgpr5
	s_delay_alu instid0(VALU_DEP_1) | instskip(NEXT) | instid1(VALU_DEP_1)
	v_and_b32_e32 v6, 0x7fffffff, v4
	v_cmpx_gt_u32_e32 0x43f00000, v6
	s_xor_b32 s6, exec_lo, s6
	s_cbranch_execz .LBB22_1833
; %bb.1828:
	s_mov_b32 s7, exec_lo
                                        ; implicit-def: $vgpr5
	v_cmpx_lt_u32_e32 0x3c7fffff, v6
	s_xor_b32 s7, exec_lo, s7
; %bb.1829:
	v_bfe_u32 v5, v4, 20, 1
	s_delay_alu instid0(VALU_DEP_1) | instskip(NEXT) | instid1(VALU_DEP_1)
	v_add3_u32 v5, v4, v5, 0x407ffff
	v_and_b32_e32 v6, 0xff00000, v5
	v_lshrrev_b32_e32 v5, 20, v5
	s_delay_alu instid0(VALU_DEP_2) | instskip(NEXT) | instid1(VALU_DEP_2)
	v_cmp_ne_u32_e32 vcc_lo, 0x7f00000, v6
	v_cndmask_b32_e32 v5, 0x7e, v5, vcc_lo
; %bb.1830:
	s_and_not1_saveexec_b32 s7, s7
; %bb.1831:
	v_add_f32_e64 v5, 0x46800000, |v4|
; %bb.1832:
	s_or_b32 exec_lo, exec_lo, s7
                                        ; implicit-def: $vgpr6
.LBB22_1833:
	s_and_not1_saveexec_b32 s6, s6
; %bb.1834:
	v_mov_b32_e32 v5, 0x7f
	v_cmp_lt_u32_e32 vcc_lo, 0x7f800000, v6
	s_delay_alu instid0(VALU_DEP_2)
	v_cndmask_b32_e32 v5, 0x7e, v5, vcc_lo
; %bb.1835:
	s_or_b32 exec_lo, exec_lo, s6
	v_lshrrev_b32_e32 v4, 24, v4
	s_delay_alu instid0(VALU_DEP_1)
	v_and_or_b32 v4, 0x80, v4, v5
	global_store_b8 v[2:3], v4, off
.LBB22_1836:
	s_mov_b32 s6, 0
.LBB22_1837:
	s_delay_alu instid0(SALU_CYCLE_1)
	s_and_not1_b32 vcc_lo, exec_lo, s6
	s_cbranch_vccnz .LBB22_1847
; %bb.1838:
	s_wait_xcnt 0x0
	v_cvt_f32_f16_e32 v4, v1
	s_mov_b32 s6, exec_lo
                                        ; implicit-def: $vgpr5
	s_delay_alu instid0(VALU_DEP_1) | instskip(NEXT) | instid1(VALU_DEP_1)
	v_and_b32_e32 v6, 0x7fffffff, v4
	v_cmpx_gt_u32_e32 0x47800000, v6
	s_xor_b32 s6, exec_lo, s6
	s_cbranch_execz .LBB22_1844
; %bb.1839:
	s_mov_b32 s7, exec_lo
                                        ; implicit-def: $vgpr5
	v_cmpx_lt_u32_e32 0x387fffff, v6
	s_xor_b32 s7, exec_lo, s7
; %bb.1840:
	v_bfe_u32 v5, v4, 21, 1
	s_delay_alu instid0(VALU_DEP_1) | instskip(NEXT) | instid1(VALU_DEP_1)
	v_add3_u32 v5, v4, v5, 0x80fffff
	v_lshrrev_b32_e32 v5, 21, v5
; %bb.1841:
	s_and_not1_saveexec_b32 s7, s7
; %bb.1842:
	v_add_f32_e64 v5, 0x43000000, |v4|
; %bb.1843:
	s_or_b32 exec_lo, exec_lo, s7
                                        ; implicit-def: $vgpr6
.LBB22_1844:
	s_and_not1_saveexec_b32 s6, s6
; %bb.1845:
	v_mov_b32_e32 v5, 0x7f
	v_cmp_lt_u32_e32 vcc_lo, 0x7f800000, v6
	s_delay_alu instid0(VALU_DEP_2)
	v_cndmask_b32_e32 v5, 0x7c, v5, vcc_lo
; %bb.1846:
	s_or_b32 exec_lo, exec_lo, s6
	v_lshrrev_b32_e32 v4, 24, v4
	s_delay_alu instid0(VALU_DEP_1)
	v_and_or_b32 v4, 0x80, v4, v5
	global_store_b8 v[2:3], v4, off
.LBB22_1847:
	s_mov_b32 s6, 0
	s_mov_b32 s7, -1
.LBB22_1848:
	s_and_not1_b32 vcc_lo, exec_lo, s6
	s_mov_b32 s6, 0
	s_cbranch_vccnz .LBB22_1855
; %bb.1849:
	s_cmp_gt_i32 s3, 14
	s_mov_b32 s6, -1
	s_cbranch_scc0 .LBB22_1853
; %bb.1850:
	s_cmp_eq_u32 s3, 15
	s_mov_b32 s0, -1
	s_cbranch_scc0 .LBB22_1852
; %bb.1851:
	s_wait_xcnt 0x0
	v_cvt_f32_f16_e32 v4, v1
	v_cmp_o_f16_e32 vcc_lo, v1, v1
	s_mov_b32 s0, 0
	s_mov_b32 s7, -1
	s_delay_alu instid0(VALU_DEP_2) | instskip(NEXT) | instid1(VALU_DEP_1)
	v_bfe_u32 v5, v4, 16, 1
	v_add3_u32 v4, v4, v5, 0x7fff
	s_delay_alu instid0(VALU_DEP_1) | instskip(NEXT) | instid1(VALU_DEP_1)
	v_lshrrev_b32_e32 v4, 16, v4
	v_cndmask_b32_e32 v4, 0x7fc0, v4, vcc_lo
	global_store_b16 v[2:3], v4, off
.LBB22_1852:
	s_mov_b32 s6, 0
.LBB22_1853:
	s_delay_alu instid0(SALU_CYCLE_1)
	s_and_b32 vcc_lo, exec_lo, s6
	s_mov_b32 s6, 0
	s_cbranch_vccz .LBB22_1855
; %bb.1854:
	s_cmp_lg_u32 s3, 11
	s_mov_b32 s6, -1
	s_cselect_b32 s0, -1, 0
.LBB22_1855:
	s_delay_alu instid0(SALU_CYCLE_1)
	s_and_b32 vcc_lo, exec_lo, s0
	s_cbranch_vccnz .LBB22_2033
; %bb.1856:
	s_and_not1_b32 vcc_lo, exec_lo, s6
	s_cbranch_vccnz .LBB22_1858
.LBB22_1857:
	s_wait_xcnt 0x0
	v_and_b32_e32 v4, 0x7fff, v1
	s_mov_b32 s7, -1
	s_delay_alu instid0(VALU_DEP_1)
	v_cmp_ne_u16_e32 vcc_lo, 0, v4
	v_cndmask_b32_e64 v4, 0, 1, vcc_lo
	global_store_b8 v[2:3], v4, off
.LBB22_1858:
.LBB22_1859:
	s_and_not1_b32 vcc_lo, exec_lo, s7
	s_cbranch_vccnz .LBB22_1975
.LBB22_1860:
	v_add_nc_u32_e32 v0, s2, v0
	v_cmp_nge_f16_e64 s0, v8, -s10
	v_cmp_nge_f16_e32 vcc_lo, s10, v8
	s_mov_b32 s3, 0
	s_wait_xcnt 0x0
	v_ashrrev_i32_e32 v1, 31, v0
	s_or_b32 vcc_lo, s0, vcc_lo
	s_cmp_lt_i32 s13, 11
	v_cndmask_b32_e32 v2, 0, v8, vcc_lo
	s_delay_alu instid0(VALU_DEP_2)
	v_add_nc_u64_e32 v[0:1], s[4:5], v[0:1]
	s_mov_b32 s0, -1
	s_cbranch_scc1 .LBB22_1976
; %bb.1861:
	s_and_b32 s2, 0xffff, s13
	s_mov_b32 s4, -1
	s_cmp_gt_i32 s2, 25
	s_mov_b32 s0, 0
	s_cbranch_scc0 .LBB22_1894
; %bb.1862:
	s_cmp_gt_i32 s2, 28
	s_cbranch_scc0 .LBB22_1878
; %bb.1863:
	s_cmp_gt_i32 s2, 43
	;; [unrolled: 3-line block ×3, first 2 shown]
	s_cbranch_scc0 .LBB22_1868
; %bb.1865:
	s_cmp_eq_u32 s2, 46
	s_mov_b32 s0, -1
	s_cbranch_scc0 .LBB22_1867
; %bb.1866:
	v_cvt_f32_f16_e32 v3, v2
	v_cmp_o_f16_e32 vcc_lo, v2, v2
	s_mov_b32 s0, 0
	s_delay_alu instid0(VALU_DEP_2) | instskip(NEXT) | instid1(VALU_DEP_1)
	v_bfe_u32 v4, v3, 16, 1
	v_add3_u32 v3, v3, v4, 0x7fff
	s_delay_alu instid0(VALU_DEP_1) | instskip(NEXT) | instid1(VALU_DEP_1)
	v_lshrrev_b32_e32 v3, 16, v3
	v_cndmask_b32_e32 v3, 0x7fc0, v3, vcc_lo
	global_store_b32 v[0:1], v3, off
.LBB22_1867:
	s_mov_b32 s4, 0
.LBB22_1868:
	s_delay_alu instid0(SALU_CYCLE_1)
	s_and_b32 vcc_lo, exec_lo, s4
	s_cbranch_vccz .LBB22_1873
; %bb.1869:
	s_cmp_eq_u32 s2, 44
	s_mov_b32 s0, -1
	s_cbranch_scc0 .LBB22_1873
; %bb.1870:
	s_wait_xcnt 0x0
	v_cvt_f32_f16_e32 v3, v2
	v_mov_b32_e32 v4, 0xff
	s_mov_b32 s4, exec_lo
	s_delay_alu instid0(VALU_DEP_2) | instskip(NEXT) | instid1(VALU_DEP_1)
	v_bfe_u32 v5, v3, 23, 8
	v_cmpx_ne_u32_e32 0xff, v5
	s_cbranch_execz .LBB22_1872
; %bb.1871:
	v_and_b32_e32 v4, 0x400000, v3
	v_and_or_b32 v5, 0x3fffff, v3, v5
	v_lshrrev_b32_e32 v3, 23, v3
	s_delay_alu instid0(VALU_DEP_3) | instskip(NEXT) | instid1(VALU_DEP_3)
	v_cmp_ne_u32_e32 vcc_lo, 0, v4
	v_cmp_ne_u32_e64 s0, 0, v5
	s_and_b32 s0, vcc_lo, s0
	s_delay_alu instid0(SALU_CYCLE_1) | instskip(NEXT) | instid1(VALU_DEP_1)
	v_cndmask_b32_e64 v4, 0, 1, s0
	v_add_nc_u32_e32 v4, v3, v4
.LBB22_1872:
	s_or_b32 exec_lo, exec_lo, s4
	s_mov_b32 s0, 0
	global_store_b8 v[0:1], v4, off
.LBB22_1873:
	s_mov_b32 s4, 0
.LBB22_1874:
	s_delay_alu instid0(SALU_CYCLE_1)
	s_and_b32 vcc_lo, exec_lo, s4
	s_cbranch_vccz .LBB22_1877
; %bb.1875:
	s_cmp_eq_u32 s2, 29
	s_mov_b32 s0, -1
	s_cbranch_scc0 .LBB22_1877
; %bb.1876:
	s_wait_xcnt 0x0
	v_cvt_f32_f16_e32 v3, v2
	v_mov_b32_e32 v5, 0
	s_mov_b32 s0, 0
	s_delay_alu instid0(VALU_DEP_2)
	v_cvt_u32_f32_e32 v4, v3
	global_store_b64 v[0:1], v[4:5], off
.LBB22_1877:
	s_mov_b32 s4, 0
.LBB22_1878:
	s_delay_alu instid0(SALU_CYCLE_1)
	s_and_b32 vcc_lo, exec_lo, s4
	s_cbranch_vccz .LBB22_1893
; %bb.1879:
	s_cmp_lt_i32 s2, 27
	s_mov_b32 s4, -1
	s_cbranch_scc1 .LBB22_1885
; %bb.1880:
	s_cmp_gt_i32 s2, 27
	s_cbranch_scc0 .LBB22_1882
; %bb.1881:
	s_wait_xcnt 0x0
	v_cvt_f32_f16_e32 v3, v2
	s_mov_b32 s4, 0
	s_delay_alu instid0(VALU_DEP_1)
	v_cvt_u32_f32_e32 v3, v3
	global_store_b32 v[0:1], v3, off
.LBB22_1882:
	s_and_not1_b32 vcc_lo, exec_lo, s4
	s_cbranch_vccnz .LBB22_1884
; %bb.1883:
	s_wait_xcnt 0x0
	v_cvt_u16_f16_e32 v3, v2
	global_store_b16 v[0:1], v3, off
.LBB22_1884:
	s_mov_b32 s4, 0
.LBB22_1885:
	s_delay_alu instid0(SALU_CYCLE_1)
	s_and_not1_b32 vcc_lo, exec_lo, s4
	s_cbranch_vccnz .LBB22_1893
; %bb.1886:
	s_wait_xcnt 0x0
	v_cvt_f32_f16_e32 v3, v2
	v_mov_b32_e32 v5, 0x80
	s_mov_b32 s4, exec_lo
	s_delay_alu instid0(VALU_DEP_2) | instskip(NEXT) | instid1(VALU_DEP_1)
	v_and_b32_e32 v4, 0x7fffffff, v3
	v_cmpx_gt_u32_e32 0x43800000, v4
	s_cbranch_execz .LBB22_1892
; %bb.1887:
	v_cmp_lt_u32_e32 vcc_lo, 0x3bffffff, v4
	s_mov_b32 s5, 0
                                        ; implicit-def: $vgpr4
	s_and_saveexec_b32 s6, vcc_lo
	s_delay_alu instid0(SALU_CYCLE_1)
	s_xor_b32 s6, exec_lo, s6
	s_cbranch_execz .LBB22_2036
; %bb.1888:
	v_bfe_u32 v4, v3, 20, 1
	s_mov_b32 s5, exec_lo
	s_delay_alu instid0(VALU_DEP_1) | instskip(NEXT) | instid1(VALU_DEP_1)
	v_add3_u32 v4, v3, v4, 0x487ffff
	v_lshrrev_b32_e32 v4, 20, v4
	s_and_not1_saveexec_b32 s6, s6
	s_cbranch_execnz .LBB22_2037
.LBB22_1889:
	s_or_b32 exec_lo, exec_lo, s6
	v_mov_b32_e32 v5, 0
	s_and_saveexec_b32 s6, s5
.LBB22_1890:
	v_lshrrev_b32_e32 v3, 24, v3
	s_delay_alu instid0(VALU_DEP_1)
	v_and_or_b32 v5, 0x80, v3, v4
.LBB22_1891:
	s_or_b32 exec_lo, exec_lo, s6
.LBB22_1892:
	s_delay_alu instid0(SALU_CYCLE_1)
	s_or_b32 exec_lo, exec_lo, s4
	global_store_b8 v[0:1], v5, off
.LBB22_1893:
	s_mov_b32 s4, 0
.LBB22_1894:
	s_delay_alu instid0(SALU_CYCLE_1)
	s_and_b32 vcc_lo, exec_lo, s4
	s_cbranch_vccz .LBB22_1934
; %bb.1895:
	s_cmp_gt_i32 s2, 22
	s_mov_b32 s3, -1
	s_cbranch_scc0 .LBB22_1927
; %bb.1896:
	s_cmp_lt_i32 s2, 24
	s_cbranch_scc1 .LBB22_1916
; %bb.1897:
	s_cmp_gt_i32 s2, 24
	s_cbranch_scc0 .LBB22_1905
; %bb.1898:
	s_wait_xcnt 0x0
	v_cvt_f32_f16_e32 v3, v2
	v_mov_b32_e32 v5, 0x80
	s_mov_b32 s3, exec_lo
	s_delay_alu instid0(VALU_DEP_2) | instskip(NEXT) | instid1(VALU_DEP_1)
	v_and_b32_e32 v4, 0x7fffffff, v3
	v_cmpx_gt_u32_e32 0x47800000, v4
	s_cbranch_execz .LBB22_1904
; %bb.1899:
	v_cmp_lt_u32_e32 vcc_lo, 0x37ffffff, v4
	s_mov_b32 s4, 0
                                        ; implicit-def: $vgpr4
	s_and_saveexec_b32 s5, vcc_lo
	s_delay_alu instid0(SALU_CYCLE_1)
	s_xor_b32 s5, exec_lo, s5
	s_cbranch_execz .LBB22_2039
; %bb.1900:
	v_bfe_u32 v4, v3, 21, 1
	s_mov_b32 s4, exec_lo
	s_delay_alu instid0(VALU_DEP_1) | instskip(NEXT) | instid1(VALU_DEP_1)
	v_add3_u32 v4, v3, v4, 0x88fffff
	v_lshrrev_b32_e32 v4, 21, v4
	s_and_not1_saveexec_b32 s5, s5
	s_cbranch_execnz .LBB22_2040
.LBB22_1901:
	s_or_b32 exec_lo, exec_lo, s5
	v_mov_b32_e32 v5, 0
	s_and_saveexec_b32 s5, s4
.LBB22_1902:
	v_lshrrev_b32_e32 v3, 24, v3
	s_delay_alu instid0(VALU_DEP_1)
	v_and_or_b32 v5, 0x80, v3, v4
.LBB22_1903:
	s_or_b32 exec_lo, exec_lo, s5
.LBB22_1904:
	s_delay_alu instid0(SALU_CYCLE_1)
	s_or_b32 exec_lo, exec_lo, s3
	s_mov_b32 s3, 0
	global_store_b8 v[0:1], v5, off
.LBB22_1905:
	s_and_b32 vcc_lo, exec_lo, s3
	s_cbranch_vccz .LBB22_1915
; %bb.1906:
	s_wait_xcnt 0x0
	v_cvt_f32_f16_e32 v3, v2
	s_mov_b32 s3, exec_lo
                                        ; implicit-def: $vgpr4
	s_delay_alu instid0(VALU_DEP_1) | instskip(NEXT) | instid1(VALU_DEP_1)
	v_and_b32_e32 v5, 0x7fffffff, v3
	v_cmpx_gt_u32_e32 0x43f00000, v5
	s_xor_b32 s3, exec_lo, s3
	s_cbranch_execz .LBB22_1912
; %bb.1907:
	s_mov_b32 s4, exec_lo
                                        ; implicit-def: $vgpr4
	v_cmpx_lt_u32_e32 0x3c7fffff, v5
	s_xor_b32 s4, exec_lo, s4
; %bb.1908:
	v_bfe_u32 v4, v3, 20, 1
	s_delay_alu instid0(VALU_DEP_1) | instskip(NEXT) | instid1(VALU_DEP_1)
	v_add3_u32 v4, v3, v4, 0x407ffff
	v_and_b32_e32 v5, 0xff00000, v4
	v_lshrrev_b32_e32 v4, 20, v4
	s_delay_alu instid0(VALU_DEP_2) | instskip(NEXT) | instid1(VALU_DEP_2)
	v_cmp_ne_u32_e32 vcc_lo, 0x7f00000, v5
	v_cndmask_b32_e32 v4, 0x7e, v4, vcc_lo
; %bb.1909:
	s_and_not1_saveexec_b32 s4, s4
; %bb.1910:
	v_add_f32_e64 v4, 0x46800000, |v3|
; %bb.1911:
	s_or_b32 exec_lo, exec_lo, s4
                                        ; implicit-def: $vgpr5
.LBB22_1912:
	s_and_not1_saveexec_b32 s3, s3
; %bb.1913:
	v_mov_b32_e32 v4, 0x7f
	v_cmp_lt_u32_e32 vcc_lo, 0x7f800000, v5
	s_delay_alu instid0(VALU_DEP_2)
	v_cndmask_b32_e32 v4, 0x7e, v4, vcc_lo
; %bb.1914:
	s_or_b32 exec_lo, exec_lo, s3
	v_lshrrev_b32_e32 v3, 24, v3
	s_delay_alu instid0(VALU_DEP_1)
	v_and_or_b32 v3, 0x80, v3, v4
	global_store_b8 v[0:1], v3, off
.LBB22_1915:
	s_mov_b32 s3, 0
.LBB22_1916:
	s_delay_alu instid0(SALU_CYCLE_1)
	s_and_not1_b32 vcc_lo, exec_lo, s3
	s_cbranch_vccnz .LBB22_1926
; %bb.1917:
	s_wait_xcnt 0x0
	v_cvt_f32_f16_e32 v3, v2
	s_mov_b32 s3, exec_lo
                                        ; implicit-def: $vgpr4
	s_delay_alu instid0(VALU_DEP_1) | instskip(NEXT) | instid1(VALU_DEP_1)
	v_and_b32_e32 v5, 0x7fffffff, v3
	v_cmpx_gt_u32_e32 0x47800000, v5
	s_xor_b32 s3, exec_lo, s3
	s_cbranch_execz .LBB22_1923
; %bb.1918:
	s_mov_b32 s4, exec_lo
                                        ; implicit-def: $vgpr4
	v_cmpx_lt_u32_e32 0x387fffff, v5
	s_xor_b32 s4, exec_lo, s4
; %bb.1919:
	v_bfe_u32 v4, v3, 21, 1
	s_delay_alu instid0(VALU_DEP_1) | instskip(NEXT) | instid1(VALU_DEP_1)
	v_add3_u32 v4, v3, v4, 0x80fffff
	v_lshrrev_b32_e32 v4, 21, v4
; %bb.1920:
	s_and_not1_saveexec_b32 s4, s4
; %bb.1921:
	v_add_f32_e64 v4, 0x43000000, |v3|
; %bb.1922:
	s_or_b32 exec_lo, exec_lo, s4
                                        ; implicit-def: $vgpr5
.LBB22_1923:
	s_and_not1_saveexec_b32 s3, s3
; %bb.1924:
	v_mov_b32_e32 v4, 0x7f
	v_cmp_lt_u32_e32 vcc_lo, 0x7f800000, v5
	s_delay_alu instid0(VALU_DEP_2)
	v_cndmask_b32_e32 v4, 0x7c, v4, vcc_lo
; %bb.1925:
	s_or_b32 exec_lo, exec_lo, s3
	v_lshrrev_b32_e32 v3, 24, v3
	s_delay_alu instid0(VALU_DEP_1)
	v_and_or_b32 v3, 0x80, v3, v4
	global_store_b8 v[0:1], v3, off
.LBB22_1926:
	s_mov_b32 s3, 0
.LBB22_1927:
	s_delay_alu instid0(SALU_CYCLE_1)
	s_and_not1_b32 vcc_lo, exec_lo, s3
	s_mov_b32 s3, 0
	s_cbranch_vccnz .LBB22_1934
; %bb.1928:
	s_cmp_gt_i32 s2, 14
	s_mov_b32 s3, -1
	s_cbranch_scc0 .LBB22_1932
; %bb.1929:
	s_cmp_eq_u32 s2, 15
	s_mov_b32 s0, -1
	s_cbranch_scc0 .LBB22_1931
; %bb.1930:
	s_wait_xcnt 0x0
	v_cvt_f32_f16_e32 v3, v2
	v_cmp_o_f16_e32 vcc_lo, v2, v2
	s_mov_b32 s0, 0
	s_delay_alu instid0(VALU_DEP_2) | instskip(NEXT) | instid1(VALU_DEP_1)
	v_bfe_u32 v4, v3, 16, 1
	v_add3_u32 v3, v3, v4, 0x7fff
	s_delay_alu instid0(VALU_DEP_1) | instskip(NEXT) | instid1(VALU_DEP_1)
	v_lshrrev_b32_e32 v3, 16, v3
	v_cndmask_b32_e32 v3, 0x7fc0, v3, vcc_lo
	global_store_b16 v[0:1], v3, off
.LBB22_1931:
	s_mov_b32 s3, 0
.LBB22_1932:
	s_delay_alu instid0(SALU_CYCLE_1)
	s_and_b32 vcc_lo, exec_lo, s3
	s_mov_b32 s3, 0
	s_cbranch_vccz .LBB22_1934
; %bb.1933:
	s_cmp_lg_u32 s2, 11
	s_mov_b32 s3, -1
	s_cselect_b32 s0, -1, 0
.LBB22_1934:
	s_delay_alu instid0(SALU_CYCLE_1)
	s_and_b32 vcc_lo, exec_lo, s0
	s_cbranch_vccnz .LBB22_2038
.LBB22_1935:
	s_mov_b32 s0, 0
	s_branch .LBB22_1976
.LBB22_1936:
	s_and_b32 vcc_lo, exec_lo, s0
	s_cbranch_vccz .LBB22_1859
; %bb.1937:
	s_and_b32 s0, 0xffff, s13
	s_mov_b32 s3, -1
	s_cmp_lt_i32 s0, 5
	s_cbranch_scc1 .LBB22_1958
; %bb.1938:
	s_cmp_lt_i32 s0, 8
	s_cbranch_scc1 .LBB22_1948
; %bb.1939:
	;; [unrolled: 3-line block ×3, first 2 shown]
	s_cmp_gt_i32 s0, 9
	s_cbranch_scc0 .LBB22_1942
; %bb.1941:
	s_wait_xcnt 0x0
	v_cvt_f32_f16_e32 v4, v1
	v_mov_b32_e32 v6, 0
	s_mov_b32 s3, 0
	s_delay_alu instid0(VALU_DEP_2) | instskip(NEXT) | instid1(VALU_DEP_2)
	v_cvt_f64_f32_e32 v[4:5], v4
	v_mov_b32_e32 v7, v6
	global_store_b128 v[2:3], v[4:7], off
.LBB22_1942:
	s_and_not1_b32 vcc_lo, exec_lo, s3
	s_cbranch_vccnz .LBB22_1944
; %bb.1943:
	s_wait_xcnt 0x0
	v_cvt_f32_f16_e32 v4, v1
	v_mov_b32_e32 v5, 0
	global_store_b64 v[2:3], v[4:5], off
.LBB22_1944:
	s_mov_b32 s3, 0
.LBB22_1945:
	s_delay_alu instid0(SALU_CYCLE_1)
	s_and_not1_b32 vcc_lo, exec_lo, s3
	s_cbranch_vccnz .LBB22_1947
; %bb.1946:
	s_wait_xcnt 0x0
	v_and_b32_e32 v4, 0xffff, v1
	global_store_b32 v[2:3], v4, off
.LBB22_1947:
	s_mov_b32 s3, 0
.LBB22_1948:
	s_delay_alu instid0(SALU_CYCLE_1)
	s_and_not1_b32 vcc_lo, exec_lo, s3
	s_cbranch_vccnz .LBB22_1957
; %bb.1949:
	s_cmp_lt_i32 s0, 6
	s_mov_b32 s3, -1
	s_cbranch_scc1 .LBB22_1955
; %bb.1950:
	s_cmp_gt_i32 s0, 6
	s_cbranch_scc0 .LBB22_1952
; %bb.1951:
	s_wait_xcnt 0x0
	v_cvt_f32_f16_e32 v4, v1
	s_mov_b32 s3, 0
	s_delay_alu instid0(VALU_DEP_1)
	v_cvt_f64_f32_e32 v[4:5], v4
	global_store_b64 v[2:3], v[4:5], off
.LBB22_1952:
	s_and_not1_b32 vcc_lo, exec_lo, s3
	s_cbranch_vccnz .LBB22_1954
; %bb.1953:
	s_wait_xcnt 0x0
	v_cvt_f32_f16_e32 v4, v1
	global_store_b32 v[2:3], v4, off
.LBB22_1954:
	s_mov_b32 s3, 0
.LBB22_1955:
	s_delay_alu instid0(SALU_CYCLE_1)
	s_and_not1_b32 vcc_lo, exec_lo, s3
	s_cbranch_vccnz .LBB22_1957
; %bb.1956:
	global_store_b16 v[2:3], v1, off
.LBB22_1957:
	s_mov_b32 s3, 0
.LBB22_1958:
	s_delay_alu instid0(SALU_CYCLE_1)
	s_and_not1_b32 vcc_lo, exec_lo, s3
	s_cbranch_vccnz .LBB22_1974
; %bb.1959:
	s_cmp_lt_i32 s0, 2
	s_mov_b32 s3, -1
	s_cbranch_scc1 .LBB22_1969
; %bb.1960:
	s_cmp_lt_i32 s0, 3
	s_cbranch_scc1 .LBB22_1966
; %bb.1961:
	s_cmp_gt_i32 s0, 3
	s_cbranch_scc0 .LBB22_1963
; %bb.1962:
	s_wait_xcnt 0x0
	v_cvt_f32_f16_e32 v4, v1
	s_mov_b32 s3, 0
	s_delay_alu instid0(VALU_DEP_1) | instskip(NEXT) | instid1(VALU_DEP_1)
	v_cvt_i32_f32_e32 v4, v4
	v_ashrrev_i32_e32 v5, 31, v4
	global_store_b64 v[2:3], v[4:5], off
.LBB22_1963:
	s_and_not1_b32 vcc_lo, exec_lo, s3
	s_cbranch_vccnz .LBB22_1965
; %bb.1964:
	s_wait_xcnt 0x0
	v_cvt_f32_f16_e32 v4, v1
	s_delay_alu instid0(VALU_DEP_1)
	v_cvt_i32_f32_e32 v4, v4
	global_store_b32 v[2:3], v4, off
.LBB22_1965:
	s_mov_b32 s3, 0
.LBB22_1966:
	s_delay_alu instid0(SALU_CYCLE_1)
	s_and_not1_b32 vcc_lo, exec_lo, s3
	s_cbranch_vccnz .LBB22_1968
; %bb.1967:
	s_wait_xcnt 0x0
	v_cvt_i16_f16_e32 v4, v1
	global_store_b16 v[2:3], v4, off
.LBB22_1968:
	s_mov_b32 s3, 0
.LBB22_1969:
	s_delay_alu instid0(SALU_CYCLE_1)
	s_and_not1_b32 vcc_lo, exec_lo, s3
	s_cbranch_vccnz .LBB22_1974
; %bb.1970:
	s_cmp_gt_i32 s0, 0
	s_mov_b32 s0, -1
	s_cbranch_scc0 .LBB22_1972
; %bb.1971:
	s_wait_xcnt 0x0
	v_cvt_i16_f16_e32 v4, v1
	s_mov_b32 s0, 0
	global_store_b8 v[2:3], v4, off
.LBB22_1972:
	s_and_not1_b32 vcc_lo, exec_lo, s0
	s_cbranch_vccnz .LBB22_1974
; %bb.1973:
	s_wait_xcnt 0x0
	v_cvt_f32_f16_e32 v1, v1
	s_delay_alu instid0(VALU_DEP_1)
	v_cvt_i32_f32_e32 v1, v1
	global_store_b8 v[2:3], v1, off
.LBB22_1974:
	s_branch .LBB22_1860
.LBB22_1975:
	s_mov_b32 s0, 0
	s_mov_b32 s3, 0
                                        ; implicit-def: $sgpr13
                                        ; implicit-def: $vgpr0_vgpr1
                                        ; implicit-def: $vgpr2
.LBB22_1976:
	s_and_not1_b32 s2, s12, exec_lo
	s_and_b32 s4, s1, exec_lo
	s_and_b32 s0, s0, exec_lo
	;; [unrolled: 1-line block ×3, first 2 shown]
	s_or_b32 s12, s2, s4
.LBB22_1977:
	s_wait_xcnt 0x0
	s_or_b32 exec_lo, exec_lo, s11
	s_and_saveexec_b32 s2, s12
	s_cbranch_execz .LBB22_1980
; %bb.1978:
	; divergent unreachable
	s_or_b32 exec_lo, exec_lo, s2
	s_and_saveexec_b32 s2, s1
	s_delay_alu instid0(SALU_CYCLE_1)
	s_xor_b32 s1, exec_lo, s2
	s_cbranch_execnz .LBB22_1981
.LBB22_1979:
	s_or_b32 exec_lo, exec_lo, s1
	s_and_saveexec_b32 s1, s0
	s_cbranch_execnz .LBB22_1982
	s_branch .LBB22_2019
.LBB22_1980:
	s_or_b32 exec_lo, exec_lo, s2
	s_and_saveexec_b32 s2, s1
	s_delay_alu instid0(SALU_CYCLE_1)
	s_xor_b32 s1, exec_lo, s2
	s_cbranch_execz .LBB22_1979
.LBB22_1981:
	s_wait_loadcnt 0x0
	v_and_b32_e32 v3, 0x7fff, v2
	s_delay_alu instid0(VALU_DEP_1)
	v_cmp_ne_u16_e32 vcc_lo, 0, v3
	v_cndmask_b32_e64 v3, 0, 1, vcc_lo
	global_store_b8 v[0:1], v3, off
	s_wait_xcnt 0x0
	s_or_b32 exec_lo, exec_lo, s1
	s_and_saveexec_b32 s1, s0
	s_cbranch_execz .LBB22_2019
.LBB22_1982:
	s_sext_i32_i16 s1, s13
	s_mov_b32 s0, -1
	s_cmp_lt_i32 s1, 5
	s_cbranch_scc1 .LBB22_2003
; %bb.1983:
	s_cmp_lt_i32 s1, 8
	s_cbranch_scc1 .LBB22_1993
; %bb.1984:
	s_cmp_lt_i32 s1, 9
	s_cbranch_scc1 .LBB22_1990
; %bb.1985:
	s_cmp_gt_i32 s1, 9
	s_cbranch_scc0 .LBB22_1987
; %bb.1986:
	s_wait_loadcnt 0x0
	v_cvt_f32_f16_e32 v3, v2
	v_mov_b32_e32 v6, 0
	s_mov_b32 s0, 0
	s_delay_alu instid0(VALU_DEP_2) | instskip(NEXT) | instid1(VALU_DEP_2)
	v_cvt_f64_f32_e32 v[4:5], v3
	v_mov_b32_e32 v7, v6
	global_store_b128 v[0:1], v[4:7], off
.LBB22_1987:
	s_and_not1_b32 vcc_lo, exec_lo, s0
	s_cbranch_vccnz .LBB22_1989
; %bb.1988:
	s_wait_loadcnt 0x0
	v_cvt_f32_f16_e32 v4, v2
	v_mov_b32_e32 v5, 0
	global_store_b64 v[0:1], v[4:5], off
.LBB22_1989:
	s_mov_b32 s0, 0
.LBB22_1990:
	s_delay_alu instid0(SALU_CYCLE_1)
	s_and_not1_b32 vcc_lo, exec_lo, s0
	s_cbranch_vccnz .LBB22_1992
; %bb.1991:
	s_wait_loadcnt 0x0
	v_and_b32_e32 v3, 0xffff, v2
	global_store_b32 v[0:1], v3, off
.LBB22_1992:
	s_mov_b32 s0, 0
.LBB22_1993:
	s_delay_alu instid0(SALU_CYCLE_1)
	s_and_not1_b32 vcc_lo, exec_lo, s0
	s_cbranch_vccnz .LBB22_2002
; %bb.1994:
	s_sext_i32_i16 s1, s13
	s_mov_b32 s0, -1
	s_cmp_lt_i32 s1, 6
	s_cbranch_scc1 .LBB22_2000
; %bb.1995:
	s_cmp_gt_i32 s1, 6
	s_cbranch_scc0 .LBB22_1997
; %bb.1996:
	s_wait_loadcnt 0x0
	v_cvt_f32_f16_e32 v3, v2
	s_mov_b32 s0, 0
	s_delay_alu instid0(VALU_DEP_1)
	v_cvt_f64_f32_e32 v[4:5], v3
	global_store_b64 v[0:1], v[4:5], off
.LBB22_1997:
	s_and_not1_b32 vcc_lo, exec_lo, s0
	s_cbranch_vccnz .LBB22_1999
; %bb.1998:
	s_wait_loadcnt 0x0
	v_cvt_f32_f16_e32 v3, v2
	global_store_b32 v[0:1], v3, off
.LBB22_1999:
	s_mov_b32 s0, 0
.LBB22_2000:
	s_delay_alu instid0(SALU_CYCLE_1)
	s_and_not1_b32 vcc_lo, exec_lo, s0
	s_cbranch_vccnz .LBB22_2002
; %bb.2001:
	s_wait_loadcnt 0x0
	global_store_b16 v[0:1], v2, off
.LBB22_2002:
	s_mov_b32 s0, 0
.LBB22_2003:
	s_delay_alu instid0(SALU_CYCLE_1)
	s_and_not1_b32 vcc_lo, exec_lo, s0
	s_cbranch_vccnz .LBB22_2019
; %bb.2004:
	s_sext_i32_i16 s1, s13
	s_mov_b32 s0, -1
	s_cmp_lt_i32 s1, 2
	s_cbranch_scc1 .LBB22_2014
; %bb.2005:
	s_cmp_lt_i32 s1, 3
	s_cbranch_scc1 .LBB22_2011
; %bb.2006:
	s_cmp_gt_i32 s1, 3
	s_cbranch_scc0 .LBB22_2008
; %bb.2007:
	s_wait_loadcnt 0x0
	v_cvt_f32_f16_e32 v3, v2
	s_mov_b32 s0, 0
	s_delay_alu instid0(VALU_DEP_1) | instskip(NEXT) | instid1(VALU_DEP_1)
	v_cvt_i32_f32_e32 v4, v3
	v_ashrrev_i32_e32 v5, 31, v4
	global_store_b64 v[0:1], v[4:5], off
.LBB22_2008:
	s_and_not1_b32 vcc_lo, exec_lo, s0
	s_cbranch_vccnz .LBB22_2010
; %bb.2009:
	s_wait_loadcnt 0x0
	v_cvt_f32_f16_e32 v3, v2
	s_delay_alu instid0(VALU_DEP_1)
	v_cvt_i32_f32_e32 v3, v3
	global_store_b32 v[0:1], v3, off
.LBB22_2010:
	s_mov_b32 s0, 0
.LBB22_2011:
	s_delay_alu instid0(SALU_CYCLE_1)
	s_and_not1_b32 vcc_lo, exec_lo, s0
	s_cbranch_vccnz .LBB22_2013
; %bb.2012:
	s_wait_loadcnt 0x0
	v_cvt_i16_f16_e32 v3, v2
	global_store_b16 v[0:1], v3, off
.LBB22_2013:
	s_mov_b32 s0, 0
.LBB22_2014:
	s_delay_alu instid0(SALU_CYCLE_1)
	s_and_not1_b32 vcc_lo, exec_lo, s0
	s_cbranch_vccnz .LBB22_2019
; %bb.2015:
	s_sext_i32_i16 s0, s13
	s_delay_alu instid0(SALU_CYCLE_1)
	s_cmp_gt_i32 s0, 0
	s_mov_b32 s0, -1
	s_cbranch_scc0 .LBB22_2017
; %bb.2016:
	s_wait_loadcnt 0x0
	v_cvt_i16_f16_e32 v3, v2
	s_mov_b32 s0, 0
	global_store_b8 v[0:1], v3, off
.LBB22_2017:
	s_and_not1_b32 vcc_lo, exec_lo, s0
	s_cbranch_vccnz .LBB22_2019
; %bb.2018:
	s_wait_loadcnt 0x0
	v_cvt_f32_f16_e32 v2, v2
	s_delay_alu instid0(VALU_DEP_1)
	v_cvt_i32_f32_e32 v2, v2
	global_store_b8 v[0:1], v2, off
	s_endpgm
.LBB22_2019:
	s_endpgm
.LBB22_2020:
	s_or_b32 s1, s1, exec_lo
	s_trap 2
	s_cbranch_execz .LBB22_1493
	s_branch .LBB22_1494
.LBB22_2021:
	s_and_not1_saveexec_b32 s9, s9
	s_cbranch_execz .LBB22_1573
.LBB22_2022:
	v_add_f32_e64 v5, 0x46000000, |v4|
	s_and_not1_b32 s7, s7, exec_lo
	s_delay_alu instid0(VALU_DEP_1) | instskip(NEXT) | instid1(VALU_DEP_1)
	v_and_b32_e32 v5, 0xff, v5
	v_cmp_ne_u32_e32 vcc_lo, 0, v5
	s_and_b32 s14, vcc_lo, exec_lo
	s_delay_alu instid0(SALU_CYCLE_1)
	s_or_b32 s7, s7, s14
	s_or_b32 exec_lo, exec_lo, s9
	v_mov_b32_e32 v9, 0
	s_and_saveexec_b32 s9, s7
	s_cbranch_execnz .LBB22_1574
	s_branch .LBB22_1575
.LBB22_2023:
	s_or_b32 s1, s1, exec_lo
	s_trap 2
	s_cbranch_execz .LBB22_1621
	s_branch .LBB22_1622
.LBB22_2024:
	s_and_not1_saveexec_b32 s7, s7
	s_cbranch_execz .LBB22_1586
.LBB22_2025:
	v_add_f32_e64 v5, 0x42800000, |v4|
	s_and_not1_b32 s6, s6, exec_lo
	s_delay_alu instid0(VALU_DEP_1) | instskip(NEXT) | instid1(VALU_DEP_1)
	v_and_b32_e32 v5, 0xff, v5
	v_cmp_ne_u32_e32 vcc_lo, 0, v5
	s_and_b32 s9, vcc_lo, exec_lo
	s_delay_alu instid0(SALU_CYCLE_1)
	s_or_b32 s6, s6, s9
	s_or_b32 exec_lo, exec_lo, s7
	v_mov_b32_e32 v9, 0
	s_and_saveexec_b32 s7, s6
	s_cbranch_execnz .LBB22_1587
	s_branch .LBB22_1588
.LBB22_2026:
	s_and_not1_saveexec_b32 s9, s9
	s_cbranch_execz .LBB22_1691
.LBB22_2027:
	v_add_f32_e64 v5, 0x46000000, |v4|
	s_and_not1_b32 s8, s8, exec_lo
	s_delay_alu instid0(VALU_DEP_1) | instskip(NEXT) | instid1(VALU_DEP_1)
	v_and_b32_e32 v5, 0xff, v5
	v_cmp_ne_u32_e32 vcc_lo, 0, v5
	s_and_b32 s14, vcc_lo, exec_lo
	s_delay_alu instid0(SALU_CYCLE_1)
	s_or_b32 s8, s8, s14
	s_or_b32 exec_lo, exec_lo, s9
	v_mov_b32_e32 v6, 0
	s_and_saveexec_b32 s9, s8
	s_cbranch_execnz .LBB22_1692
	s_branch .LBB22_1693
.LBB22_2028:
	s_or_b32 s1, s1, exec_lo
	s_trap 2
	s_cbranch_execz .LBB22_1739
	s_branch .LBB22_1740
.LBB22_2029:
	s_and_not1_saveexec_b32 s8, s8
	s_cbranch_execz .LBB22_1704
.LBB22_2030:
	v_add_f32_e64 v5, 0x42800000, |v4|
	s_and_not1_b32 s7, s7, exec_lo
	s_delay_alu instid0(VALU_DEP_1) | instskip(NEXT) | instid1(VALU_DEP_1)
	v_and_b32_e32 v5, 0xff, v5
	v_cmp_ne_u32_e32 vcc_lo, 0, v5
	s_and_b32 s9, vcc_lo, exec_lo
	s_delay_alu instid0(SALU_CYCLE_1)
	s_or_b32 s7, s7, s9
	s_or_b32 exec_lo, exec_lo, s8
	v_mov_b32_e32 v6, 0
	s_and_saveexec_b32 s8, s7
	s_cbranch_execnz .LBB22_1705
	s_branch .LBB22_1706
.LBB22_2031:
	s_and_not1_saveexec_b32 s9, s9
	s_cbranch_execz .LBB22_1809
.LBB22_2032:
	v_add_f32_e64 v5, 0x46000000, |v4|
	s_and_not1_b32 s8, s8, exec_lo
	s_delay_alu instid0(VALU_DEP_1) | instskip(NEXT) | instid1(VALU_DEP_1)
	v_and_b32_e32 v5, 0xff, v5
	v_cmp_ne_u32_e32 vcc_lo, 0, v5
	s_and_b32 s14, vcc_lo, exec_lo
	s_delay_alu instid0(SALU_CYCLE_1)
	s_or_b32 s8, s8, s14
	s_or_b32 exec_lo, exec_lo, s9
	v_mov_b32_e32 v6, 0
	s_and_saveexec_b32 s9, s8
	s_cbranch_execnz .LBB22_1810
	s_branch .LBB22_1811
.LBB22_2033:
	s_or_b32 s1, s1, exec_lo
	s_trap 2
	s_cbranch_execz .LBB22_1857
	s_branch .LBB22_1858
.LBB22_2034:
	s_and_not1_saveexec_b32 s8, s8
	s_cbranch_execz .LBB22_1822
.LBB22_2035:
	v_add_f32_e64 v5, 0x42800000, |v4|
	s_and_not1_b32 s7, s7, exec_lo
	s_delay_alu instid0(VALU_DEP_1) | instskip(NEXT) | instid1(VALU_DEP_1)
	v_and_b32_e32 v5, 0xff, v5
	v_cmp_ne_u32_e32 vcc_lo, 0, v5
	s_and_b32 s9, vcc_lo, exec_lo
	s_delay_alu instid0(SALU_CYCLE_1)
	s_or_b32 s7, s7, s9
	s_or_b32 exec_lo, exec_lo, s8
	v_mov_b32_e32 v6, 0
	s_and_saveexec_b32 s8, s7
	s_cbranch_execnz .LBB22_1823
	s_branch .LBB22_1824
.LBB22_2036:
	s_and_not1_saveexec_b32 s6, s6
	s_cbranch_execz .LBB22_1889
.LBB22_2037:
	v_add_f32_e64 v4, 0x46000000, |v3|
	s_and_not1_b32 s5, s5, exec_lo
	s_delay_alu instid0(VALU_DEP_1) | instskip(NEXT) | instid1(VALU_DEP_1)
	v_and_b32_e32 v4, 0xff, v4
	v_cmp_ne_u32_e32 vcc_lo, 0, v4
	s_and_b32 s7, vcc_lo, exec_lo
	s_delay_alu instid0(SALU_CYCLE_1)
	s_or_b32 s5, s5, s7
	s_or_b32 exec_lo, exec_lo, s6
	v_mov_b32_e32 v5, 0
	s_and_saveexec_b32 s6, s5
	s_cbranch_execnz .LBB22_1890
	s_branch .LBB22_1891
.LBB22_2038:
	s_mov_b32 s3, 0
	s_or_b32 s1, s1, exec_lo
	s_trap 2
	s_branch .LBB22_1935
.LBB22_2039:
	s_and_not1_saveexec_b32 s5, s5
	s_cbranch_execz .LBB22_1901
.LBB22_2040:
	v_add_f32_e64 v4, 0x42800000, |v3|
	s_and_not1_b32 s4, s4, exec_lo
	s_delay_alu instid0(VALU_DEP_1) | instskip(NEXT) | instid1(VALU_DEP_1)
	v_and_b32_e32 v4, 0xff, v4
	v_cmp_ne_u32_e32 vcc_lo, 0, v4
	s_and_b32 s6, vcc_lo, exec_lo
	s_delay_alu instid0(SALU_CYCLE_1)
	s_or_b32 s4, s4, s6
	s_or_b32 exec_lo, exec_lo, s5
	v_mov_b32_e32 v5, 0
	s_and_saveexec_b32 s5, s4
	s_cbranch_execnz .LBB22_1902
	s_branch .LBB22_1903
	.section	.rodata,"a",@progbits
	.p2align	6, 0x0
	.amdhsa_kernel _ZN2at6native32elementwise_kernel_manual_unrollILi128ELi4EZNS0_15gpu_kernel_implIZZZNS0_12_GLOBAL__N_117hardshrink_kernelERNS_18TensorIteratorBaseERKN3c106ScalarEENKUlvE_clEvENKUlvE1_clEvEUlNS6_4HalfEE_EEvS5_RKT_EUlibE_EEviT1_
		.amdhsa_group_segment_fixed_size 0
		.amdhsa_private_segment_fixed_size 0
		.amdhsa_kernarg_size 40
		.amdhsa_user_sgpr_count 2
		.amdhsa_user_sgpr_dispatch_ptr 0
		.amdhsa_user_sgpr_queue_ptr 0
		.amdhsa_user_sgpr_kernarg_segment_ptr 1
		.amdhsa_user_sgpr_dispatch_id 0
		.amdhsa_user_sgpr_kernarg_preload_length 0
		.amdhsa_user_sgpr_kernarg_preload_offset 0
		.amdhsa_user_sgpr_private_segment_size 0
		.amdhsa_wavefront_size32 1
		.amdhsa_uses_dynamic_stack 0
		.amdhsa_enable_private_segment 0
		.amdhsa_system_sgpr_workgroup_id_x 1
		.amdhsa_system_sgpr_workgroup_id_y 0
		.amdhsa_system_sgpr_workgroup_id_z 0
		.amdhsa_system_sgpr_workgroup_info 0
		.amdhsa_system_vgpr_workitem_id 0
		.amdhsa_next_free_vgpr 14
		.amdhsa_next_free_sgpr 27
		.amdhsa_named_barrier_count 0
		.amdhsa_reserve_vcc 1
		.amdhsa_float_round_mode_32 0
		.amdhsa_float_round_mode_16_64 0
		.amdhsa_float_denorm_mode_32 3
		.amdhsa_float_denorm_mode_16_64 3
		.amdhsa_fp16_overflow 0
		.amdhsa_memory_ordered 1
		.amdhsa_forward_progress 1
		.amdhsa_inst_pref_size 255
		.amdhsa_round_robin_scheduling 0
		.amdhsa_exception_fp_ieee_invalid_op 0
		.amdhsa_exception_fp_denorm_src 0
		.amdhsa_exception_fp_ieee_div_zero 0
		.amdhsa_exception_fp_ieee_overflow 0
		.amdhsa_exception_fp_ieee_underflow 0
		.amdhsa_exception_fp_ieee_inexact 0
		.amdhsa_exception_int_div_zero 0
	.end_amdhsa_kernel
	.section	.text._ZN2at6native32elementwise_kernel_manual_unrollILi128ELi4EZNS0_15gpu_kernel_implIZZZNS0_12_GLOBAL__N_117hardshrink_kernelERNS_18TensorIteratorBaseERKN3c106ScalarEENKUlvE_clEvENKUlvE1_clEvEUlNS6_4HalfEE_EEvS5_RKT_EUlibE_EEviT1_,"axG",@progbits,_ZN2at6native32elementwise_kernel_manual_unrollILi128ELi4EZNS0_15gpu_kernel_implIZZZNS0_12_GLOBAL__N_117hardshrink_kernelERNS_18TensorIteratorBaseERKN3c106ScalarEENKUlvE_clEvENKUlvE1_clEvEUlNS6_4HalfEE_EEvS5_RKT_EUlibE_EEviT1_,comdat
.Lfunc_end22:
	.size	_ZN2at6native32elementwise_kernel_manual_unrollILi128ELi4EZNS0_15gpu_kernel_implIZZZNS0_12_GLOBAL__N_117hardshrink_kernelERNS_18TensorIteratorBaseERKN3c106ScalarEENKUlvE_clEvENKUlvE1_clEvEUlNS6_4HalfEE_EEvS5_RKT_EUlibE_EEviT1_, .Lfunc_end22-_ZN2at6native32elementwise_kernel_manual_unrollILi128ELi4EZNS0_15gpu_kernel_implIZZZNS0_12_GLOBAL__N_117hardshrink_kernelERNS_18TensorIteratorBaseERKN3c106ScalarEENKUlvE_clEvENKUlvE1_clEvEUlNS6_4HalfEE_EEvS5_RKT_EUlibE_EEviT1_
                                        ; -- End function
	.set _ZN2at6native32elementwise_kernel_manual_unrollILi128ELi4EZNS0_15gpu_kernel_implIZZZNS0_12_GLOBAL__N_117hardshrink_kernelERNS_18TensorIteratorBaseERKN3c106ScalarEENKUlvE_clEvENKUlvE1_clEvEUlNS6_4HalfEE_EEvS5_RKT_EUlibE_EEviT1_.num_vgpr, 14
	.set _ZN2at6native32elementwise_kernel_manual_unrollILi128ELi4EZNS0_15gpu_kernel_implIZZZNS0_12_GLOBAL__N_117hardshrink_kernelERNS_18TensorIteratorBaseERKN3c106ScalarEENKUlvE_clEvENKUlvE1_clEvEUlNS6_4HalfEE_EEvS5_RKT_EUlibE_EEviT1_.num_agpr, 0
	.set _ZN2at6native32elementwise_kernel_manual_unrollILi128ELi4EZNS0_15gpu_kernel_implIZZZNS0_12_GLOBAL__N_117hardshrink_kernelERNS_18TensorIteratorBaseERKN3c106ScalarEENKUlvE_clEvENKUlvE1_clEvEUlNS6_4HalfEE_EEvS5_RKT_EUlibE_EEviT1_.numbered_sgpr, 27
	.set _ZN2at6native32elementwise_kernel_manual_unrollILi128ELi4EZNS0_15gpu_kernel_implIZZZNS0_12_GLOBAL__N_117hardshrink_kernelERNS_18TensorIteratorBaseERKN3c106ScalarEENKUlvE_clEvENKUlvE1_clEvEUlNS6_4HalfEE_EEvS5_RKT_EUlibE_EEviT1_.num_named_barrier, 0
	.set _ZN2at6native32elementwise_kernel_manual_unrollILi128ELi4EZNS0_15gpu_kernel_implIZZZNS0_12_GLOBAL__N_117hardshrink_kernelERNS_18TensorIteratorBaseERKN3c106ScalarEENKUlvE_clEvENKUlvE1_clEvEUlNS6_4HalfEE_EEvS5_RKT_EUlibE_EEviT1_.private_seg_size, 0
	.set _ZN2at6native32elementwise_kernel_manual_unrollILi128ELi4EZNS0_15gpu_kernel_implIZZZNS0_12_GLOBAL__N_117hardshrink_kernelERNS_18TensorIteratorBaseERKN3c106ScalarEENKUlvE_clEvENKUlvE1_clEvEUlNS6_4HalfEE_EEvS5_RKT_EUlibE_EEviT1_.uses_vcc, 1
	.set _ZN2at6native32elementwise_kernel_manual_unrollILi128ELi4EZNS0_15gpu_kernel_implIZZZNS0_12_GLOBAL__N_117hardshrink_kernelERNS_18TensorIteratorBaseERKN3c106ScalarEENKUlvE_clEvENKUlvE1_clEvEUlNS6_4HalfEE_EEvS5_RKT_EUlibE_EEviT1_.uses_flat_scratch, 0
	.set _ZN2at6native32elementwise_kernel_manual_unrollILi128ELi4EZNS0_15gpu_kernel_implIZZZNS0_12_GLOBAL__N_117hardshrink_kernelERNS_18TensorIteratorBaseERKN3c106ScalarEENKUlvE_clEvENKUlvE1_clEvEUlNS6_4HalfEE_EEvS5_RKT_EUlibE_EEviT1_.has_dyn_sized_stack, 0
	.set _ZN2at6native32elementwise_kernel_manual_unrollILi128ELi4EZNS0_15gpu_kernel_implIZZZNS0_12_GLOBAL__N_117hardshrink_kernelERNS_18TensorIteratorBaseERKN3c106ScalarEENKUlvE_clEvENKUlvE1_clEvEUlNS6_4HalfEE_EEvS5_RKT_EUlibE_EEviT1_.has_recursion, 0
	.set _ZN2at6native32elementwise_kernel_manual_unrollILi128ELi4EZNS0_15gpu_kernel_implIZZZNS0_12_GLOBAL__N_117hardshrink_kernelERNS_18TensorIteratorBaseERKN3c106ScalarEENKUlvE_clEvENKUlvE1_clEvEUlNS6_4HalfEE_EEvS5_RKT_EUlibE_EEviT1_.has_indirect_call, 0
	.section	.AMDGPU.csdata,"",@progbits
; Kernel info:
; codeLenInByte = 41396
; TotalNumSgprs: 29
; NumVgprs: 14
; ScratchSize: 0
; MemoryBound: 0
; FloatMode: 240
; IeeeMode: 1
; LDSByteSize: 0 bytes/workgroup (compile time only)
; SGPRBlocks: 0
; VGPRBlocks: 0
; NumSGPRsForWavesPerEU: 29
; NumVGPRsForWavesPerEU: 14
; NamedBarCnt: 0
; Occupancy: 16
; WaveLimiterHint : 0
; COMPUTE_PGM_RSRC2:SCRATCH_EN: 0
; COMPUTE_PGM_RSRC2:USER_SGPR: 2
; COMPUTE_PGM_RSRC2:TRAP_HANDLER: 0
; COMPUTE_PGM_RSRC2:TGID_X_EN: 1
; COMPUTE_PGM_RSRC2:TGID_Y_EN: 0
; COMPUTE_PGM_RSRC2:TGID_Z_EN: 0
; COMPUTE_PGM_RSRC2:TIDIG_COMP_CNT: 0
	.section	.text._ZN2at6native32elementwise_kernel_manual_unrollILi128ELi4EZNS0_15gpu_kernel_implIZZZNS0_12_GLOBAL__N_117hardshrink_kernelERNS_18TensorIteratorBaseERKN3c106ScalarEENKUlvE_clEvENKUlvE1_clEvEUlNS6_4HalfEE_EEvS5_RKT_EUlibE0_EEviT1_,"axG",@progbits,_ZN2at6native32elementwise_kernel_manual_unrollILi128ELi4EZNS0_15gpu_kernel_implIZZZNS0_12_GLOBAL__N_117hardshrink_kernelERNS_18TensorIteratorBaseERKN3c106ScalarEENKUlvE_clEvENKUlvE1_clEvEUlNS6_4HalfEE_EEvS5_RKT_EUlibE0_EEviT1_,comdat
	.globl	_ZN2at6native32elementwise_kernel_manual_unrollILi128ELi4EZNS0_15gpu_kernel_implIZZZNS0_12_GLOBAL__N_117hardshrink_kernelERNS_18TensorIteratorBaseERKN3c106ScalarEENKUlvE_clEvENKUlvE1_clEvEUlNS6_4HalfEE_EEvS5_RKT_EUlibE0_EEviT1_ ; -- Begin function _ZN2at6native32elementwise_kernel_manual_unrollILi128ELi4EZNS0_15gpu_kernel_implIZZZNS0_12_GLOBAL__N_117hardshrink_kernelERNS_18TensorIteratorBaseERKN3c106ScalarEENKUlvE_clEvENKUlvE1_clEvEUlNS6_4HalfEE_EEvS5_RKT_EUlibE0_EEviT1_
	.p2align	8
	.type	_ZN2at6native32elementwise_kernel_manual_unrollILi128ELi4EZNS0_15gpu_kernel_implIZZZNS0_12_GLOBAL__N_117hardshrink_kernelERNS_18TensorIteratorBaseERKN3c106ScalarEENKUlvE_clEvENKUlvE1_clEvEUlNS6_4HalfEE_EEvS5_RKT_EUlibE0_EEviT1_,@function
_ZN2at6native32elementwise_kernel_manual_unrollILi128ELi4EZNS0_15gpu_kernel_implIZZZNS0_12_GLOBAL__N_117hardshrink_kernelERNS_18TensorIteratorBaseERKN3c106ScalarEENKUlvE_clEvENKUlvE1_clEvEUlNS6_4HalfEE_EEvS5_RKT_EUlibE0_EEviT1_: ; @_ZN2at6native32elementwise_kernel_manual_unrollILi128ELi4EZNS0_15gpu_kernel_implIZZZNS0_12_GLOBAL__N_117hardshrink_kernelERNS_18TensorIteratorBaseERKN3c106ScalarEENKUlvE_clEvENKUlvE1_clEvEUlNS6_4HalfEE_EEvS5_RKT_EUlibE0_EEviT1_
; %bb.0:
	s_clause 0x1
	s_load_b32 s28, s[0:1], 0x8
	s_load_b32 s37, s[0:1], 0x0
	s_bfe_u32 s2, ttmp6, 0x4000c
	s_and_b32 s3, ttmp6, 15
	s_add_co_i32 s2, s2, 1
	s_getreg_b32 s4, hwreg(HW_REG_IB_STS2, 6, 4)
	s_mul_i32 s2, ttmp9, s2
	s_mov_b32 s30, 0
	s_add_co_i32 s3, s3, s2
	s_cmp_eq_u32 s4, 0
	s_mov_b32 s22, -1
	s_cselect_b32 s2, ttmp9, s3
	s_mov_b32 s8, 0
	v_lshl_or_b32 v0, s2, 9, v0
	s_add_nc_u64 s[2:3], s[0:1], 8
	s_wait_xcnt 0x0
	s_mov_b32 s0, exec_lo
	s_delay_alu instid0(VALU_DEP_1) | instskip(SKIP_2) | instid1(SALU_CYCLE_1)
	v_or_b32_e32 v9, 0x180, v0
	s_wait_kmcnt 0x0
	s_add_co_i32 s29, s28, -1
	s_cmp_gt_u32 s29, 1
	s_cselect_b32 s31, -1, 0
	v_cmpx_le_i32_e64 s37, v9
	s_xor_b32 s33, exec_lo, s0
	s_cbranch_execz .LBB23_1093
; %bb.1:
	v_mov_b32_e32 v1, 0
	s_clause 0x4
	s_load_b128 s[8:11], s[2:3], 0x4
	s_load_b64 s[0:1], s[2:3], 0x14
	s_load_b32 s34, s[2:3], 0x158
	s_load_b128 s[12:15], s[2:3], 0xc4
	s_load_b128 s[4:7], s[2:3], 0x148
	s_cmp_lg_u32 s28, 0
	s_mov_b32 s17, 0
	s_cselect_b32 s39, -1, 0
	global_load_u16 v1, v1, s[2:3] offset:346
	s_min_u32 s38, s29, 15
	s_cmp_gt_u32 s28, 1
	s_add_nc_u64 s[20:21], s[2:3], 0xc4
	s_cselect_b32 s36, -1, 0
	s_mov_b32 s19, s17
	s_mov_b32 s41, s17
	;; [unrolled: 1-line block ×3, first 2 shown]
	s_mov_b32 s42, exec_lo
	s_wait_kmcnt 0x0
	s_mov_b32 s16, s9
	s_mov_b32 s18, s0
	s_wait_loadcnt 0x0
	v_readfirstlane_b32 s35, v1
	s_and_b32 s9, 0xffff, s35
	s_delay_alu instid0(SALU_CYCLE_1)
	s_lshr_b32 s9, s9, 8
	v_cmpx_gt_i32_e64 s37, v0
	s_cbranch_execz .LBB23_267
; %bb.2:
	s_and_not1_b32 vcc_lo, exec_lo, s31
	s_cbranch_vccnz .LBB23_8
; %bb.3:
	s_and_not1_b32 vcc_lo, exec_lo, s39
	s_cbranch_vccnz .LBB23_9
; %bb.4:
	s_add_co_i32 s0, s38, 1
	s_cmp_eq_u32 s29, 2
	s_cbranch_scc1 .LBB23_10
; %bb.5:
	v_dual_mov_b32 v2, 0 :: v_dual_mov_b32 v4, 0
	v_mov_b32_e32 v1, v0
	s_and_b32 s22, s0, 28
	s_mov_b32 s23, 0
	s_mov_b64 s[24:25], s[2:3]
	s_mov_b64 s[26:27], s[20:21]
.LBB23_6:                               ; =>This Inner Loop Header: Depth=1
	s_clause 0x1
	s_load_b256 s[44:51], s[24:25], 0x4
	s_load_b128 s[60:63], s[24:25], 0x24
	s_load_b256 s[52:59], s[26:27], 0x0
	s_add_co_i32 s23, s23, 4
	s_wait_xcnt 0x0
	s_add_nc_u64 s[24:25], s[24:25], 48
	s_cmp_lg_u32 s22, s23
	s_add_nc_u64 s[26:27], s[26:27], 32
	s_wait_kmcnt 0x0
	v_mul_hi_u32 v3, s45, v1
	s_delay_alu instid0(VALU_DEP_1) | instskip(NEXT) | instid1(VALU_DEP_1)
	v_add_nc_u32_e32 v3, v1, v3
	v_lshrrev_b32_e32 v3, s46, v3
	s_delay_alu instid0(VALU_DEP_1) | instskip(NEXT) | instid1(VALU_DEP_1)
	v_mul_hi_u32 v5, s48, v3
	v_add_nc_u32_e32 v5, v3, v5
	s_delay_alu instid0(VALU_DEP_1) | instskip(NEXT) | instid1(VALU_DEP_1)
	v_lshrrev_b32_e32 v5, s49, v5
	v_mul_hi_u32 v6, s51, v5
	s_delay_alu instid0(VALU_DEP_1) | instskip(SKIP_1) | instid1(VALU_DEP_1)
	v_add_nc_u32_e32 v6, v5, v6
	v_mul_lo_u32 v7, v3, s44
	v_sub_nc_u32_e32 v1, v1, v7
	v_mul_lo_u32 v7, v5, s47
	s_delay_alu instid0(VALU_DEP_4) | instskip(NEXT) | instid1(VALU_DEP_3)
	v_lshrrev_b32_e32 v6, s60, v6
	v_mad_u32 v4, v1, s53, v4
	v_mad_u32 v1, v1, s52, v2
	s_delay_alu instid0(VALU_DEP_4) | instskip(NEXT) | instid1(VALU_DEP_4)
	v_sub_nc_u32_e32 v2, v3, v7
	v_mul_hi_u32 v8, s62, v6
	v_mul_lo_u32 v3, v6, s50
	s_delay_alu instid0(VALU_DEP_3) | instskip(SKIP_1) | instid1(VALU_DEP_3)
	v_mad_u32 v4, v2, s55, v4
	v_mad_u32 v2, v2, s54, v1
	v_dual_add_nc_u32 v7, v6, v8 :: v_dual_sub_nc_u32 v3, v5, v3
	s_delay_alu instid0(VALU_DEP_1) | instskip(NEXT) | instid1(VALU_DEP_2)
	v_lshrrev_b32_e32 v1, s63, v7
	v_mad_u32 v4, v3, s57, v4
	s_delay_alu instid0(VALU_DEP_4) | instskip(NEXT) | instid1(VALU_DEP_3)
	v_mad_u32 v2, v3, s56, v2
	v_mul_lo_u32 v5, v1, s61
	s_delay_alu instid0(VALU_DEP_1) | instskip(NEXT) | instid1(VALU_DEP_1)
	v_sub_nc_u32_e32 v3, v6, v5
	v_mad_u32 v4, v3, s59, v4
	s_delay_alu instid0(VALU_DEP_4)
	v_mad_u32 v2, v3, s58, v2
	s_cbranch_scc1 .LBB23_6
; %bb.7:
	s_delay_alu instid0(VALU_DEP_2)
	v_mov_b32_e32 v3, v4
	s_and_b32 s0, s0, 3
	s_mov_b32 s23, 0
	s_cmp_eq_u32 s0, 0
	s_cbranch_scc0 .LBB23_11
	s_branch .LBB23_14
.LBB23_8:
                                        ; implicit-def: $vgpr4
                                        ; implicit-def: $vgpr2
	s_branch .LBB23_15
.LBB23_9:
	v_dual_mov_b32 v4, 0 :: v_dual_mov_b32 v2, 0
	s_branch .LBB23_14
.LBB23_10:
	v_mov_b64_e32 v[2:3], 0
	v_mov_b32_e32 v1, v0
	s_mov_b32 s22, 0
                                        ; implicit-def: $vgpr4
	s_and_b32 s0, s0, 3
	s_mov_b32 s23, 0
	s_cmp_eq_u32 s0, 0
	s_cbranch_scc1 .LBB23_14
.LBB23_11:
	s_lshl_b32 s24, s22, 3
	s_mov_b32 s25, s23
	s_mul_u64 s[26:27], s[22:23], 12
	s_add_nc_u64 s[24:25], s[2:3], s[24:25]
	s_delay_alu instid0(SALU_CYCLE_1)
	s_add_nc_u64 s[22:23], s[24:25], 0xc4
	s_add_nc_u64 s[24:25], s[2:3], s[26:27]
.LBB23_12:                              ; =>This Inner Loop Header: Depth=1
	s_load_b96 s[44:46], s[24:25], 0x4
	s_load_b64 s[26:27], s[22:23], 0x0
	s_add_co_i32 s0, s0, -1
	s_wait_xcnt 0x0
	s_add_nc_u64 s[24:25], s[24:25], 12
	s_cmp_lg_u32 s0, 0
	s_add_nc_u64 s[22:23], s[22:23], 8
	s_wait_kmcnt 0x0
	v_mul_hi_u32 v4, s45, v1
	s_delay_alu instid0(VALU_DEP_1) | instskip(NEXT) | instid1(VALU_DEP_1)
	v_add_nc_u32_e32 v4, v1, v4
	v_lshrrev_b32_e32 v4, s46, v4
	s_delay_alu instid0(VALU_DEP_1) | instskip(NEXT) | instid1(VALU_DEP_1)
	v_mul_lo_u32 v5, v4, s44
	v_sub_nc_u32_e32 v1, v1, v5
	s_delay_alu instid0(VALU_DEP_1)
	v_mad_u32 v3, v1, s27, v3
	v_mad_u32 v2, v1, s26, v2
	v_mov_b32_e32 v1, v4
	s_cbranch_scc1 .LBB23_12
; %bb.13:
	s_delay_alu instid0(VALU_DEP_3)
	v_mov_b32_e32 v4, v3
.LBB23_14:
	s_cbranch_execnz .LBB23_17
.LBB23_15:
	v_mov_b32_e32 v1, 0
	s_and_not1_b32 vcc_lo, exec_lo, s36
	s_delay_alu instid0(VALU_DEP_1) | instskip(NEXT) | instid1(VALU_DEP_1)
	v_mul_u64_e32 v[2:3], s[16:17], v[0:1]
	v_add_nc_u32_e32 v2, v0, v3
	s_delay_alu instid0(VALU_DEP_1) | instskip(NEXT) | instid1(VALU_DEP_1)
	v_lshrrev_b32_e32 v6, s10, v2
	v_mul_lo_u32 v2, v6, s8
	s_delay_alu instid0(VALU_DEP_1) | instskip(NEXT) | instid1(VALU_DEP_1)
	v_sub_nc_u32_e32 v2, v0, v2
	v_mul_lo_u32 v4, v2, s13
	v_mul_lo_u32 v2, v2, s12
	s_cbranch_vccnz .LBB23_17
; %bb.16:
	v_mov_b32_e32 v7, v1
	s_delay_alu instid0(VALU_DEP_1) | instskip(NEXT) | instid1(VALU_DEP_1)
	v_mul_u64_e32 v[8:9], s[18:19], v[6:7]
	v_add_nc_u32_e32 v1, v6, v9
	s_delay_alu instid0(VALU_DEP_1) | instskip(NEXT) | instid1(VALU_DEP_1)
	v_lshrrev_b32_e32 v1, s1, v1
	v_mul_lo_u32 v1, v1, s11
	s_delay_alu instid0(VALU_DEP_1) | instskip(NEXT) | instid1(VALU_DEP_1)
	v_sub_nc_u32_e32 v1, v6, v1
	v_mad_u32 v2, v1, s14, v2
	v_mad_u32 v4, v1, s15, v4
.LBB23_17:
	v_mov_b32_e32 v5, 0
	s_and_b32 s0, 0xffff, s9
	s_delay_alu instid0(SALU_CYCLE_1) | instskip(NEXT) | instid1(VALU_DEP_1)
	s_cmp_lt_i32 s0, 11
	v_add_nc_u64_e32 v[4:5], s[6:7], v[4:5]
	s_cbranch_scc1 .LBB23_24
; %bb.18:
	s_cmp_gt_i32 s0, 25
	s_cbranch_scc0 .LBB23_72
; %bb.19:
	s_cmp_gt_i32 s0, 28
	s_cbranch_scc0 .LBB23_73
	;; [unrolled: 3-line block ×4, first 2 shown]
; %bb.22:
	s_cmp_eq_u32 s0, 46
	s_mov_b32 s24, 0
	s_cbranch_scc0 .LBB23_79
; %bb.23:
	global_load_b32 v1, v[4:5], off
	s_mov_b32 s23, -1
	s_mov_b32 s22, 0
	s_wait_loadcnt 0x0
	v_lshlrev_b32_e32 v1, 16, v1
	s_delay_alu instid0(VALU_DEP_1)
	v_cvt_f16_f32_e32 v1, v1
	s_branch .LBB23_81
.LBB23_24:
	s_mov_b32 s22, 0
	s_mov_b32 s23, 0
                                        ; implicit-def: $vgpr1
	s_cbranch_execnz .LBB23_217
.LBB23_25:
	s_and_not1_b32 vcc_lo, exec_lo, s23
	s_cbranch_vccnz .LBB23_264
.LBB23_26:
	s_wait_loadcnt 0x0
	s_delay_alu instid0(VALU_DEP_1)
	v_cmp_nge_f16_e64 s23, v1, -s34
	v_cmp_nge_f16_e32 vcc_lo, s34, v1
	s_mov_b32 s0, 0
	s_mov_b32 s24, -1
	s_mov_b32 s25, 0
	s_or_b32 vcc_lo, s23, vcc_lo
	s_delay_alu instid0(SALU_CYCLE_1) | instskip(SKIP_1) | instid1(SALU_CYCLE_1)
	v_dual_mov_b32 v3, 0 :: v_dual_cndmask_b32 v1, 0, v1, vcc_lo
	s_and_b32 s23, s35, 0xff
	s_cmp_lt_i32 s23, 11
	s_delay_alu instid0(VALU_DEP_1)
	v_add_nc_u64_e32 v[2:3], s[4:5], v[2:3]
	s_cbranch_scc1 .LBB23_33
; %bb.27:
	s_and_b32 s24, 0xffff, s23
	s_delay_alu instid0(SALU_CYCLE_1)
	s_cmp_gt_i32 s24, 25
	s_cbranch_scc0 .LBB23_74
; %bb.28:
	s_cmp_gt_i32 s24, 28
	s_cbranch_scc0 .LBB23_76
; %bb.29:
	;; [unrolled: 3-line block ×4, first 2 shown]
	s_mov_b32 s26, 0
	s_mov_b32 s0, -1
	s_cmp_eq_u32 s24, 46
	s_cbranch_scc0 .LBB23_85
; %bb.32:
	v_cvt_f32_f16_e32 v4, v1
	v_cmp_o_f16_e32 vcc_lo, v1, v1
	s_mov_b32 s25, -1
	s_mov_b32 s0, 0
	s_delay_alu instid0(VALU_DEP_2) | instskip(NEXT) | instid1(VALU_DEP_1)
	v_bfe_u32 v5, v4, 16, 1
	v_add3_u32 v4, v4, v5, 0x7fff
	s_delay_alu instid0(VALU_DEP_1) | instskip(NEXT) | instid1(VALU_DEP_1)
	v_lshrrev_b32_e32 v4, 16, v4
	v_cndmask_b32_e32 v4, 0x7fc0, v4, vcc_lo
	global_store_b32 v[2:3], v4, off
	s_branch .LBB23_85
.LBB23_33:
	s_and_b32 vcc_lo, exec_lo, s24
	s_cbranch_vccz .LBB23_154
; %bb.34:
	s_and_b32 s23, 0xffff, s23
	s_mov_b32 s24, -1
	s_cmp_lt_i32 s23, 5
	s_cbranch_scc1 .LBB23_55
; %bb.35:
	s_cmp_lt_i32 s23, 8
	s_cbranch_scc1 .LBB23_45
; %bb.36:
	;; [unrolled: 3-line block ×3, first 2 shown]
	s_cmp_gt_i32 s23, 9
	s_cbranch_scc0 .LBB23_39
; %bb.38:
	s_wait_xcnt 0x0
	v_cvt_f32_f16_e32 v4, v1
	v_mov_b32_e32 v6, 0
	s_mov_b32 s24, 0
	s_delay_alu instid0(VALU_DEP_2) | instskip(NEXT) | instid1(VALU_DEP_2)
	v_cvt_f64_f32_e32 v[4:5], v4
	v_mov_b32_e32 v7, v6
	global_store_b128 v[2:3], v[4:7], off
.LBB23_39:
	s_and_not1_b32 vcc_lo, exec_lo, s24
	s_cbranch_vccnz .LBB23_41
; %bb.40:
	s_wait_xcnt 0x0
	v_cvt_f32_f16_e32 v4, v1
	v_mov_b32_e32 v5, 0
	global_store_b64 v[2:3], v[4:5], off
.LBB23_41:
	s_mov_b32 s24, 0
.LBB23_42:
	s_delay_alu instid0(SALU_CYCLE_1)
	s_and_not1_b32 vcc_lo, exec_lo, s24
	s_cbranch_vccnz .LBB23_44
; %bb.43:
	s_wait_xcnt 0x0
	v_and_b32_e32 v4, 0xffff, v1
	global_store_b32 v[2:3], v4, off
.LBB23_44:
	s_mov_b32 s24, 0
.LBB23_45:
	s_delay_alu instid0(SALU_CYCLE_1)
	s_and_not1_b32 vcc_lo, exec_lo, s24
	s_cbranch_vccnz .LBB23_54
; %bb.46:
	s_cmp_lt_i32 s23, 6
	s_mov_b32 s24, -1
	s_cbranch_scc1 .LBB23_52
; %bb.47:
	s_cmp_gt_i32 s23, 6
	s_cbranch_scc0 .LBB23_49
; %bb.48:
	s_wait_xcnt 0x0
	v_cvt_f32_f16_e32 v4, v1
	s_mov_b32 s24, 0
	s_delay_alu instid0(VALU_DEP_1)
	v_cvt_f64_f32_e32 v[4:5], v4
	global_store_b64 v[2:3], v[4:5], off
.LBB23_49:
	s_and_not1_b32 vcc_lo, exec_lo, s24
	s_cbranch_vccnz .LBB23_51
; %bb.50:
	s_wait_xcnt 0x0
	v_cvt_f32_f16_e32 v4, v1
	global_store_b32 v[2:3], v4, off
.LBB23_51:
	s_mov_b32 s24, 0
.LBB23_52:
	s_delay_alu instid0(SALU_CYCLE_1)
	s_and_not1_b32 vcc_lo, exec_lo, s24
	s_cbranch_vccnz .LBB23_54
; %bb.53:
	global_store_b16 v[2:3], v1, off
.LBB23_54:
	s_mov_b32 s24, 0
.LBB23_55:
	s_delay_alu instid0(SALU_CYCLE_1)
	s_and_not1_b32 vcc_lo, exec_lo, s24
	s_cbranch_vccnz .LBB23_71
; %bb.56:
	s_cmp_lt_i32 s23, 2
	s_mov_b32 s24, -1
	s_cbranch_scc1 .LBB23_66
; %bb.57:
	s_cmp_lt_i32 s23, 3
	s_cbranch_scc1 .LBB23_63
; %bb.58:
	s_cmp_gt_i32 s23, 3
	s_cbranch_scc0 .LBB23_60
; %bb.59:
	s_wait_xcnt 0x0
	v_cvt_f32_f16_e32 v4, v1
	s_mov_b32 s24, 0
	s_delay_alu instid0(VALU_DEP_1) | instskip(NEXT) | instid1(VALU_DEP_1)
	v_cvt_i32_f32_e32 v4, v4
	v_ashrrev_i32_e32 v5, 31, v4
	global_store_b64 v[2:3], v[4:5], off
.LBB23_60:
	s_and_not1_b32 vcc_lo, exec_lo, s24
	s_cbranch_vccnz .LBB23_62
; %bb.61:
	s_wait_xcnt 0x0
	v_cvt_f32_f16_e32 v4, v1
	s_delay_alu instid0(VALU_DEP_1)
	v_cvt_i32_f32_e32 v4, v4
	global_store_b32 v[2:3], v4, off
.LBB23_62:
	s_mov_b32 s24, 0
.LBB23_63:
	s_delay_alu instid0(SALU_CYCLE_1)
	s_and_not1_b32 vcc_lo, exec_lo, s24
	s_cbranch_vccnz .LBB23_65
; %bb.64:
	s_wait_xcnt 0x0
	v_cvt_i16_f16_e32 v4, v1
	global_store_b16 v[2:3], v4, off
.LBB23_65:
	s_mov_b32 s24, 0
.LBB23_66:
	s_delay_alu instid0(SALU_CYCLE_1)
	s_and_not1_b32 vcc_lo, exec_lo, s24
	s_cbranch_vccnz .LBB23_71
; %bb.67:
	s_cmp_gt_i32 s23, 0
	s_mov_b32 s23, -1
	s_cbranch_scc0 .LBB23_69
; %bb.68:
	s_wait_xcnt 0x0
	v_cvt_i16_f16_e32 v4, v1
	s_mov_b32 s23, 0
	global_store_b8 v[2:3], v4, off
.LBB23_69:
	s_and_not1_b32 vcc_lo, exec_lo, s23
	s_cbranch_vccnz .LBB23_71
; %bb.70:
	s_wait_xcnt 0x0
	v_cvt_f32_f16_e32 v1, v1
	s_delay_alu instid0(VALU_DEP_1)
	v_cvt_i32_f32_e32 v1, v1
	global_store_b8 v[2:3], v1, off
.LBB23_71:
	s_branch .LBB23_155
.LBB23_72:
	s_mov_b32 s22, 0
	s_mov_b32 s23, 0
                                        ; implicit-def: $vgpr1
	s_cbranch_execnz .LBB23_182
	s_branch .LBB23_216
.LBB23_73:
	s_mov_b32 s24, -1
	s_mov_b32 s22, 0
	s_mov_b32 s23, 0
                                        ; implicit-def: $vgpr1
	s_branch .LBB23_163
.LBB23_74:
	s_mov_b32 s26, -1
	s_branch .LBB23_112
.LBB23_75:
	s_mov_b32 s24, -1
	s_mov_b32 s22, 0
	s_mov_b32 s23, 0
                                        ; implicit-def: $vgpr1
	s_branch .LBB23_158
.LBB23_76:
	s_mov_b32 s26, -1
	s_branch .LBB23_95
.LBB23_77:
	s_mov_b32 s24, -1
	s_mov_b32 s22, 0
	s_branch .LBB23_80
.LBB23_78:
	s_mov_b32 s26, -1
	s_branch .LBB23_91
.LBB23_79:
	s_mov_b32 s22, -1
.LBB23_80:
	s_mov_b32 s23, 0
                                        ; implicit-def: $vgpr1
.LBB23_81:
	s_and_b32 vcc_lo, exec_lo, s24
	s_cbranch_vccz .LBB23_157
; %bb.82:
	s_cmp_eq_u32 s0, 44
	s_cbranch_scc0 .LBB23_156
; %bb.83:
	global_load_u8 v1, v[4:5], off
	s_mov_b32 s22, 0
	s_mov_b32 s23, -1
	s_wait_loadcnt 0x0
	v_lshlrev_b32_e32 v3, 23, v1
	v_cmp_ne_u32_e32 vcc_lo, 0xff, v1
	s_delay_alu instid0(VALU_DEP_2) | instskip(NEXT) | instid1(VALU_DEP_1)
	v_cvt_f16_f32_e32 v3, v3
	v_cndmask_b32_e32 v3, 0x7e00, v3, vcc_lo
	v_cmp_ne_u32_e32 vcc_lo, 0, v1
	s_delay_alu instid0(VALU_DEP_2)
	v_cndmask_b32_e32 v1, 0, v3, vcc_lo
	s_branch .LBB23_157
.LBB23_84:
	s_mov_b32 s26, -1
.LBB23_85:
	s_delay_alu instid0(SALU_CYCLE_1)
	s_and_b32 vcc_lo, exec_lo, s26
	s_cbranch_vccz .LBB23_90
; %bb.86:
	s_cmp_eq_u32 s24, 44
	s_mov_b32 s0, -1
	s_cbranch_scc0 .LBB23_90
; %bb.87:
	s_wait_xcnt 0x0
	v_cvt_f32_f16_e32 v4, v1
	v_mov_b32_e32 v5, 0xff
	s_mov_b32 s25, exec_lo
	s_delay_alu instid0(VALU_DEP_2) | instskip(NEXT) | instid1(VALU_DEP_1)
	v_bfe_u32 v6, v4, 23, 8
	v_cmpx_ne_u32_e32 0xff, v6
	s_cbranch_execz .LBB23_89
; %bb.88:
	v_and_b32_e32 v5, 0x400000, v4
	v_and_or_b32 v6, 0x3fffff, v4, v6
	v_lshrrev_b32_e32 v4, 23, v4
	s_delay_alu instid0(VALU_DEP_3) | instskip(NEXT) | instid1(VALU_DEP_3)
	v_cmp_ne_u32_e32 vcc_lo, 0, v5
	v_cmp_ne_u32_e64 s0, 0, v6
	s_and_b32 s0, vcc_lo, s0
	s_delay_alu instid0(SALU_CYCLE_1) | instskip(NEXT) | instid1(VALU_DEP_1)
	v_cndmask_b32_e64 v5, 0, 1, s0
	v_add_nc_u32_e32 v5, v4, v5
.LBB23_89:
	s_or_b32 exec_lo, exec_lo, s25
	s_mov_b32 s25, -1
	s_mov_b32 s0, 0
	global_store_b8 v[2:3], v5, off
.LBB23_90:
	s_mov_b32 s26, 0
.LBB23_91:
	s_delay_alu instid0(SALU_CYCLE_1)
	s_and_b32 vcc_lo, exec_lo, s26
	s_cbranch_vccz .LBB23_94
; %bb.92:
	s_cmp_eq_u32 s24, 29
	s_mov_b32 s0, -1
	s_cbranch_scc0 .LBB23_94
; %bb.93:
	s_wait_xcnt 0x0
	v_cvt_f32_f16_e32 v4, v1
	v_mov_b32_e32 v5, 0
	s_mov_b32 s25, -1
	s_mov_b32 s0, 0
	s_mov_b32 s26, 0
	v_cvt_u32_f32_e32 v4, v4
	global_store_b64 v[2:3], v[4:5], off
	s_branch .LBB23_95
.LBB23_94:
	s_mov_b32 s26, 0
.LBB23_95:
	s_delay_alu instid0(SALU_CYCLE_1)
	s_and_b32 vcc_lo, exec_lo, s26
	s_cbranch_vccz .LBB23_111
; %bb.96:
	s_cmp_lt_i32 s24, 27
	s_mov_b32 s25, -1
	s_cbranch_scc1 .LBB23_102
; %bb.97:
	s_cmp_gt_i32 s24, 27
	s_cbranch_scc0 .LBB23_99
; %bb.98:
	s_wait_xcnt 0x0
	v_cvt_f32_f16_e32 v4, v1
	s_mov_b32 s25, 0
	s_delay_alu instid0(VALU_DEP_1)
	v_cvt_u32_f32_e32 v4, v4
	global_store_b32 v[2:3], v4, off
.LBB23_99:
	s_and_not1_b32 vcc_lo, exec_lo, s25
	s_cbranch_vccnz .LBB23_101
; %bb.100:
	s_wait_xcnt 0x0
	v_cvt_u16_f16_e32 v4, v1
	global_store_b16 v[2:3], v4, off
.LBB23_101:
	s_mov_b32 s25, 0
.LBB23_102:
	s_delay_alu instid0(SALU_CYCLE_1)
	s_and_not1_b32 vcc_lo, exec_lo, s25
	s_cbranch_vccnz .LBB23_110
; %bb.103:
	s_wait_xcnt 0x0
	v_cvt_f32_f16_e32 v4, v1
	v_mov_b32_e32 v6, 0x80
	s_mov_b32 s25, exec_lo
	s_delay_alu instid0(VALU_DEP_2) | instskip(NEXT) | instid1(VALU_DEP_1)
	v_and_b32_e32 v5, 0x7fffffff, v4
	v_cmpx_gt_u32_e32 0x43800000, v5
	s_cbranch_execz .LBB23_109
; %bb.104:
	v_cmp_lt_u32_e32 vcc_lo, 0x3bffffff, v5
	s_mov_b32 s26, 0
                                        ; implicit-def: $vgpr5
	s_and_saveexec_b32 s27, vcc_lo
	s_delay_alu instid0(SALU_CYCLE_1)
	s_xor_b32 s27, exec_lo, s27
	s_cbranch_execz .LBB23_349
; %bb.105:
	v_bfe_u32 v5, v4, 20, 1
	s_mov_b32 s26, exec_lo
	s_delay_alu instid0(VALU_DEP_1) | instskip(NEXT) | instid1(VALU_DEP_1)
	v_add3_u32 v5, v4, v5, 0x487ffff
	v_lshrrev_b32_e32 v5, 20, v5
	s_and_not1_saveexec_b32 s27, s27
	s_cbranch_execnz .LBB23_350
.LBB23_106:
	s_or_b32 exec_lo, exec_lo, s27
	v_mov_b32_e32 v6, 0
	s_and_saveexec_b32 s27, s26
.LBB23_107:
	v_lshrrev_b32_e32 v4, 24, v4
	s_delay_alu instid0(VALU_DEP_1)
	v_and_or_b32 v6, 0x80, v4, v5
.LBB23_108:
	s_or_b32 exec_lo, exec_lo, s27
.LBB23_109:
	s_delay_alu instid0(SALU_CYCLE_1)
	s_or_b32 exec_lo, exec_lo, s25
	global_store_b8 v[2:3], v6, off
.LBB23_110:
	s_mov_b32 s25, -1
.LBB23_111:
	s_mov_b32 s26, 0
.LBB23_112:
	s_delay_alu instid0(SALU_CYCLE_1)
	s_and_b32 vcc_lo, exec_lo, s26
	s_cbranch_vccz .LBB23_153
; %bb.113:
	s_cmp_gt_i32 s24, 22
	s_mov_b32 s26, -1
	s_cbranch_scc0 .LBB23_145
; %bb.114:
	s_cmp_lt_i32 s24, 24
	s_mov_b32 s25, -1
	s_cbranch_scc1 .LBB23_134
; %bb.115:
	s_cmp_gt_i32 s24, 24
	s_cbranch_scc0 .LBB23_123
; %bb.116:
	s_wait_xcnt 0x0
	v_cvt_f32_f16_e32 v4, v1
	v_mov_b32_e32 v6, 0x80
	s_mov_b32 s25, exec_lo
	s_delay_alu instid0(VALU_DEP_2) | instskip(NEXT) | instid1(VALU_DEP_1)
	v_and_b32_e32 v5, 0x7fffffff, v4
	v_cmpx_gt_u32_e32 0x47800000, v5
	s_cbranch_execz .LBB23_122
; %bb.117:
	v_cmp_lt_u32_e32 vcc_lo, 0x37ffffff, v5
	s_mov_b32 s26, 0
                                        ; implicit-def: $vgpr5
	s_and_saveexec_b32 s27, vcc_lo
	s_delay_alu instid0(SALU_CYCLE_1)
	s_xor_b32 s27, exec_lo, s27
	s_cbranch_execz .LBB23_353
; %bb.118:
	v_bfe_u32 v5, v4, 21, 1
	s_mov_b32 s26, exec_lo
	s_delay_alu instid0(VALU_DEP_1) | instskip(NEXT) | instid1(VALU_DEP_1)
	v_add3_u32 v5, v4, v5, 0x88fffff
	v_lshrrev_b32_e32 v5, 21, v5
	s_and_not1_saveexec_b32 s27, s27
	s_cbranch_execnz .LBB23_354
.LBB23_119:
	s_or_b32 exec_lo, exec_lo, s27
	v_mov_b32_e32 v6, 0
	s_and_saveexec_b32 s27, s26
.LBB23_120:
	v_lshrrev_b32_e32 v4, 24, v4
	s_delay_alu instid0(VALU_DEP_1)
	v_and_or_b32 v6, 0x80, v4, v5
.LBB23_121:
	s_or_b32 exec_lo, exec_lo, s27
.LBB23_122:
	s_delay_alu instid0(SALU_CYCLE_1)
	s_or_b32 exec_lo, exec_lo, s25
	s_mov_b32 s25, 0
	global_store_b8 v[2:3], v6, off
.LBB23_123:
	s_and_b32 vcc_lo, exec_lo, s25
	s_cbranch_vccz .LBB23_133
; %bb.124:
	s_wait_xcnt 0x0
	v_cvt_f32_f16_e32 v4, v1
	s_mov_b32 s25, exec_lo
                                        ; implicit-def: $vgpr5
	s_delay_alu instid0(VALU_DEP_1) | instskip(NEXT) | instid1(VALU_DEP_1)
	v_and_b32_e32 v6, 0x7fffffff, v4
	v_cmpx_gt_u32_e32 0x43f00000, v6
	s_xor_b32 s25, exec_lo, s25
	s_cbranch_execz .LBB23_130
; %bb.125:
	s_mov_b32 s26, exec_lo
                                        ; implicit-def: $vgpr5
	v_cmpx_lt_u32_e32 0x3c7fffff, v6
	s_xor_b32 s26, exec_lo, s26
; %bb.126:
	v_bfe_u32 v5, v4, 20, 1
	s_delay_alu instid0(VALU_DEP_1) | instskip(NEXT) | instid1(VALU_DEP_1)
	v_add3_u32 v5, v4, v5, 0x407ffff
	v_and_b32_e32 v6, 0xff00000, v5
	v_lshrrev_b32_e32 v5, 20, v5
	s_delay_alu instid0(VALU_DEP_2) | instskip(NEXT) | instid1(VALU_DEP_2)
	v_cmp_ne_u32_e32 vcc_lo, 0x7f00000, v6
	v_cndmask_b32_e32 v5, 0x7e, v5, vcc_lo
; %bb.127:
	s_and_not1_saveexec_b32 s26, s26
; %bb.128:
	v_add_f32_e64 v5, 0x46800000, |v4|
; %bb.129:
	s_or_b32 exec_lo, exec_lo, s26
                                        ; implicit-def: $vgpr6
.LBB23_130:
	s_and_not1_saveexec_b32 s25, s25
; %bb.131:
	v_mov_b32_e32 v5, 0x7f
	v_cmp_lt_u32_e32 vcc_lo, 0x7f800000, v6
	s_delay_alu instid0(VALU_DEP_2)
	v_cndmask_b32_e32 v5, 0x7e, v5, vcc_lo
; %bb.132:
	s_or_b32 exec_lo, exec_lo, s25
	v_lshrrev_b32_e32 v4, 24, v4
	s_delay_alu instid0(VALU_DEP_1)
	v_and_or_b32 v4, 0x80, v4, v5
	global_store_b8 v[2:3], v4, off
.LBB23_133:
	s_mov_b32 s25, 0
.LBB23_134:
	s_delay_alu instid0(SALU_CYCLE_1)
	s_and_not1_b32 vcc_lo, exec_lo, s25
	s_cbranch_vccnz .LBB23_144
; %bb.135:
	s_wait_xcnt 0x0
	v_cvt_f32_f16_e32 v4, v1
	s_mov_b32 s25, exec_lo
                                        ; implicit-def: $vgpr5
	s_delay_alu instid0(VALU_DEP_1) | instskip(NEXT) | instid1(VALU_DEP_1)
	v_and_b32_e32 v6, 0x7fffffff, v4
	v_cmpx_gt_u32_e32 0x47800000, v6
	s_xor_b32 s25, exec_lo, s25
	s_cbranch_execz .LBB23_141
; %bb.136:
	s_mov_b32 s26, exec_lo
                                        ; implicit-def: $vgpr5
	v_cmpx_lt_u32_e32 0x387fffff, v6
	s_xor_b32 s26, exec_lo, s26
; %bb.137:
	v_bfe_u32 v5, v4, 21, 1
	s_delay_alu instid0(VALU_DEP_1) | instskip(NEXT) | instid1(VALU_DEP_1)
	v_add3_u32 v5, v4, v5, 0x80fffff
	v_lshrrev_b32_e32 v5, 21, v5
; %bb.138:
	s_and_not1_saveexec_b32 s26, s26
; %bb.139:
	v_add_f32_e64 v5, 0x43000000, |v4|
; %bb.140:
	s_or_b32 exec_lo, exec_lo, s26
                                        ; implicit-def: $vgpr6
.LBB23_141:
	s_and_not1_saveexec_b32 s25, s25
; %bb.142:
	v_mov_b32_e32 v5, 0x7f
	v_cmp_lt_u32_e32 vcc_lo, 0x7f800000, v6
	s_delay_alu instid0(VALU_DEP_2)
	v_cndmask_b32_e32 v5, 0x7c, v5, vcc_lo
; %bb.143:
	s_or_b32 exec_lo, exec_lo, s25
	v_lshrrev_b32_e32 v4, 24, v4
	s_delay_alu instid0(VALU_DEP_1)
	v_and_or_b32 v4, 0x80, v4, v5
	global_store_b8 v[2:3], v4, off
.LBB23_144:
	s_mov_b32 s26, 0
	s_mov_b32 s25, -1
.LBB23_145:
	s_and_not1_b32 vcc_lo, exec_lo, s26
	s_cbranch_vccnz .LBB23_153
; %bb.146:
	s_cmp_gt_i32 s24, 14
	s_mov_b32 s26, -1
	s_cbranch_scc0 .LBB23_150
; %bb.147:
	s_cmp_eq_u32 s24, 15
	s_mov_b32 s0, -1
	s_cbranch_scc0 .LBB23_149
; %bb.148:
	s_wait_xcnt 0x0
	v_cvt_f32_f16_e32 v4, v1
	v_cmp_o_f16_e32 vcc_lo, v1, v1
	s_mov_b32 s25, -1
	s_mov_b32 s0, 0
	s_delay_alu instid0(VALU_DEP_2) | instskip(NEXT) | instid1(VALU_DEP_1)
	v_bfe_u32 v5, v4, 16, 1
	v_add3_u32 v4, v4, v5, 0x7fff
	s_delay_alu instid0(VALU_DEP_1) | instskip(NEXT) | instid1(VALU_DEP_1)
	v_lshrrev_b32_e32 v4, 16, v4
	v_cndmask_b32_e32 v4, 0x7fc0, v4, vcc_lo
	global_store_b16 v[2:3], v4, off
.LBB23_149:
	s_mov_b32 s26, 0
.LBB23_150:
	s_delay_alu instid0(SALU_CYCLE_1)
	s_and_b32 vcc_lo, exec_lo, s26
	s_cbranch_vccz .LBB23_153
; %bb.151:
	s_cmp_eq_u32 s24, 11
	s_mov_b32 s0, -1
	s_cbranch_scc0 .LBB23_153
; %bb.152:
	s_wait_xcnt 0x0
	v_and_b32_e32 v4, 0x7fff, v1
	s_mov_b32 s0, 0
	s_mov_b32 s25, -1
	s_delay_alu instid0(VALU_DEP_1)
	v_cmp_ne_u16_e32 vcc_lo, 0, v4
	v_cndmask_b32_e64 v4, 0, 1, vcc_lo
	global_store_b8 v[2:3], v4, off
.LBB23_153:
.LBB23_154:
	s_and_not1_b32 vcc_lo, exec_lo, s25
	s_cbranch_vccnz .LBB23_265
.LBB23_155:
	v_add_nc_u32_e32 v0, 0x80, v0
	s_mov_b32 s23, -1
	s_branch .LBB23_266
.LBB23_156:
	s_mov_b32 s22, -1
                                        ; implicit-def: $vgpr1
.LBB23_157:
	s_mov_b32 s24, 0
.LBB23_158:
	s_delay_alu instid0(SALU_CYCLE_1)
	s_and_b32 vcc_lo, exec_lo, s24
	s_cbranch_vccz .LBB23_162
; %bb.159:
	s_cmp_eq_u32 s0, 29
	s_cbranch_scc0 .LBB23_161
; %bb.160:
	global_load_b64 v[6:7], v[4:5], off
	s_mov_b32 s23, -1
	s_mov_b32 s22, 0
	s_mov_b32 s24, 0
	s_wait_loadcnt 0x0
	v_clz_i32_u32_e32 v1, v7
	s_delay_alu instid0(VALU_DEP_1) | instskip(NEXT) | instid1(VALU_DEP_1)
	v_min_u32_e32 v1, 32, v1
	v_lshlrev_b64_e32 v[6:7], v1, v[6:7]
	v_sub_nc_u32_e32 v1, 32, v1
	s_delay_alu instid0(VALU_DEP_2) | instskip(NEXT) | instid1(VALU_DEP_1)
	v_min_u32_e32 v3, 1, v6
	v_or_b32_e32 v3, v7, v3
	s_delay_alu instid0(VALU_DEP_1) | instskip(NEXT) | instid1(VALU_DEP_1)
	v_cvt_f32_u32_e32 v3, v3
	v_ldexp_f32 v1, v3, v1
	s_delay_alu instid0(VALU_DEP_1)
	v_cvt_f16_f32_e32 v1, v1
	s_branch .LBB23_163
.LBB23_161:
	s_mov_b32 s22, -1
                                        ; implicit-def: $vgpr1
.LBB23_162:
	s_mov_b32 s24, 0
.LBB23_163:
	s_delay_alu instid0(SALU_CYCLE_1)
	s_and_b32 vcc_lo, exec_lo, s24
	s_cbranch_vccz .LBB23_181
; %bb.164:
	s_cmp_lt_i32 s0, 27
	s_cbranch_scc1 .LBB23_167
; %bb.165:
	s_cmp_gt_i32 s0, 27
	s_cbranch_scc0 .LBB23_168
; %bb.166:
	global_load_b32 v1, v[4:5], off
	s_mov_b32 s23, 0
	s_wait_loadcnt 0x0
	v_cvt_f32_u32_e32 v1, v1
	s_delay_alu instid0(VALU_DEP_1)
	v_cvt_f16_f32_e32 v1, v1
	s_branch .LBB23_169
.LBB23_167:
	s_mov_b32 s23, -1
                                        ; implicit-def: $vgpr1
	s_branch .LBB23_172
.LBB23_168:
	s_mov_b32 s23, -1
                                        ; implicit-def: $vgpr1
.LBB23_169:
	s_delay_alu instid0(SALU_CYCLE_1)
	s_and_not1_b32 vcc_lo, exec_lo, s23
	s_cbranch_vccnz .LBB23_171
; %bb.170:
	global_load_u16 v1, v[4:5], off
	s_wait_loadcnt 0x0
	v_cvt_f16_u16_e32 v1, v1
.LBB23_171:
	s_mov_b32 s23, 0
.LBB23_172:
	s_delay_alu instid0(SALU_CYCLE_1)
	s_and_not1_b32 vcc_lo, exec_lo, s23
	s_cbranch_vccnz .LBB23_180
; %bb.173:
	global_load_u8 v3, v[4:5], off
	s_mov_b32 s23, 0
	s_mov_b32 s24, exec_lo
	s_wait_loadcnt 0x0
	v_cmpx_lt_i16_e32 0x7f, v3
	s_xor_b32 s24, exec_lo, s24
	s_cbranch_execz .LBB23_193
; %bb.174:
	s_mov_b32 s23, -1
	s_mov_b32 s25, exec_lo
	v_cmpx_eq_u16_e32 0x80, v3
; %bb.175:
	s_xor_b32 s23, exec_lo, -1
; %bb.176:
	s_or_b32 exec_lo, exec_lo, s25
	s_delay_alu instid0(SALU_CYCLE_1)
	s_and_b32 s23, s23, exec_lo
	s_or_saveexec_b32 s24, s24
	v_mov_b32_e32 v1, 0x7e00
	s_xor_b32 exec_lo, exec_lo, s24
	s_cbranch_execnz .LBB23_194
.LBB23_177:
	s_or_b32 exec_lo, exec_lo, s24
	s_and_saveexec_b32 s24, s23
	s_cbranch_execz .LBB23_179
.LBB23_178:
	v_and_b32_e32 v1, 0xffff, v3
	s_delay_alu instid0(VALU_DEP_1) | instskip(SKIP_1) | instid1(VALU_DEP_2)
	v_and_b32_e32 v6, 7, v1
	v_bfe_u32 v9, v1, 3, 4
	v_clz_i32_u32_e32 v7, v6
	s_delay_alu instid0(VALU_DEP_2) | instskip(NEXT) | instid1(VALU_DEP_2)
	v_cmp_eq_u32_e32 vcc_lo, 0, v9
	v_min_u32_e32 v7, 32, v7
	s_delay_alu instid0(VALU_DEP_1) | instskip(NEXT) | instid1(VALU_DEP_1)
	v_subrev_nc_u32_e32 v8, 28, v7
	v_dual_lshlrev_b32 v1, v8, v1 :: v_dual_sub_nc_u32 v7, 29, v7
	s_delay_alu instid0(VALU_DEP_1) | instskip(NEXT) | instid1(VALU_DEP_1)
	v_dual_lshlrev_b32 v3, 24, v3 :: v_dual_bitop2_b32 v1, 7, v1 bitop3:0x40
	v_dual_cndmask_b32 v1, v6, v1, vcc_lo :: v_dual_cndmask_b32 v7, v9, v7, vcc_lo
	s_delay_alu instid0(VALU_DEP_2) | instskip(NEXT) | instid1(VALU_DEP_2)
	v_and_b32_e32 v3, 0x80000000, v3
	v_lshlrev_b32_e32 v1, 20, v1
	s_delay_alu instid0(VALU_DEP_3) | instskip(NEXT) | instid1(VALU_DEP_1)
	v_lshl_add_u32 v6, v7, 23, 0x3b800000
	v_or3_b32 v1, v3, v6, v1
	s_delay_alu instid0(VALU_DEP_1)
	v_cvt_f16_f32_e32 v1, v1
.LBB23_179:
	s_or_b32 exec_lo, exec_lo, s24
.LBB23_180:
	s_mov_b32 s23, -1
.LBB23_181:
	s_branch .LBB23_216
.LBB23_182:
	s_cmp_gt_i32 s0, 22
	s_cbranch_scc0 .LBB23_192
; %bb.183:
	s_cmp_lt_i32 s0, 24
	s_cbranch_scc1 .LBB23_195
; %bb.184:
	s_cmp_gt_i32 s0, 24
	s_cbranch_scc0 .LBB23_196
; %bb.185:
	global_load_u8 v3, v[4:5], off
	s_mov_b32 s23, 0
	s_mov_b32 s24, exec_lo
	s_wait_loadcnt 0x0
	v_cmpx_lt_i16_e32 0x7f, v3
	s_xor_b32 s24, exec_lo, s24
	s_cbranch_execz .LBB23_208
; %bb.186:
	s_mov_b32 s23, -1
	s_mov_b32 s25, exec_lo
	v_cmpx_eq_u16_e32 0x80, v3
; %bb.187:
	s_xor_b32 s23, exec_lo, -1
; %bb.188:
	s_or_b32 exec_lo, exec_lo, s25
	s_delay_alu instid0(SALU_CYCLE_1)
	s_and_b32 s23, s23, exec_lo
	s_or_saveexec_b32 s24, s24
	v_mov_b32_e32 v1, 0x7e00
	s_xor_b32 exec_lo, exec_lo, s24
	s_cbranch_execnz .LBB23_209
.LBB23_189:
	s_or_b32 exec_lo, exec_lo, s24
	s_and_saveexec_b32 s24, s23
	s_cbranch_execz .LBB23_191
.LBB23_190:
	v_and_b32_e32 v1, 0xffff, v3
	s_delay_alu instid0(VALU_DEP_1) | instskip(SKIP_1) | instid1(VALU_DEP_2)
	v_and_b32_e32 v6, 3, v1
	v_bfe_u32 v9, v1, 2, 5
	v_clz_i32_u32_e32 v7, v6
	s_delay_alu instid0(VALU_DEP_2) | instskip(NEXT) | instid1(VALU_DEP_2)
	v_cmp_eq_u32_e32 vcc_lo, 0, v9
	v_min_u32_e32 v7, 32, v7
	s_delay_alu instid0(VALU_DEP_1) | instskip(NEXT) | instid1(VALU_DEP_1)
	v_subrev_nc_u32_e32 v8, 29, v7
	v_dual_lshlrev_b32 v1, v8, v1 :: v_dual_sub_nc_u32 v7, 30, v7
	s_delay_alu instid0(VALU_DEP_1) | instskip(NEXT) | instid1(VALU_DEP_1)
	v_dual_lshlrev_b32 v3, 24, v3 :: v_dual_bitop2_b32 v1, 3, v1 bitop3:0x40
	v_dual_cndmask_b32 v1, v6, v1, vcc_lo :: v_dual_cndmask_b32 v7, v9, v7, vcc_lo
	s_delay_alu instid0(VALU_DEP_2) | instskip(NEXT) | instid1(VALU_DEP_2)
	v_and_b32_e32 v3, 0x80000000, v3
	v_lshlrev_b32_e32 v1, 21, v1
	s_delay_alu instid0(VALU_DEP_3) | instskip(NEXT) | instid1(VALU_DEP_1)
	v_lshl_add_u32 v6, v7, 23, 0x37800000
	v_or3_b32 v1, v3, v6, v1
	s_delay_alu instid0(VALU_DEP_1)
	v_cvt_f16_f32_e32 v1, v1
.LBB23_191:
	s_or_b32 exec_lo, exec_lo, s24
	s_mov_b32 s23, 0
	s_branch .LBB23_197
.LBB23_192:
	s_mov_b32 s24, -1
                                        ; implicit-def: $vgpr1
	s_branch .LBB23_203
.LBB23_193:
	s_or_saveexec_b32 s24, s24
	v_mov_b32_e32 v1, 0x7e00
	s_xor_b32 exec_lo, exec_lo, s24
	s_cbranch_execz .LBB23_177
.LBB23_194:
	v_cmp_ne_u16_e32 vcc_lo, 0, v3
	v_mov_b32_e32 v1, v3
	s_and_not1_b32 s23, s23, exec_lo
	s_and_b32 s25, vcc_lo, exec_lo
	s_delay_alu instid0(SALU_CYCLE_1)
	s_or_b32 s23, s23, s25
	s_or_b32 exec_lo, exec_lo, s24
	s_and_saveexec_b32 s24, s23
	s_cbranch_execnz .LBB23_178
	s_branch .LBB23_179
.LBB23_195:
	s_mov_b32 s23, -1
                                        ; implicit-def: $vgpr1
	s_branch .LBB23_200
.LBB23_196:
	s_mov_b32 s23, -1
                                        ; implicit-def: $vgpr1
.LBB23_197:
	s_delay_alu instid0(SALU_CYCLE_1)
	s_and_b32 vcc_lo, exec_lo, s23
	s_cbranch_vccz .LBB23_199
; %bb.198:
	global_load_u8 v1, v[4:5], off
	s_wait_loadcnt 0x0
	v_lshlrev_b32_e32 v1, 24, v1
	s_delay_alu instid0(VALU_DEP_1) | instskip(NEXT) | instid1(VALU_DEP_1)
	v_and_b32_e32 v3, 0x7f000000, v1
	v_clz_i32_u32_e32 v6, v3
	v_cmp_ne_u32_e32 vcc_lo, 0, v3
	v_add_nc_u32_e32 v8, 0x1000000, v3
	s_delay_alu instid0(VALU_DEP_3) | instskip(NEXT) | instid1(VALU_DEP_1)
	v_min_u32_e32 v6, 32, v6
	v_sub_nc_u32_e64 v6, v6, 4 clamp
	s_delay_alu instid0(VALU_DEP_1) | instskip(NEXT) | instid1(VALU_DEP_1)
	v_dual_lshlrev_b32 v7, v6, v3 :: v_dual_lshlrev_b32 v6, 23, v6
	v_lshrrev_b32_e32 v7, 4, v7
	s_delay_alu instid0(VALU_DEP_1) | instskip(NEXT) | instid1(VALU_DEP_1)
	v_dual_sub_nc_u32 v6, v7, v6 :: v_dual_ashrrev_i32 v7, 8, v8
	v_add_nc_u32_e32 v6, 0x3c000000, v6
	s_delay_alu instid0(VALU_DEP_1) | instskip(NEXT) | instid1(VALU_DEP_1)
	v_and_or_b32 v6, 0x7f800000, v7, v6
	v_cndmask_b32_e32 v3, 0, v6, vcc_lo
	s_delay_alu instid0(VALU_DEP_1) | instskip(NEXT) | instid1(VALU_DEP_1)
	v_and_or_b32 v1, 0x80000000, v1, v3
	v_cvt_f16_f32_e32 v1, v1
.LBB23_199:
	s_mov_b32 s23, 0
.LBB23_200:
	s_delay_alu instid0(SALU_CYCLE_1)
	s_and_not1_b32 vcc_lo, exec_lo, s23
	s_cbranch_vccnz .LBB23_202
; %bb.201:
	global_load_u8 v1, v[4:5], off
	s_wait_loadcnt 0x0
	v_lshlrev_b32_e32 v3, 25, v1
	v_lshlrev_b16 v1, 8, v1
	s_delay_alu instid0(VALU_DEP_1) | instskip(SKIP_1) | instid1(VALU_DEP_2)
	v_and_or_b32 v7, 0x7f00, v1, 0.5
	v_bfe_i32 v1, v1, 0, 16
	v_add_f32_e32 v7, -0.5, v7
	v_lshrrev_b32_e32 v6, 4, v3
	v_cmp_gt_u32_e32 vcc_lo, 0x8000000, v3
	s_delay_alu instid0(VALU_DEP_2) | instskip(NEXT) | instid1(VALU_DEP_1)
	v_or_b32_e32 v6, 0x70000000, v6
	v_mul_f32_e32 v6, 0x7800000, v6
	s_delay_alu instid0(VALU_DEP_1) | instskip(NEXT) | instid1(VALU_DEP_1)
	v_cndmask_b32_e32 v3, v6, v7, vcc_lo
	v_and_or_b32 v1, 0x80000000, v1, v3
	s_delay_alu instid0(VALU_DEP_1)
	v_cvt_f16_f32_e32 v1, v1
.LBB23_202:
	s_mov_b32 s24, 0
	s_mov_b32 s23, -1
.LBB23_203:
	s_and_not1_b32 vcc_lo, exec_lo, s24
	s_cbranch_vccnz .LBB23_216
; %bb.204:
	s_cmp_gt_i32 s0, 14
	s_cbranch_scc0 .LBB23_207
; %bb.205:
	s_cmp_eq_u32 s0, 15
	s_cbranch_scc0 .LBB23_210
; %bb.206:
	global_load_u16 v1, v[4:5], off
	s_mov_b32 s23, -1
	s_mov_b32 s22, 0
	s_wait_loadcnt 0x0
	v_lshlrev_b32_e32 v1, 16, v1
	s_delay_alu instid0(VALU_DEP_1)
	v_cvt_f16_f32_e32 v1, v1
	s_branch .LBB23_211
.LBB23_207:
	s_mov_b32 s24, -1
                                        ; implicit-def: $vgpr1
	s_branch .LBB23_212
.LBB23_208:
	s_or_saveexec_b32 s24, s24
	v_mov_b32_e32 v1, 0x7e00
	s_xor_b32 exec_lo, exec_lo, s24
	s_cbranch_execz .LBB23_189
.LBB23_209:
	v_cmp_ne_u16_e32 vcc_lo, 0, v3
	v_mov_b32_e32 v1, v3
	s_and_not1_b32 s23, s23, exec_lo
	s_and_b32 s25, vcc_lo, exec_lo
	s_delay_alu instid0(SALU_CYCLE_1)
	s_or_b32 s23, s23, s25
	s_or_b32 exec_lo, exec_lo, s24
	s_and_saveexec_b32 s24, s23
	s_cbranch_execnz .LBB23_190
	s_branch .LBB23_191
.LBB23_210:
	s_mov_b32 s22, -1
                                        ; implicit-def: $vgpr1
.LBB23_211:
	s_mov_b32 s24, 0
.LBB23_212:
	s_delay_alu instid0(SALU_CYCLE_1)
	s_and_b32 vcc_lo, exec_lo, s24
	s_cbranch_vccz .LBB23_216
; %bb.213:
	s_cmp_eq_u32 s0, 11
	s_cbranch_scc0 .LBB23_215
; %bb.214:
	global_load_u8 v1, v[4:5], off
	s_mov_b32 s22, 0
	s_mov_b32 s23, -1
	s_wait_loadcnt 0x0
	v_cmp_ne_u16_e32 vcc_lo, 0, v1
	v_cndmask_b32_e64 v1, 0, 0x3c00, vcc_lo
	s_branch .LBB23_216
.LBB23_215:
	s_mov_b32 s22, -1
                                        ; implicit-def: $vgpr1
.LBB23_216:
	s_branch .LBB23_25
.LBB23_217:
	s_cmp_lt_i32 s0, 5
	s_cbranch_scc1 .LBB23_222
; %bb.218:
	s_cmp_lt_i32 s0, 8
	s_cbranch_scc1 .LBB23_223
; %bb.219:
	;; [unrolled: 3-line block ×3, first 2 shown]
	s_cmp_gt_i32 s0, 9
	s_cbranch_scc0 .LBB23_225
; %bb.221:
	global_load_b64 v[6:7], v[4:5], off
	s_mov_b32 s23, 0
	s_wait_loadcnt 0x0
	v_and_or_b32 v1, 0x1ff, v7, v6
	v_lshrrev_b32_e32 v3, 8, v7
	v_bfe_u32 v6, v7, 20, 11
	s_delay_alu instid0(VALU_DEP_3) | instskip(NEXT) | instid1(VALU_DEP_2)
	v_cmp_ne_u32_e32 vcc_lo, 0, v1
	v_sub_nc_u32_e32 v8, 0x3f1, v6
	v_add_nc_u32_e32 v6, 0xfffffc10, v6
	v_cndmask_b32_e64 v1, 0, 1, vcc_lo
	s_delay_alu instid0(VALU_DEP_1) | instskip(NEXT) | instid1(VALU_DEP_4)
	v_and_or_b32 v1, 0xffe, v3, v1
	v_med3_i32 v3, v8, 0, 13
	s_delay_alu instid0(VALU_DEP_2) | instskip(NEXT) | instid1(VALU_DEP_1)
	v_or_b32_e32 v8, 0x1000, v1
	v_lshrrev_b32_e32 v9, v3, v8
	s_delay_alu instid0(VALU_DEP_1) | instskip(NEXT) | instid1(VALU_DEP_1)
	v_lshlrev_b32_e32 v3, v3, v9
	v_cmp_ne_u32_e32 vcc_lo, v3, v8
	v_lshl_or_b32 v8, v6, 12, v1
	v_cndmask_b32_e64 v3, 0, 1, vcc_lo
	v_cmp_gt_i32_e32 vcc_lo, 1, v6
	s_delay_alu instid0(VALU_DEP_2) | instskip(NEXT) | instid1(VALU_DEP_1)
	v_or_b32_e32 v3, v9, v3
	v_cndmask_b32_e32 v3, v8, v3, vcc_lo
	s_delay_alu instid0(VALU_DEP_1) | instskip(NEXT) | instid1(VALU_DEP_1)
	v_dual_lshrrev_b32 v3, 2, v3 :: v_dual_bitop2_b32 v8, 7, v3 bitop3:0x40
	v_cmp_lt_i32_e32 vcc_lo, 5, v8
	v_cndmask_b32_e64 v9, 0, 1, vcc_lo
	v_cmp_eq_u32_e32 vcc_lo, 3, v8
	v_cndmask_b32_e64 v8, 0, 1, vcc_lo
	v_cmp_ne_u32_e32 vcc_lo, 0, v1
	s_delay_alu instid0(VALU_DEP_2) | instskip(SKIP_1) | instid1(VALU_DEP_2)
	v_or_b32_e32 v8, v8, v9
	v_mov_b32_e32 v9, 0x7e00
	v_add_nc_u32_e32 v3, v3, v8
	s_delay_alu instid0(VALU_DEP_2) | instskip(SKIP_1) | instid1(VALU_DEP_3)
	v_cndmask_b32_e32 v1, 0x7c00, v9, vcc_lo
	v_cmp_gt_i32_e32 vcc_lo, 31, v6
	v_cndmask_b32_e32 v3, 0x7c00, v3, vcc_lo
	v_cmp_eq_u32_e32 vcc_lo, 0x40f, v6
	s_delay_alu instid0(VALU_DEP_2) | instskip(NEXT) | instid1(VALU_DEP_1)
	v_dual_cndmask_b32 v1, v3, v1, vcc_lo :: v_dual_lshrrev_b32 v3, 16, v7
	v_and_or_b32 v1, 0x8000, v3, v1
	s_branch .LBB23_226
.LBB23_222:
                                        ; implicit-def: $vgpr1
	s_branch .LBB23_244
.LBB23_223:
	s_mov_b32 s23, -1
                                        ; implicit-def: $vgpr1
	s_branch .LBB23_232
.LBB23_224:
	s_mov_b32 s23, -1
                                        ; implicit-def: $vgpr1
	s_branch .LBB23_229
.LBB23_225:
	s_mov_b32 s23, -1
                                        ; implicit-def: $vgpr1
.LBB23_226:
	s_delay_alu instid0(SALU_CYCLE_1)
	s_and_not1_b32 vcc_lo, exec_lo, s23
	s_cbranch_vccnz .LBB23_228
; %bb.227:
	global_load_b32 v1, v[4:5], off
	s_wait_loadcnt 0x0
	v_cvt_f16_f32_e32 v1, v1
.LBB23_228:
	s_mov_b32 s23, 0
.LBB23_229:
	s_delay_alu instid0(SALU_CYCLE_1)
	s_and_not1_b32 vcc_lo, exec_lo, s23
	s_cbranch_vccnz .LBB23_231
; %bb.230:
	global_load_b32 v1, v[4:5], off
.LBB23_231:
	s_mov_b32 s23, 0
.LBB23_232:
	s_delay_alu instid0(SALU_CYCLE_1)
	s_and_not1_b32 vcc_lo, exec_lo, s23
	s_cbranch_vccnz .LBB23_243
; %bb.233:
	s_cmp_lt_i32 s0, 6
	s_cbranch_scc1 .LBB23_236
; %bb.234:
	s_cmp_gt_i32 s0, 6
	s_cbranch_scc0 .LBB23_237
; %bb.235:
	global_load_b64 v[6:7], v[4:5], off
	s_mov_b32 s23, 0
	s_wait_loadcnt 0x0
	v_and_or_b32 v1, 0x1ff, v7, v6
	v_lshrrev_b32_e32 v3, 8, v7
	v_bfe_u32 v6, v7, 20, 11
	s_delay_alu instid0(VALU_DEP_3) | instskip(NEXT) | instid1(VALU_DEP_2)
	v_cmp_ne_u32_e32 vcc_lo, 0, v1
	v_sub_nc_u32_e32 v8, 0x3f1, v6
	v_add_nc_u32_e32 v6, 0xfffffc10, v6
	v_cndmask_b32_e64 v1, 0, 1, vcc_lo
	s_delay_alu instid0(VALU_DEP_1) | instskip(NEXT) | instid1(VALU_DEP_4)
	v_and_or_b32 v1, 0xffe, v3, v1
	v_med3_i32 v3, v8, 0, 13
	s_delay_alu instid0(VALU_DEP_2) | instskip(NEXT) | instid1(VALU_DEP_1)
	v_or_b32_e32 v8, 0x1000, v1
	v_lshrrev_b32_e32 v9, v3, v8
	s_delay_alu instid0(VALU_DEP_1) | instskip(NEXT) | instid1(VALU_DEP_1)
	v_lshlrev_b32_e32 v3, v3, v9
	v_cmp_ne_u32_e32 vcc_lo, v3, v8
	v_lshl_or_b32 v8, v6, 12, v1
	v_cndmask_b32_e64 v3, 0, 1, vcc_lo
	v_cmp_gt_i32_e32 vcc_lo, 1, v6
	s_delay_alu instid0(VALU_DEP_2) | instskip(NEXT) | instid1(VALU_DEP_1)
	v_or_b32_e32 v3, v9, v3
	v_cndmask_b32_e32 v3, v8, v3, vcc_lo
	s_delay_alu instid0(VALU_DEP_1) | instskip(NEXT) | instid1(VALU_DEP_1)
	v_dual_lshrrev_b32 v3, 2, v3 :: v_dual_bitop2_b32 v8, 7, v3 bitop3:0x40
	v_cmp_lt_i32_e32 vcc_lo, 5, v8
	v_cndmask_b32_e64 v9, 0, 1, vcc_lo
	v_cmp_eq_u32_e32 vcc_lo, 3, v8
	v_cndmask_b32_e64 v8, 0, 1, vcc_lo
	v_cmp_ne_u32_e32 vcc_lo, 0, v1
	s_delay_alu instid0(VALU_DEP_2) | instskip(SKIP_1) | instid1(VALU_DEP_2)
	v_or_b32_e32 v8, v8, v9
	v_mov_b32_e32 v9, 0x7e00
	v_add_nc_u32_e32 v3, v3, v8
	s_delay_alu instid0(VALU_DEP_2) | instskip(SKIP_1) | instid1(VALU_DEP_3)
	v_cndmask_b32_e32 v1, 0x7c00, v9, vcc_lo
	v_cmp_gt_i32_e32 vcc_lo, 31, v6
	v_cndmask_b32_e32 v3, 0x7c00, v3, vcc_lo
	v_cmp_eq_u32_e32 vcc_lo, 0x40f, v6
	s_delay_alu instid0(VALU_DEP_2) | instskip(NEXT) | instid1(VALU_DEP_1)
	v_dual_cndmask_b32 v1, v3, v1, vcc_lo :: v_dual_lshrrev_b32 v3, 16, v7
	v_and_or_b32 v1, 0x8000, v3, v1
	s_branch .LBB23_238
.LBB23_236:
	s_mov_b32 s23, -1
                                        ; implicit-def: $vgpr1
	s_branch .LBB23_241
.LBB23_237:
	s_mov_b32 s23, -1
                                        ; implicit-def: $vgpr1
.LBB23_238:
	s_delay_alu instid0(SALU_CYCLE_1)
	s_and_not1_b32 vcc_lo, exec_lo, s23
	s_cbranch_vccnz .LBB23_240
; %bb.239:
	s_wait_loadcnt 0x0
	global_load_b32 v1, v[4:5], off
	s_wait_loadcnt 0x0
	v_cvt_f16_f32_e32 v1, v1
.LBB23_240:
	s_mov_b32 s23, 0
.LBB23_241:
	s_delay_alu instid0(SALU_CYCLE_1)
	s_and_not1_b32 vcc_lo, exec_lo, s23
	s_cbranch_vccnz .LBB23_243
; %bb.242:
	s_wait_loadcnt 0x0
	global_load_u16 v1, v[4:5], off
.LBB23_243:
	s_cbranch_execnz .LBB23_263
.LBB23_244:
	s_cmp_lt_i32 s0, 2
	s_cbranch_scc1 .LBB23_248
; %bb.245:
	s_cmp_lt_i32 s0, 3
	s_cbranch_scc1 .LBB23_249
; %bb.246:
	s_cmp_gt_i32 s0, 3
	s_cbranch_scc0 .LBB23_250
; %bb.247:
	global_load_b64 v[6:7], v[4:5], off
	s_mov_b32 s23, 0
	s_wait_loadcnt 0x0
	v_xor_b32_e32 v1, v6, v7
	v_cls_i32_e32 v3, v7
	s_delay_alu instid0(VALU_DEP_2) | instskip(NEXT) | instid1(VALU_DEP_1)
	v_ashrrev_i32_e32 v1, 31, v1
	v_add_nc_u32_e32 v1, 32, v1
	s_delay_alu instid0(VALU_DEP_1) | instskip(NEXT) | instid1(VALU_DEP_1)
	v_add_min_u32_e64 v1, v3, -1, v1
	v_lshlrev_b64_e32 v[6:7], v1, v[6:7]
	v_sub_nc_u32_e32 v1, 32, v1
	s_delay_alu instid0(VALU_DEP_2) | instskip(NEXT) | instid1(VALU_DEP_1)
	v_min_u32_e32 v3, 1, v6
	v_or_b32_e32 v3, v7, v3
	s_delay_alu instid0(VALU_DEP_1) | instskip(NEXT) | instid1(VALU_DEP_1)
	v_cvt_f32_i32_e32 v3, v3
	v_ldexp_f32 v1, v3, v1
	s_delay_alu instid0(VALU_DEP_1)
	v_cvt_f16_f32_e32 v1, v1
	s_branch .LBB23_251
.LBB23_248:
	s_mov_b32 s23, -1
                                        ; implicit-def: $vgpr1
	s_branch .LBB23_257
.LBB23_249:
	s_mov_b32 s23, -1
                                        ; implicit-def: $vgpr1
	s_branch .LBB23_254
.LBB23_250:
	s_mov_b32 s23, -1
                                        ; implicit-def: $vgpr1
.LBB23_251:
	s_delay_alu instid0(SALU_CYCLE_1)
	s_and_not1_b32 vcc_lo, exec_lo, s23
	s_cbranch_vccnz .LBB23_253
; %bb.252:
	s_wait_loadcnt 0x0
	global_load_b32 v1, v[4:5], off
	s_wait_loadcnt 0x0
	v_cvt_f32_i32_e32 v1, v1
	s_delay_alu instid0(VALU_DEP_1)
	v_cvt_f16_f32_e32 v1, v1
.LBB23_253:
	s_mov_b32 s23, 0
.LBB23_254:
	s_delay_alu instid0(SALU_CYCLE_1)
	s_and_not1_b32 vcc_lo, exec_lo, s23
	s_cbranch_vccnz .LBB23_256
; %bb.255:
	s_wait_loadcnt 0x0
	global_load_u16 v1, v[4:5], off
	s_wait_loadcnt 0x0
	v_cvt_f16_i16_e32 v1, v1
.LBB23_256:
	s_mov_b32 s23, 0
.LBB23_257:
	s_delay_alu instid0(SALU_CYCLE_1)
	s_and_not1_b32 vcc_lo, exec_lo, s23
	s_cbranch_vccnz .LBB23_263
; %bb.258:
	s_cmp_gt_i32 s0, 0
	s_mov_b32 s0, 0
	s_cbranch_scc0 .LBB23_260
; %bb.259:
	s_wait_loadcnt 0x0
	global_load_i8 v1, v[4:5], off
	s_wait_loadcnt 0x0
	v_cvt_f16_i16_e32 v1, v1
	s_branch .LBB23_261
.LBB23_260:
	s_mov_b32 s0, -1
                                        ; implicit-def: $vgpr1
.LBB23_261:
	s_delay_alu instid0(SALU_CYCLE_1)
	s_and_not1_b32 vcc_lo, exec_lo, s0
	s_cbranch_vccnz .LBB23_263
; %bb.262:
	s_wait_loadcnt 0x0
	global_load_u8 v1, v[4:5], off
	s_wait_loadcnt 0x0
	v_cvt_f16_u16_e32 v1, v1
.LBB23_263:
	s_branch .LBB23_26
.LBB23_264:
	s_mov_b32 s0, 0
.LBB23_265:
	s_mov_b32 s23, 0
                                        ; implicit-def: $vgpr0
.LBB23_266:
	s_and_b32 s40, s0, exec_lo
	s_and_b32 s41, s22, exec_lo
	s_or_not1_b32 s22, s23, exec_lo
.LBB23_267:
	s_wait_xcnt 0x0
	s_or_b32 exec_lo, exec_lo, s42
	s_mov_b32 s23, 0
	s_mov_b32 s0, 0
                                        ; implicit-def: $vgpr4_vgpr5
                                        ; implicit-def: $vgpr2
                                        ; implicit-def: $vgpr6
	s_and_saveexec_b32 s42, s22
	s_cbranch_execz .LBB23_275
; %bb.268:
	s_mov_b32 s0, -1
	s_mov_b32 s43, s41
	s_mov_b32 s44, s40
	s_mov_b32 s45, exec_lo
	v_cmpx_gt_i32_e64 s37, v0
	s_cbranch_execz .LBB23_545
; %bb.269:
	s_and_not1_b32 vcc_lo, exec_lo, s31
	s_cbranch_vccnz .LBB23_278
; %bb.270:
	s_and_not1_b32 vcc_lo, exec_lo, s39
	s_cbranch_vccnz .LBB23_279
; %bb.271:
	s_add_co_i32 s0, s38, 1
	s_cmp_eq_u32 s29, 2
	s_cbranch_scc1 .LBB23_280
; %bb.272:
	v_dual_mov_b32 v2, 0 :: v_dual_mov_b32 v4, 0
	s_wait_loadcnt 0x0
	v_mov_b32_e32 v1, v0
	s_and_b32 s22, s0, 28
	s_mov_b64 s[24:25], s[2:3]
	s_mov_b64 s[26:27], s[20:21]
.LBB23_273:                             ; =>This Inner Loop Header: Depth=1
	s_clause 0x1
	s_load_b256 s[48:55], s[24:25], 0x4
	s_load_b128 s[64:67], s[24:25], 0x24
	s_load_b256 s[56:63], s[26:27], 0x0
	s_add_co_i32 s23, s23, 4
	s_wait_xcnt 0x0
	s_add_nc_u64 s[24:25], s[24:25], 48
	s_cmp_eq_u32 s22, s23
	s_add_nc_u64 s[26:27], s[26:27], 32
	s_wait_kmcnt 0x0
	v_mul_hi_u32 v3, s49, v1
	s_delay_alu instid0(VALU_DEP_1) | instskip(NEXT) | instid1(VALU_DEP_1)
	v_add_nc_u32_e32 v3, v1, v3
	v_lshrrev_b32_e32 v3, s50, v3
	s_delay_alu instid0(VALU_DEP_1) | instskip(NEXT) | instid1(VALU_DEP_1)
	v_mul_hi_u32 v5, s52, v3
	v_add_nc_u32_e32 v5, v3, v5
	s_delay_alu instid0(VALU_DEP_1) | instskip(NEXT) | instid1(VALU_DEP_1)
	v_lshrrev_b32_e32 v5, s53, v5
	v_mul_hi_u32 v6, s55, v5
	s_delay_alu instid0(VALU_DEP_1) | instskip(SKIP_1) | instid1(VALU_DEP_1)
	v_add_nc_u32_e32 v6, v5, v6
	v_mul_lo_u32 v7, v3, s48
	v_sub_nc_u32_e32 v1, v1, v7
	v_mul_lo_u32 v7, v5, s51
	s_delay_alu instid0(VALU_DEP_4) | instskip(NEXT) | instid1(VALU_DEP_3)
	v_lshrrev_b32_e32 v6, s64, v6
	v_mad_u32 v4, v1, s57, v4
	v_mad_u32 v1, v1, s56, v2
	s_delay_alu instid0(VALU_DEP_4) | instskip(NEXT) | instid1(VALU_DEP_4)
	v_sub_nc_u32_e32 v2, v3, v7
	v_mul_hi_u32 v8, s66, v6
	v_mul_lo_u32 v3, v6, s54
	s_delay_alu instid0(VALU_DEP_3) | instskip(SKIP_1) | instid1(VALU_DEP_3)
	v_mad_u32 v4, v2, s59, v4
	v_mad_u32 v2, v2, s58, v1
	v_dual_add_nc_u32 v7, v6, v8 :: v_dual_sub_nc_u32 v3, v5, v3
	s_delay_alu instid0(VALU_DEP_1) | instskip(NEXT) | instid1(VALU_DEP_2)
	v_lshrrev_b32_e32 v1, s67, v7
	v_mad_u32 v4, v3, s61, v4
	s_delay_alu instid0(VALU_DEP_4) | instskip(NEXT) | instid1(VALU_DEP_3)
	v_mad_u32 v2, v3, s60, v2
	v_mul_lo_u32 v5, v1, s65
	s_delay_alu instid0(VALU_DEP_1) | instskip(NEXT) | instid1(VALU_DEP_1)
	v_sub_nc_u32_e32 v3, v6, v5
	v_mad_u32 v4, v3, s63, v4
	s_delay_alu instid0(VALU_DEP_4)
	v_mad_u32 v2, v3, s62, v2
	s_cbranch_scc0 .LBB23_273
; %bb.274:
	s_delay_alu instid0(VALU_DEP_2)
	v_mov_b32_e32 v3, v4
	s_branch .LBB23_281
.LBB23_275:
	s_or_b32 exec_lo, exec_lo, s42
	s_mov_b32 s1, 0
	s_and_saveexec_b32 s6, s41
	s_cbranch_execnz .LBB23_926
.LBB23_276:
	s_or_b32 exec_lo, exec_lo, s6
	s_and_saveexec_b32 s6, s17
	s_delay_alu instid0(SALU_CYCLE_1)
	s_xor_b32 s6, exec_lo, s6
	s_cbranch_execz .LBB23_927
.LBB23_277:
	global_load_u8 v0, v[4:5], off
	s_or_b32 s0, s0, exec_lo
	s_wait_loadcnt 0x0
	v_cmp_ne_u16_e32 vcc_lo, 0, v0
	v_cndmask_b32_e64 v6, 0, 0x3c00, vcc_lo
	s_wait_xcnt 0x0
	s_or_b32 exec_lo, exec_lo, s6
	s_and_saveexec_b32 s6, s23
	s_cbranch_execz .LBB23_973
	s_branch .LBB23_928
.LBB23_278:
                                        ; implicit-def: $vgpr4
                                        ; implicit-def: $vgpr2
	s_and_not1_b32 vcc_lo, exec_lo, s0
	s_cbranch_vccnz .LBB23_288
	s_branch .LBB23_286
.LBB23_279:
	v_dual_mov_b32 v4, 0 :: v_dual_mov_b32 v2, 0
	s_branch .LBB23_285
.LBB23_280:
	v_mov_b64_e32 v[2:3], 0
	s_wait_loadcnt 0x0
	v_mov_b32_e32 v1, v0
	s_mov_b32 s22, 0
                                        ; implicit-def: $vgpr4
.LBB23_281:
	s_and_b32 s0, s0, 3
	s_mov_b32 s23, 0
	s_cmp_eq_u32 s0, 0
	s_cbranch_scc1 .LBB23_285
; %bb.282:
	s_lshl_b32 s24, s22, 3
	s_mov_b32 s25, s23
	s_mul_u64 s[26:27], s[22:23], 12
	s_add_nc_u64 s[24:25], s[2:3], s[24:25]
	s_delay_alu instid0(SALU_CYCLE_1)
	s_add_nc_u64 s[22:23], s[24:25], 0xc4
	s_add_nc_u64 s[24:25], s[2:3], s[26:27]
.LBB23_283:                             ; =>This Inner Loop Header: Depth=1
	s_load_b96 s[48:50], s[24:25], 0x4
	s_load_b64 s[26:27], s[22:23], 0x0
	s_add_co_i32 s0, s0, -1
	s_wait_xcnt 0x0
	s_add_nc_u64 s[24:25], s[24:25], 12
	s_cmp_lg_u32 s0, 0
	s_add_nc_u64 s[22:23], s[22:23], 8
	s_wait_kmcnt 0x0
	v_mul_hi_u32 v4, s49, v1
	s_delay_alu instid0(VALU_DEP_1) | instskip(NEXT) | instid1(VALU_DEP_1)
	v_add_nc_u32_e32 v4, v1, v4
	v_lshrrev_b32_e32 v4, s50, v4
	s_delay_alu instid0(VALU_DEP_1) | instskip(NEXT) | instid1(VALU_DEP_1)
	v_mul_lo_u32 v5, v4, s48
	v_sub_nc_u32_e32 v1, v1, v5
	s_delay_alu instid0(VALU_DEP_1)
	v_mad_u32 v3, v1, s27, v3
	v_mad_u32 v2, v1, s26, v2
	v_mov_b32_e32 v1, v4
	s_cbranch_scc1 .LBB23_283
; %bb.284:
	s_delay_alu instid0(VALU_DEP_3)
	v_mov_b32_e32 v4, v3
.LBB23_285:
	s_cbranch_execnz .LBB23_288
.LBB23_286:
	s_wait_loadcnt 0x0
	v_mov_b32_e32 v1, 0
	s_and_not1_b32 vcc_lo, exec_lo, s36
	s_delay_alu instid0(VALU_DEP_1) | instskip(NEXT) | instid1(VALU_DEP_1)
	v_mul_u64_e32 v[2:3], s[16:17], v[0:1]
	v_add_nc_u32_e32 v2, v0, v3
	s_delay_alu instid0(VALU_DEP_1) | instskip(NEXT) | instid1(VALU_DEP_1)
	v_lshrrev_b32_e32 v6, s10, v2
	v_mul_lo_u32 v2, v6, s8
	s_delay_alu instid0(VALU_DEP_1) | instskip(NEXT) | instid1(VALU_DEP_1)
	v_sub_nc_u32_e32 v2, v0, v2
	v_mul_lo_u32 v4, v2, s13
	v_mul_lo_u32 v2, v2, s12
	s_cbranch_vccnz .LBB23_288
; %bb.287:
	v_mov_b32_e32 v7, v1
	s_delay_alu instid0(VALU_DEP_1) | instskip(NEXT) | instid1(VALU_DEP_1)
	v_mul_u64_e32 v[8:9], s[18:19], v[6:7]
	v_add_nc_u32_e32 v1, v6, v9
	s_delay_alu instid0(VALU_DEP_1) | instskip(NEXT) | instid1(VALU_DEP_1)
	v_lshrrev_b32_e32 v1, s1, v1
	v_mul_lo_u32 v1, v1, s11
	s_delay_alu instid0(VALU_DEP_1) | instskip(NEXT) | instid1(VALU_DEP_1)
	v_sub_nc_u32_e32 v1, v6, v1
	v_mad_u32 v2, v1, s14, v2
	v_mad_u32 v4, v1, s15, v4
.LBB23_288:
	v_mov_b32_e32 v5, 0
	s_and_b32 s0, 0xffff, s9
	s_delay_alu instid0(SALU_CYCLE_1) | instskip(NEXT) | instid1(VALU_DEP_1)
	s_cmp_lt_i32 s0, 11
	v_add_nc_u64_e32 v[4:5], s[6:7], v[4:5]
	s_cbranch_scc1 .LBB23_295
; %bb.289:
	s_cmp_gt_i32 s0, 25
	s_cbranch_scc0 .LBB23_344
; %bb.290:
	s_cmp_gt_i32 s0, 28
	s_cbranch_scc0 .LBB23_345
	;; [unrolled: 3-line block ×4, first 2 shown]
; %bb.293:
	s_cmp_eq_u32 s0, 46
	s_mov_b32 s24, 0
	s_cbranch_scc0 .LBB23_355
; %bb.294:
	s_wait_loadcnt 0x0
	global_load_b32 v1, v[4:5], off
	s_mov_b32 s23, -1
	s_mov_b32 s22, 0
	s_wait_loadcnt 0x0
	v_lshlrev_b32_e32 v1, 16, v1
	s_delay_alu instid0(VALU_DEP_1)
	v_cvt_f16_f32_e32 v1, v1
	s_branch .LBB23_357
.LBB23_295:
	s_mov_b32 s23, 0
	s_mov_b32 s22, s41
                                        ; implicit-def: $vgpr1
	s_cbranch_execnz .LBB23_494
.LBB23_296:
	s_and_not1_b32 vcc_lo, exec_lo, s23
	s_cbranch_vccnz .LBB23_542
.LBB23_297:
	s_wait_loadcnt 0x0
	s_delay_alu instid0(VALU_DEP_1)
	v_cmp_nge_f16_e64 s0, v1, -s34
	v_cmp_nge_f16_e32 vcc_lo, s34, v1
	s_and_b32 s23, s35, 0xff
	s_mov_b32 s25, 0
	s_mov_b32 s24, -1
	s_or_b32 vcc_lo, s0, vcc_lo
	s_delay_alu instid0(SALU_CYCLE_1) | instskip(SKIP_2) | instid1(VALU_DEP_1)
	v_dual_mov_b32 v3, 0 :: v_dual_cndmask_b32 v1, 0, v1, vcc_lo
	s_cmp_lt_i32 s23, 11
	s_mov_b32 s0, s40
	v_add_nc_u64_e32 v[2:3], s[4:5], v[2:3]
	s_cbranch_scc1 .LBB23_304
; %bb.298:
	s_and_b32 s24, 0xffff, s23
	s_delay_alu instid0(SALU_CYCLE_1)
	s_cmp_gt_i32 s24, 25
	s_cbranch_scc0 .LBB23_346
; %bb.299:
	s_cmp_gt_i32 s24, 28
	s_cbranch_scc0 .LBB23_348
; %bb.300:
	;; [unrolled: 3-line block ×4, first 2 shown]
	s_mov_b32 s26, 0
	s_mov_b32 s0, -1
	s_cmp_eq_u32 s24, 46
	s_cbranch_scc0 .LBB23_361
; %bb.303:
	s_wait_xcnt 0x0
	v_cvt_f32_f16_e32 v4, v1
	v_cmp_o_f16_e32 vcc_lo, v1, v1
	s_mov_b32 s25, -1
	s_mov_b32 s0, 0
	s_delay_alu instid0(VALU_DEP_2) | instskip(NEXT) | instid1(VALU_DEP_1)
	v_bfe_u32 v5, v4, 16, 1
	v_add3_u32 v4, v4, v5, 0x7fff
	s_delay_alu instid0(VALU_DEP_1) | instskip(NEXT) | instid1(VALU_DEP_1)
	v_lshrrev_b32_e32 v4, 16, v4
	v_cndmask_b32_e32 v4, 0x7fc0, v4, vcc_lo
	global_store_b32 v[2:3], v4, off
	s_branch .LBB23_361
.LBB23_304:
	s_and_b32 vcc_lo, exec_lo, s24
	s_cbranch_vccz .LBB23_430
; %bb.305:
	s_and_b32 s23, 0xffff, s23
	s_mov_b32 s24, -1
	s_cmp_lt_i32 s23, 5
	s_cbranch_scc1 .LBB23_326
; %bb.306:
	s_cmp_lt_i32 s23, 8
	s_cbranch_scc1 .LBB23_316
; %bb.307:
	;; [unrolled: 3-line block ×3, first 2 shown]
	s_cmp_gt_i32 s23, 9
	s_cbranch_scc0 .LBB23_310
; %bb.309:
	s_wait_xcnt 0x0
	v_cvt_f32_f16_e32 v4, v1
	v_mov_b32_e32 v6, 0
	s_mov_b32 s24, 0
	s_delay_alu instid0(VALU_DEP_2) | instskip(NEXT) | instid1(VALU_DEP_2)
	v_cvt_f64_f32_e32 v[4:5], v4
	v_mov_b32_e32 v7, v6
	global_store_b128 v[2:3], v[4:7], off
.LBB23_310:
	s_and_not1_b32 vcc_lo, exec_lo, s24
	s_cbranch_vccnz .LBB23_312
; %bb.311:
	s_wait_xcnt 0x0
	v_cvt_f32_f16_e32 v4, v1
	v_mov_b32_e32 v5, 0
	global_store_b64 v[2:3], v[4:5], off
.LBB23_312:
	s_mov_b32 s24, 0
.LBB23_313:
	s_delay_alu instid0(SALU_CYCLE_1)
	s_and_not1_b32 vcc_lo, exec_lo, s24
	s_cbranch_vccnz .LBB23_315
; %bb.314:
	s_wait_xcnt 0x0
	v_and_b32_e32 v4, 0xffff, v1
	global_store_b32 v[2:3], v4, off
.LBB23_315:
	s_mov_b32 s24, 0
.LBB23_316:
	s_delay_alu instid0(SALU_CYCLE_1)
	s_and_not1_b32 vcc_lo, exec_lo, s24
	s_cbranch_vccnz .LBB23_325
; %bb.317:
	s_cmp_lt_i32 s23, 6
	s_mov_b32 s24, -1
	s_cbranch_scc1 .LBB23_323
; %bb.318:
	s_cmp_gt_i32 s23, 6
	s_cbranch_scc0 .LBB23_320
; %bb.319:
	s_wait_xcnt 0x0
	v_cvt_f32_f16_e32 v4, v1
	s_mov_b32 s24, 0
	s_delay_alu instid0(VALU_DEP_1)
	v_cvt_f64_f32_e32 v[4:5], v4
	global_store_b64 v[2:3], v[4:5], off
.LBB23_320:
	s_and_not1_b32 vcc_lo, exec_lo, s24
	s_cbranch_vccnz .LBB23_322
; %bb.321:
	s_wait_xcnt 0x0
	v_cvt_f32_f16_e32 v4, v1
	global_store_b32 v[2:3], v4, off
.LBB23_322:
	s_mov_b32 s24, 0
.LBB23_323:
	s_delay_alu instid0(SALU_CYCLE_1)
	s_and_not1_b32 vcc_lo, exec_lo, s24
	s_cbranch_vccnz .LBB23_325
; %bb.324:
	global_store_b16 v[2:3], v1, off
.LBB23_325:
	s_mov_b32 s24, 0
.LBB23_326:
	s_delay_alu instid0(SALU_CYCLE_1)
	s_and_not1_b32 vcc_lo, exec_lo, s24
	s_cbranch_vccnz .LBB23_342
; %bb.327:
	s_cmp_lt_i32 s23, 2
	s_mov_b32 s24, -1
	s_cbranch_scc1 .LBB23_337
; %bb.328:
	s_cmp_lt_i32 s23, 3
	s_cbranch_scc1 .LBB23_334
; %bb.329:
	s_cmp_gt_i32 s23, 3
	s_cbranch_scc0 .LBB23_331
; %bb.330:
	s_wait_xcnt 0x0
	v_cvt_f32_f16_e32 v4, v1
	s_mov_b32 s24, 0
	s_delay_alu instid0(VALU_DEP_1) | instskip(NEXT) | instid1(VALU_DEP_1)
	v_cvt_i32_f32_e32 v4, v4
	v_ashrrev_i32_e32 v5, 31, v4
	global_store_b64 v[2:3], v[4:5], off
.LBB23_331:
	s_and_not1_b32 vcc_lo, exec_lo, s24
	s_cbranch_vccnz .LBB23_333
; %bb.332:
	s_wait_xcnt 0x0
	v_cvt_f32_f16_e32 v4, v1
	s_delay_alu instid0(VALU_DEP_1)
	v_cvt_i32_f32_e32 v4, v4
	global_store_b32 v[2:3], v4, off
.LBB23_333:
	s_mov_b32 s24, 0
.LBB23_334:
	s_delay_alu instid0(SALU_CYCLE_1)
	s_and_not1_b32 vcc_lo, exec_lo, s24
	s_cbranch_vccnz .LBB23_336
; %bb.335:
	s_wait_xcnt 0x0
	v_cvt_i16_f16_e32 v4, v1
	global_store_b16 v[2:3], v4, off
.LBB23_336:
	s_mov_b32 s24, 0
.LBB23_337:
	s_delay_alu instid0(SALU_CYCLE_1)
	s_and_not1_b32 vcc_lo, exec_lo, s24
	s_cbranch_vccnz .LBB23_342
; %bb.338:
	s_cmp_gt_i32 s23, 0
	s_mov_b32 s23, -1
	s_cbranch_scc0 .LBB23_340
; %bb.339:
	s_wait_xcnt 0x0
	v_cvt_i16_f16_e32 v4, v1
	s_mov_b32 s23, 0
	global_store_b8 v[2:3], v4, off
.LBB23_340:
	s_and_not1_b32 vcc_lo, exec_lo, s23
	s_cbranch_vccnz .LBB23_342
; %bb.341:
	s_wait_xcnt 0x0
	v_cvt_f32_f16_e32 v1, v1
	s_delay_alu instid0(VALU_DEP_1)
	v_cvt_i32_f32_e32 v1, v1
	global_store_b8 v[2:3], v1, off
.LBB23_342:
	s_branch .LBB23_431
.LBB23_343:
	s_mov_b32 s23, 0
	s_branch .LBB23_543
.LBB23_344:
	s_mov_b32 s24, -1
	s_mov_b32 s23, 0
	s_mov_b32 s22, s41
                                        ; implicit-def: $vgpr1
	s_branch .LBB23_458
.LBB23_345:
	s_mov_b32 s24, -1
	s_mov_b32 s23, 0
	s_mov_b32 s22, s41
                                        ; implicit-def: $vgpr1
	s_branch .LBB23_439
.LBB23_346:
	s_mov_b32 s26, -1
	s_mov_b32 s0, s40
	s_branch .LBB23_388
.LBB23_347:
	s_mov_b32 s24, -1
	s_mov_b32 s23, 0
	s_mov_b32 s22, s41
                                        ; implicit-def: $vgpr1
	s_branch .LBB23_434
.LBB23_348:
	s_mov_b32 s26, -1
	s_mov_b32 s0, s40
	s_branch .LBB23_371
.LBB23_349:
	s_and_not1_saveexec_b32 s27, s27
	s_cbranch_execz .LBB23_106
.LBB23_350:
	v_add_f32_e64 v5, 0x46000000, |v4|
	s_and_not1_b32 s26, s26, exec_lo
	s_delay_alu instid0(VALU_DEP_1) | instskip(NEXT) | instid1(VALU_DEP_1)
	v_and_b32_e32 v5, 0xff, v5
	v_cmp_ne_u32_e32 vcc_lo, 0, v5
	s_and_b32 s40, vcc_lo, exec_lo
	s_delay_alu instid0(SALU_CYCLE_1)
	s_or_b32 s26, s26, s40
	s_or_b32 exec_lo, exec_lo, s27
	v_mov_b32_e32 v6, 0
	s_and_saveexec_b32 s27, s26
	s_cbranch_execnz .LBB23_107
	s_branch .LBB23_108
.LBB23_351:
	s_mov_b32 s24, -1
	s_mov_b32 s23, 0
	s_mov_b32 s22, s41
	s_branch .LBB23_356
.LBB23_352:
	s_mov_b32 s26, -1
	s_mov_b32 s0, s40
	s_branch .LBB23_367
.LBB23_353:
	s_and_not1_saveexec_b32 s27, s27
	s_cbranch_execz .LBB23_119
.LBB23_354:
	v_add_f32_e64 v5, 0x42800000, |v4|
	s_and_not1_b32 s26, s26, exec_lo
	s_delay_alu instid0(VALU_DEP_1) | instskip(NEXT) | instid1(VALU_DEP_1)
	v_and_b32_e32 v5, 0xff, v5
	v_cmp_ne_u32_e32 vcc_lo, 0, v5
	s_and_b32 s40, vcc_lo, exec_lo
	s_delay_alu instid0(SALU_CYCLE_1)
	s_or_b32 s26, s26, s40
	s_or_b32 exec_lo, exec_lo, s27
	v_mov_b32_e32 v6, 0
	s_and_saveexec_b32 s27, s26
	s_cbranch_execnz .LBB23_120
	s_branch .LBB23_121
.LBB23_355:
	s_mov_b32 s22, -1
	s_mov_b32 s23, 0
.LBB23_356:
                                        ; implicit-def: $vgpr1
.LBB23_357:
	s_and_b32 vcc_lo, exec_lo, s24
	s_cbranch_vccz .LBB23_433
; %bb.358:
	s_cmp_eq_u32 s0, 44
	s_cbranch_scc0 .LBB23_432
; %bb.359:
	s_wait_loadcnt 0x0
	global_load_u8 v1, v[4:5], off
	s_mov_b32 s22, 0
	s_mov_b32 s23, -1
	s_wait_loadcnt 0x0
	v_lshlrev_b32_e32 v3, 23, v1
	v_cmp_ne_u32_e32 vcc_lo, 0xff, v1
	s_delay_alu instid0(VALU_DEP_2) | instskip(NEXT) | instid1(VALU_DEP_1)
	v_cvt_f16_f32_e32 v3, v3
	v_cndmask_b32_e32 v3, 0x7e00, v3, vcc_lo
	v_cmp_ne_u32_e32 vcc_lo, 0, v1
	s_delay_alu instid0(VALU_DEP_2)
	v_cndmask_b32_e32 v1, 0, v3, vcc_lo
	s_branch .LBB23_433
.LBB23_360:
	s_mov_b32 s26, -1
	s_mov_b32 s0, s40
.LBB23_361:
	s_and_b32 vcc_lo, exec_lo, s26
	s_cbranch_vccz .LBB23_366
; %bb.362:
	s_cmp_eq_u32 s24, 44
	s_mov_b32 s0, -1
	s_cbranch_scc0 .LBB23_366
; %bb.363:
	s_wait_xcnt 0x0
	v_cvt_f32_f16_e32 v4, v1
	v_mov_b32_e32 v5, 0xff
	s_mov_b32 s25, exec_lo
	s_delay_alu instid0(VALU_DEP_2) | instskip(NEXT) | instid1(VALU_DEP_1)
	v_bfe_u32 v6, v4, 23, 8
	v_cmpx_ne_u32_e32 0xff, v6
	s_cbranch_execz .LBB23_365
; %bb.364:
	v_and_b32_e32 v5, 0x400000, v4
	v_and_or_b32 v6, 0x3fffff, v4, v6
	v_lshrrev_b32_e32 v4, 23, v4
	s_delay_alu instid0(VALU_DEP_3) | instskip(NEXT) | instid1(VALU_DEP_3)
	v_cmp_ne_u32_e32 vcc_lo, 0, v5
	v_cmp_ne_u32_e64 s0, 0, v6
	s_and_b32 s0, vcc_lo, s0
	s_delay_alu instid0(SALU_CYCLE_1) | instskip(NEXT) | instid1(VALU_DEP_1)
	v_cndmask_b32_e64 v5, 0, 1, s0
	v_add_nc_u32_e32 v5, v4, v5
.LBB23_365:
	s_or_b32 exec_lo, exec_lo, s25
	s_mov_b32 s25, -1
	s_mov_b32 s0, 0
	global_store_b8 v[2:3], v5, off
.LBB23_366:
	s_mov_b32 s26, 0
.LBB23_367:
	s_delay_alu instid0(SALU_CYCLE_1)
	s_and_b32 vcc_lo, exec_lo, s26
	s_cbranch_vccz .LBB23_370
; %bb.368:
	s_cmp_eq_u32 s24, 29
	s_mov_b32 s0, -1
	s_cbranch_scc0 .LBB23_370
; %bb.369:
	s_wait_xcnt 0x0
	v_cvt_f32_f16_e32 v4, v1
	v_mov_b32_e32 v5, 0
	s_mov_b32 s25, -1
	s_mov_b32 s0, 0
	s_mov_b32 s26, 0
	v_cvt_u32_f32_e32 v4, v4
	global_store_b64 v[2:3], v[4:5], off
	s_branch .LBB23_371
.LBB23_370:
	s_mov_b32 s26, 0
.LBB23_371:
	s_delay_alu instid0(SALU_CYCLE_1)
	s_and_b32 vcc_lo, exec_lo, s26
	s_cbranch_vccz .LBB23_387
; %bb.372:
	s_cmp_lt_i32 s24, 27
	s_mov_b32 s25, -1
	s_cbranch_scc1 .LBB23_378
; %bb.373:
	s_cmp_gt_i32 s24, 27
	s_cbranch_scc0 .LBB23_375
; %bb.374:
	s_wait_xcnt 0x0
	v_cvt_f32_f16_e32 v4, v1
	s_mov_b32 s25, 0
	s_delay_alu instid0(VALU_DEP_1)
	v_cvt_u32_f32_e32 v4, v4
	global_store_b32 v[2:3], v4, off
.LBB23_375:
	s_and_not1_b32 vcc_lo, exec_lo, s25
	s_cbranch_vccnz .LBB23_377
; %bb.376:
	s_wait_xcnt 0x0
	v_cvt_u16_f16_e32 v4, v1
	global_store_b16 v[2:3], v4, off
.LBB23_377:
	s_mov_b32 s25, 0
.LBB23_378:
	s_delay_alu instid0(SALU_CYCLE_1)
	s_and_not1_b32 vcc_lo, exec_lo, s25
	s_cbranch_vccnz .LBB23_386
; %bb.379:
	s_wait_xcnt 0x0
	v_cvt_f32_f16_e32 v4, v1
	v_mov_b32_e32 v6, 0x80
	s_mov_b32 s25, exec_lo
	s_delay_alu instid0(VALU_DEP_2) | instskip(NEXT) | instid1(VALU_DEP_1)
	v_and_b32_e32 v5, 0x7fffffff, v4
	v_cmpx_gt_u32_e32 0x43800000, v5
	s_cbranch_execz .LBB23_385
; %bb.380:
	v_cmp_lt_u32_e32 vcc_lo, 0x3bffffff, v5
	s_mov_b32 s26, 0
                                        ; implicit-def: $vgpr5
	s_and_saveexec_b32 s27, vcc_lo
	s_delay_alu instid0(SALU_CYCLE_1)
	s_xor_b32 s27, exec_lo, s27
	s_cbranch_execz .LBB23_575
; %bb.381:
	v_bfe_u32 v5, v4, 20, 1
	s_mov_b32 s26, exec_lo
	s_delay_alu instid0(VALU_DEP_1) | instskip(NEXT) | instid1(VALU_DEP_1)
	v_add3_u32 v5, v4, v5, 0x487ffff
	v_lshrrev_b32_e32 v5, 20, v5
	s_and_not1_saveexec_b32 s27, s27
	s_cbranch_execnz .LBB23_576
.LBB23_382:
	s_or_b32 exec_lo, exec_lo, s27
	v_mov_b32_e32 v6, 0
	s_and_saveexec_b32 s27, s26
.LBB23_383:
	v_lshrrev_b32_e32 v4, 24, v4
	s_delay_alu instid0(VALU_DEP_1)
	v_and_or_b32 v6, 0x80, v4, v5
.LBB23_384:
	s_or_b32 exec_lo, exec_lo, s27
.LBB23_385:
	s_delay_alu instid0(SALU_CYCLE_1)
	s_or_b32 exec_lo, exec_lo, s25
	global_store_b8 v[2:3], v6, off
.LBB23_386:
	s_mov_b32 s25, -1
.LBB23_387:
	s_mov_b32 s26, 0
.LBB23_388:
	s_delay_alu instid0(SALU_CYCLE_1)
	s_and_b32 vcc_lo, exec_lo, s26
	s_cbranch_vccz .LBB23_429
; %bb.389:
	s_cmp_gt_i32 s24, 22
	s_mov_b32 s26, -1
	s_cbranch_scc0 .LBB23_421
; %bb.390:
	s_cmp_lt_i32 s24, 24
	s_mov_b32 s25, -1
	s_cbranch_scc1 .LBB23_410
; %bb.391:
	s_cmp_gt_i32 s24, 24
	s_cbranch_scc0 .LBB23_399
; %bb.392:
	s_wait_xcnt 0x0
	v_cvt_f32_f16_e32 v4, v1
	v_mov_b32_e32 v6, 0x80
	s_mov_b32 s25, exec_lo
	s_delay_alu instid0(VALU_DEP_2) | instskip(NEXT) | instid1(VALU_DEP_1)
	v_and_b32_e32 v5, 0x7fffffff, v4
	v_cmpx_gt_u32_e32 0x47800000, v5
	s_cbranch_execz .LBB23_398
; %bb.393:
	v_cmp_lt_u32_e32 vcc_lo, 0x37ffffff, v5
	s_mov_b32 s26, 0
                                        ; implicit-def: $vgpr5
	s_and_saveexec_b32 s27, vcc_lo
	s_delay_alu instid0(SALU_CYCLE_1)
	s_xor_b32 s27, exec_lo, s27
	s_cbranch_execz .LBB23_578
; %bb.394:
	v_bfe_u32 v5, v4, 21, 1
	s_mov_b32 s26, exec_lo
	s_delay_alu instid0(VALU_DEP_1) | instskip(NEXT) | instid1(VALU_DEP_1)
	v_add3_u32 v5, v4, v5, 0x88fffff
	v_lshrrev_b32_e32 v5, 21, v5
	s_and_not1_saveexec_b32 s27, s27
	s_cbranch_execnz .LBB23_579
.LBB23_395:
	s_or_b32 exec_lo, exec_lo, s27
	v_mov_b32_e32 v6, 0
	s_and_saveexec_b32 s27, s26
.LBB23_396:
	v_lshrrev_b32_e32 v4, 24, v4
	s_delay_alu instid0(VALU_DEP_1)
	v_and_or_b32 v6, 0x80, v4, v5
.LBB23_397:
	s_or_b32 exec_lo, exec_lo, s27
.LBB23_398:
	s_delay_alu instid0(SALU_CYCLE_1)
	s_or_b32 exec_lo, exec_lo, s25
	s_mov_b32 s25, 0
	global_store_b8 v[2:3], v6, off
.LBB23_399:
	s_and_b32 vcc_lo, exec_lo, s25
	s_cbranch_vccz .LBB23_409
; %bb.400:
	s_wait_xcnt 0x0
	v_cvt_f32_f16_e32 v4, v1
	s_mov_b32 s25, exec_lo
                                        ; implicit-def: $vgpr5
	s_delay_alu instid0(VALU_DEP_1) | instskip(NEXT) | instid1(VALU_DEP_1)
	v_and_b32_e32 v6, 0x7fffffff, v4
	v_cmpx_gt_u32_e32 0x43f00000, v6
	s_xor_b32 s25, exec_lo, s25
	s_cbranch_execz .LBB23_406
; %bb.401:
	s_mov_b32 s26, exec_lo
                                        ; implicit-def: $vgpr5
	v_cmpx_lt_u32_e32 0x3c7fffff, v6
	s_xor_b32 s26, exec_lo, s26
; %bb.402:
	v_bfe_u32 v5, v4, 20, 1
	s_delay_alu instid0(VALU_DEP_1) | instskip(NEXT) | instid1(VALU_DEP_1)
	v_add3_u32 v5, v4, v5, 0x407ffff
	v_and_b32_e32 v6, 0xff00000, v5
	v_lshrrev_b32_e32 v5, 20, v5
	s_delay_alu instid0(VALU_DEP_2) | instskip(NEXT) | instid1(VALU_DEP_2)
	v_cmp_ne_u32_e32 vcc_lo, 0x7f00000, v6
	v_cndmask_b32_e32 v5, 0x7e, v5, vcc_lo
; %bb.403:
	s_and_not1_saveexec_b32 s26, s26
; %bb.404:
	v_add_f32_e64 v5, 0x46800000, |v4|
; %bb.405:
	s_or_b32 exec_lo, exec_lo, s26
                                        ; implicit-def: $vgpr6
.LBB23_406:
	s_and_not1_saveexec_b32 s25, s25
; %bb.407:
	v_mov_b32_e32 v5, 0x7f
	v_cmp_lt_u32_e32 vcc_lo, 0x7f800000, v6
	s_delay_alu instid0(VALU_DEP_2)
	v_cndmask_b32_e32 v5, 0x7e, v5, vcc_lo
; %bb.408:
	s_or_b32 exec_lo, exec_lo, s25
	v_lshrrev_b32_e32 v4, 24, v4
	s_delay_alu instid0(VALU_DEP_1)
	v_and_or_b32 v4, 0x80, v4, v5
	global_store_b8 v[2:3], v4, off
.LBB23_409:
	s_mov_b32 s25, 0
.LBB23_410:
	s_delay_alu instid0(SALU_CYCLE_1)
	s_and_not1_b32 vcc_lo, exec_lo, s25
	s_cbranch_vccnz .LBB23_420
; %bb.411:
	s_wait_xcnt 0x0
	v_cvt_f32_f16_e32 v4, v1
	s_mov_b32 s25, exec_lo
                                        ; implicit-def: $vgpr5
	s_delay_alu instid0(VALU_DEP_1) | instskip(NEXT) | instid1(VALU_DEP_1)
	v_and_b32_e32 v6, 0x7fffffff, v4
	v_cmpx_gt_u32_e32 0x47800000, v6
	s_xor_b32 s25, exec_lo, s25
	s_cbranch_execz .LBB23_417
; %bb.412:
	s_mov_b32 s26, exec_lo
                                        ; implicit-def: $vgpr5
	v_cmpx_lt_u32_e32 0x387fffff, v6
	s_xor_b32 s26, exec_lo, s26
; %bb.413:
	v_bfe_u32 v5, v4, 21, 1
	s_delay_alu instid0(VALU_DEP_1) | instskip(NEXT) | instid1(VALU_DEP_1)
	v_add3_u32 v5, v4, v5, 0x80fffff
	v_lshrrev_b32_e32 v5, 21, v5
; %bb.414:
	s_and_not1_saveexec_b32 s26, s26
; %bb.415:
	v_add_f32_e64 v5, 0x43000000, |v4|
; %bb.416:
	s_or_b32 exec_lo, exec_lo, s26
                                        ; implicit-def: $vgpr6
.LBB23_417:
	s_and_not1_saveexec_b32 s25, s25
; %bb.418:
	v_mov_b32_e32 v5, 0x7f
	v_cmp_lt_u32_e32 vcc_lo, 0x7f800000, v6
	s_delay_alu instid0(VALU_DEP_2)
	v_cndmask_b32_e32 v5, 0x7c, v5, vcc_lo
; %bb.419:
	s_or_b32 exec_lo, exec_lo, s25
	v_lshrrev_b32_e32 v4, 24, v4
	s_delay_alu instid0(VALU_DEP_1)
	v_and_or_b32 v4, 0x80, v4, v5
	global_store_b8 v[2:3], v4, off
.LBB23_420:
	s_mov_b32 s26, 0
	s_mov_b32 s25, -1
.LBB23_421:
	s_and_not1_b32 vcc_lo, exec_lo, s26
	s_cbranch_vccnz .LBB23_429
; %bb.422:
	s_cmp_gt_i32 s24, 14
	s_mov_b32 s26, -1
	s_cbranch_scc0 .LBB23_426
; %bb.423:
	s_cmp_eq_u32 s24, 15
	s_mov_b32 s0, -1
	s_cbranch_scc0 .LBB23_425
; %bb.424:
	s_wait_xcnt 0x0
	v_cvt_f32_f16_e32 v4, v1
	v_cmp_o_f16_e32 vcc_lo, v1, v1
	s_mov_b32 s25, -1
	s_mov_b32 s0, 0
	s_delay_alu instid0(VALU_DEP_2) | instskip(NEXT) | instid1(VALU_DEP_1)
	v_bfe_u32 v5, v4, 16, 1
	v_add3_u32 v4, v4, v5, 0x7fff
	s_delay_alu instid0(VALU_DEP_1) | instskip(NEXT) | instid1(VALU_DEP_1)
	v_lshrrev_b32_e32 v4, 16, v4
	v_cndmask_b32_e32 v4, 0x7fc0, v4, vcc_lo
	global_store_b16 v[2:3], v4, off
.LBB23_425:
	s_mov_b32 s26, 0
.LBB23_426:
	s_delay_alu instid0(SALU_CYCLE_1)
	s_and_b32 vcc_lo, exec_lo, s26
	s_cbranch_vccz .LBB23_429
; %bb.427:
	s_cmp_eq_u32 s24, 11
	s_mov_b32 s0, -1
	s_cbranch_scc0 .LBB23_429
; %bb.428:
	s_wait_xcnt 0x0
	v_and_b32_e32 v4, 0x7fff, v1
	s_mov_b32 s0, 0
	s_mov_b32 s25, -1
	s_delay_alu instid0(VALU_DEP_1)
	v_cmp_ne_u16_e32 vcc_lo, 0, v4
	v_cndmask_b32_e64 v4, 0, 1, vcc_lo
	global_store_b8 v[2:3], v4, off
.LBB23_429:
.LBB23_430:
	s_and_not1_b32 vcc_lo, exec_lo, s25
	s_cbranch_vccnz .LBB23_343
.LBB23_431:
	v_add_nc_u32_e32 v0, 0x80, v0
	s_mov_b32 s23, -1
	s_branch .LBB23_544
.LBB23_432:
	s_mov_b32 s22, -1
                                        ; implicit-def: $vgpr1
.LBB23_433:
	s_mov_b32 s24, 0
.LBB23_434:
	s_delay_alu instid0(SALU_CYCLE_1)
	s_and_b32 vcc_lo, exec_lo, s24
	s_cbranch_vccz .LBB23_438
; %bb.435:
	s_cmp_eq_u32 s0, 29
	s_cbranch_scc0 .LBB23_437
; %bb.436:
	global_load_b64 v[6:7], v[4:5], off
	s_mov_b32 s23, -1
	s_mov_b32 s22, 0
	s_mov_b32 s24, 0
	s_wait_loadcnt 0x0
	v_clz_i32_u32_e32 v1, v7
	s_delay_alu instid0(VALU_DEP_1) | instskip(NEXT) | instid1(VALU_DEP_1)
	v_min_u32_e32 v1, 32, v1
	v_lshlrev_b64_e32 v[6:7], v1, v[6:7]
	v_sub_nc_u32_e32 v1, 32, v1
	s_delay_alu instid0(VALU_DEP_2) | instskip(NEXT) | instid1(VALU_DEP_1)
	v_min_u32_e32 v3, 1, v6
	v_or_b32_e32 v3, v7, v3
	s_delay_alu instid0(VALU_DEP_1) | instskip(NEXT) | instid1(VALU_DEP_1)
	v_cvt_f32_u32_e32 v3, v3
	v_ldexp_f32 v1, v3, v1
	s_delay_alu instid0(VALU_DEP_1)
	v_cvt_f16_f32_e32 v1, v1
	s_branch .LBB23_439
.LBB23_437:
	s_mov_b32 s22, -1
                                        ; implicit-def: $vgpr1
.LBB23_438:
	s_mov_b32 s24, 0
.LBB23_439:
	s_delay_alu instid0(SALU_CYCLE_1)
	s_and_b32 vcc_lo, exec_lo, s24
	s_cbranch_vccz .LBB23_457
; %bb.440:
	s_cmp_lt_i32 s0, 27
	s_cbranch_scc1 .LBB23_443
; %bb.441:
	s_cmp_gt_i32 s0, 27
	s_cbranch_scc0 .LBB23_444
; %bb.442:
	s_wait_loadcnt 0x0
	global_load_b32 v1, v[4:5], off
	s_mov_b32 s23, 0
	s_wait_loadcnt 0x0
	v_cvt_f32_u32_e32 v1, v1
	s_delay_alu instid0(VALU_DEP_1)
	v_cvt_f16_f32_e32 v1, v1
	s_branch .LBB23_445
.LBB23_443:
	s_mov_b32 s23, -1
                                        ; implicit-def: $vgpr1
	s_branch .LBB23_448
.LBB23_444:
	s_mov_b32 s23, -1
                                        ; implicit-def: $vgpr1
.LBB23_445:
	s_delay_alu instid0(SALU_CYCLE_1)
	s_and_not1_b32 vcc_lo, exec_lo, s23
	s_cbranch_vccnz .LBB23_447
; %bb.446:
	s_wait_loadcnt 0x0
	global_load_u16 v1, v[4:5], off
	s_wait_loadcnt 0x0
	v_cvt_f16_u16_e32 v1, v1
.LBB23_447:
	s_mov_b32 s23, 0
.LBB23_448:
	s_delay_alu instid0(SALU_CYCLE_1)
	s_and_not1_b32 vcc_lo, exec_lo, s23
	s_cbranch_vccnz .LBB23_456
; %bb.449:
	global_load_u8 v3, v[4:5], off
	s_mov_b32 s23, 0
	s_mov_b32 s24, exec_lo
	s_wait_loadcnt 0x0
	v_cmpx_lt_i16_e32 0x7f, v3
	s_xor_b32 s24, exec_lo, s24
	s_cbranch_execz .LBB23_470
; %bb.450:
	s_mov_b32 s23, -1
	s_mov_b32 s25, exec_lo
	v_cmpx_eq_u16_e32 0x80, v3
; %bb.451:
	s_xor_b32 s23, exec_lo, -1
; %bb.452:
	s_or_b32 exec_lo, exec_lo, s25
	s_delay_alu instid0(SALU_CYCLE_1)
	s_and_b32 s23, s23, exec_lo
	s_or_saveexec_b32 s24, s24
	v_mov_b32_e32 v1, 0x7e00
	s_xor_b32 exec_lo, exec_lo, s24
	s_cbranch_execnz .LBB23_471
.LBB23_453:
	s_or_b32 exec_lo, exec_lo, s24
	s_and_saveexec_b32 s24, s23
	s_cbranch_execz .LBB23_455
.LBB23_454:
	v_and_b32_e32 v1, 0xffff, v3
	s_delay_alu instid0(VALU_DEP_1) | instskip(SKIP_1) | instid1(VALU_DEP_2)
	v_and_b32_e32 v6, 7, v1
	v_bfe_u32 v9, v1, 3, 4
	v_clz_i32_u32_e32 v7, v6
	s_delay_alu instid0(VALU_DEP_2) | instskip(NEXT) | instid1(VALU_DEP_2)
	v_cmp_eq_u32_e32 vcc_lo, 0, v9
	v_min_u32_e32 v7, 32, v7
	s_delay_alu instid0(VALU_DEP_1) | instskip(NEXT) | instid1(VALU_DEP_1)
	v_subrev_nc_u32_e32 v8, 28, v7
	v_dual_lshlrev_b32 v1, v8, v1 :: v_dual_sub_nc_u32 v7, 29, v7
	s_delay_alu instid0(VALU_DEP_1) | instskip(NEXT) | instid1(VALU_DEP_1)
	v_dual_lshlrev_b32 v3, 24, v3 :: v_dual_bitop2_b32 v1, 7, v1 bitop3:0x40
	v_dual_cndmask_b32 v1, v6, v1, vcc_lo :: v_dual_cndmask_b32 v7, v9, v7, vcc_lo
	s_delay_alu instid0(VALU_DEP_2) | instskip(NEXT) | instid1(VALU_DEP_2)
	v_and_b32_e32 v3, 0x80000000, v3
	v_lshlrev_b32_e32 v1, 20, v1
	s_delay_alu instid0(VALU_DEP_3) | instskip(NEXT) | instid1(VALU_DEP_1)
	v_lshl_add_u32 v6, v7, 23, 0x3b800000
	v_or3_b32 v1, v3, v6, v1
	s_delay_alu instid0(VALU_DEP_1)
	v_cvt_f16_f32_e32 v1, v1
.LBB23_455:
	s_or_b32 exec_lo, exec_lo, s24
.LBB23_456:
	s_mov_b32 s23, -1
.LBB23_457:
	s_mov_b32 s24, 0
.LBB23_458:
	s_delay_alu instid0(SALU_CYCLE_1)
	s_and_b32 vcc_lo, exec_lo, s24
	s_cbranch_vccz .LBB23_493
; %bb.459:
	s_cmp_gt_i32 s0, 22
	s_cbranch_scc0 .LBB23_469
; %bb.460:
	s_cmp_lt_i32 s0, 24
	s_cbranch_scc1 .LBB23_472
; %bb.461:
	s_cmp_gt_i32 s0, 24
	s_cbranch_scc0 .LBB23_473
; %bb.462:
	global_load_u8 v3, v[4:5], off
	s_mov_b32 s23, 0
	s_mov_b32 s24, exec_lo
	s_wait_loadcnt 0x0
	v_cmpx_lt_i16_e32 0x7f, v3
	s_xor_b32 s24, exec_lo, s24
	s_cbranch_execz .LBB23_485
; %bb.463:
	s_mov_b32 s23, -1
	s_mov_b32 s25, exec_lo
	v_cmpx_eq_u16_e32 0x80, v3
; %bb.464:
	s_xor_b32 s23, exec_lo, -1
; %bb.465:
	s_or_b32 exec_lo, exec_lo, s25
	s_delay_alu instid0(SALU_CYCLE_1)
	s_and_b32 s23, s23, exec_lo
	s_or_saveexec_b32 s24, s24
	v_mov_b32_e32 v1, 0x7e00
	s_xor_b32 exec_lo, exec_lo, s24
	s_cbranch_execnz .LBB23_486
.LBB23_466:
	s_or_b32 exec_lo, exec_lo, s24
	s_and_saveexec_b32 s24, s23
	s_cbranch_execz .LBB23_468
.LBB23_467:
	v_and_b32_e32 v1, 0xffff, v3
	s_delay_alu instid0(VALU_DEP_1) | instskip(SKIP_1) | instid1(VALU_DEP_2)
	v_and_b32_e32 v6, 3, v1
	v_bfe_u32 v9, v1, 2, 5
	v_clz_i32_u32_e32 v7, v6
	s_delay_alu instid0(VALU_DEP_2) | instskip(NEXT) | instid1(VALU_DEP_2)
	v_cmp_eq_u32_e32 vcc_lo, 0, v9
	v_min_u32_e32 v7, 32, v7
	s_delay_alu instid0(VALU_DEP_1) | instskip(NEXT) | instid1(VALU_DEP_1)
	v_subrev_nc_u32_e32 v8, 29, v7
	v_dual_lshlrev_b32 v1, v8, v1 :: v_dual_sub_nc_u32 v7, 30, v7
	s_delay_alu instid0(VALU_DEP_1) | instskip(NEXT) | instid1(VALU_DEP_1)
	v_dual_lshlrev_b32 v3, 24, v3 :: v_dual_bitop2_b32 v1, 3, v1 bitop3:0x40
	v_dual_cndmask_b32 v1, v6, v1, vcc_lo :: v_dual_cndmask_b32 v7, v9, v7, vcc_lo
	s_delay_alu instid0(VALU_DEP_2) | instskip(NEXT) | instid1(VALU_DEP_2)
	v_and_b32_e32 v3, 0x80000000, v3
	v_lshlrev_b32_e32 v1, 21, v1
	s_delay_alu instid0(VALU_DEP_3) | instskip(NEXT) | instid1(VALU_DEP_1)
	v_lshl_add_u32 v6, v7, 23, 0x37800000
	v_or3_b32 v1, v3, v6, v1
	s_delay_alu instid0(VALU_DEP_1)
	v_cvt_f16_f32_e32 v1, v1
.LBB23_468:
	s_or_b32 exec_lo, exec_lo, s24
	s_mov_b32 s23, 0
	s_branch .LBB23_474
.LBB23_469:
	s_mov_b32 s24, -1
                                        ; implicit-def: $vgpr1
	s_branch .LBB23_480
.LBB23_470:
	s_or_saveexec_b32 s24, s24
	v_mov_b32_e32 v1, 0x7e00
	s_xor_b32 exec_lo, exec_lo, s24
	s_cbranch_execz .LBB23_453
.LBB23_471:
	v_cmp_ne_u16_e32 vcc_lo, 0, v3
	v_mov_b32_e32 v1, v3
	s_and_not1_b32 s23, s23, exec_lo
	s_and_b32 s25, vcc_lo, exec_lo
	s_delay_alu instid0(SALU_CYCLE_1)
	s_or_b32 s23, s23, s25
	s_or_b32 exec_lo, exec_lo, s24
	s_and_saveexec_b32 s24, s23
	s_cbranch_execnz .LBB23_454
	s_branch .LBB23_455
.LBB23_472:
	s_mov_b32 s23, -1
                                        ; implicit-def: $vgpr1
	s_branch .LBB23_477
.LBB23_473:
	s_mov_b32 s23, -1
                                        ; implicit-def: $vgpr1
.LBB23_474:
	s_delay_alu instid0(SALU_CYCLE_1)
	s_and_b32 vcc_lo, exec_lo, s23
	s_cbranch_vccz .LBB23_476
; %bb.475:
	s_wait_loadcnt 0x0
	global_load_u8 v1, v[4:5], off
	s_wait_loadcnt 0x0
	v_lshlrev_b32_e32 v1, 24, v1
	s_delay_alu instid0(VALU_DEP_1) | instskip(NEXT) | instid1(VALU_DEP_1)
	v_and_b32_e32 v3, 0x7f000000, v1
	v_clz_i32_u32_e32 v6, v3
	v_cmp_ne_u32_e32 vcc_lo, 0, v3
	v_add_nc_u32_e32 v8, 0x1000000, v3
	s_delay_alu instid0(VALU_DEP_3) | instskip(NEXT) | instid1(VALU_DEP_1)
	v_min_u32_e32 v6, 32, v6
	v_sub_nc_u32_e64 v6, v6, 4 clamp
	s_delay_alu instid0(VALU_DEP_1) | instskip(NEXT) | instid1(VALU_DEP_1)
	v_dual_lshlrev_b32 v7, v6, v3 :: v_dual_lshlrev_b32 v6, 23, v6
	v_lshrrev_b32_e32 v7, 4, v7
	s_delay_alu instid0(VALU_DEP_1) | instskip(NEXT) | instid1(VALU_DEP_1)
	v_dual_sub_nc_u32 v6, v7, v6 :: v_dual_ashrrev_i32 v7, 8, v8
	v_add_nc_u32_e32 v6, 0x3c000000, v6
	s_delay_alu instid0(VALU_DEP_1) | instskip(NEXT) | instid1(VALU_DEP_1)
	v_and_or_b32 v6, 0x7f800000, v7, v6
	v_cndmask_b32_e32 v3, 0, v6, vcc_lo
	s_delay_alu instid0(VALU_DEP_1) | instskip(NEXT) | instid1(VALU_DEP_1)
	v_and_or_b32 v1, 0x80000000, v1, v3
	v_cvt_f16_f32_e32 v1, v1
.LBB23_476:
	s_mov_b32 s23, 0
.LBB23_477:
	s_delay_alu instid0(SALU_CYCLE_1)
	s_and_not1_b32 vcc_lo, exec_lo, s23
	s_cbranch_vccnz .LBB23_479
; %bb.478:
	s_wait_loadcnt 0x0
	global_load_u8 v1, v[4:5], off
	s_wait_loadcnt 0x0
	v_lshlrev_b32_e32 v3, 25, v1
	v_lshlrev_b16 v1, 8, v1
	s_delay_alu instid0(VALU_DEP_1) | instskip(SKIP_1) | instid1(VALU_DEP_2)
	v_and_or_b32 v7, 0x7f00, v1, 0.5
	v_bfe_i32 v1, v1, 0, 16
	v_add_f32_e32 v7, -0.5, v7
	v_lshrrev_b32_e32 v6, 4, v3
	v_cmp_gt_u32_e32 vcc_lo, 0x8000000, v3
	s_delay_alu instid0(VALU_DEP_2) | instskip(NEXT) | instid1(VALU_DEP_1)
	v_or_b32_e32 v6, 0x70000000, v6
	v_mul_f32_e32 v6, 0x7800000, v6
	s_delay_alu instid0(VALU_DEP_1) | instskip(NEXT) | instid1(VALU_DEP_1)
	v_cndmask_b32_e32 v3, v6, v7, vcc_lo
	v_and_or_b32 v1, 0x80000000, v1, v3
	s_delay_alu instid0(VALU_DEP_1)
	v_cvt_f16_f32_e32 v1, v1
.LBB23_479:
	s_mov_b32 s24, 0
	s_mov_b32 s23, -1
.LBB23_480:
	s_and_not1_b32 vcc_lo, exec_lo, s24
	s_cbranch_vccnz .LBB23_493
; %bb.481:
	s_cmp_gt_i32 s0, 14
	s_cbranch_scc0 .LBB23_484
; %bb.482:
	s_cmp_eq_u32 s0, 15
	s_cbranch_scc0 .LBB23_487
; %bb.483:
	s_wait_loadcnt 0x0
	global_load_u16 v1, v[4:5], off
	s_mov_b32 s23, -1
	s_mov_b32 s22, 0
	s_wait_loadcnt 0x0
	v_lshlrev_b32_e32 v1, 16, v1
	s_delay_alu instid0(VALU_DEP_1)
	v_cvt_f16_f32_e32 v1, v1
	s_branch .LBB23_488
.LBB23_484:
	s_mov_b32 s24, -1
                                        ; implicit-def: $vgpr1
	s_branch .LBB23_489
.LBB23_485:
	s_or_saveexec_b32 s24, s24
	v_mov_b32_e32 v1, 0x7e00
	s_xor_b32 exec_lo, exec_lo, s24
	s_cbranch_execz .LBB23_466
.LBB23_486:
	v_cmp_ne_u16_e32 vcc_lo, 0, v3
	v_mov_b32_e32 v1, v3
	s_and_not1_b32 s23, s23, exec_lo
	s_and_b32 s25, vcc_lo, exec_lo
	s_delay_alu instid0(SALU_CYCLE_1)
	s_or_b32 s23, s23, s25
	s_or_b32 exec_lo, exec_lo, s24
	s_and_saveexec_b32 s24, s23
	s_cbranch_execnz .LBB23_467
	s_branch .LBB23_468
.LBB23_487:
	s_mov_b32 s22, -1
                                        ; implicit-def: $vgpr1
.LBB23_488:
	s_mov_b32 s24, 0
.LBB23_489:
	s_delay_alu instid0(SALU_CYCLE_1)
	s_and_b32 vcc_lo, exec_lo, s24
	s_cbranch_vccz .LBB23_493
; %bb.490:
	s_cmp_eq_u32 s0, 11
	s_cbranch_scc0 .LBB23_492
; %bb.491:
	s_wait_loadcnt 0x0
	global_load_u8 v1, v[4:5], off
	s_mov_b32 s22, 0
	s_mov_b32 s23, -1
	s_wait_loadcnt 0x0
	v_cmp_ne_u16_e32 vcc_lo, 0, v1
	v_cndmask_b32_e64 v1, 0, 0x3c00, vcc_lo
	s_branch .LBB23_493
.LBB23_492:
	s_mov_b32 s22, -1
                                        ; implicit-def: $vgpr1
.LBB23_493:
	s_branch .LBB23_296
.LBB23_494:
	s_cmp_lt_i32 s0, 5
	s_cbranch_scc1 .LBB23_499
; %bb.495:
	s_cmp_lt_i32 s0, 8
	s_cbranch_scc1 .LBB23_500
; %bb.496:
	;; [unrolled: 3-line block ×3, first 2 shown]
	s_cmp_gt_i32 s0, 9
	s_cbranch_scc0 .LBB23_502
; %bb.498:
	global_load_b64 v[6:7], v[4:5], off
	s_mov_b32 s23, 0
	s_wait_loadcnt 0x0
	v_and_or_b32 v1, 0x1ff, v7, v6
	v_lshrrev_b32_e32 v3, 8, v7
	v_bfe_u32 v6, v7, 20, 11
	s_delay_alu instid0(VALU_DEP_3) | instskip(NEXT) | instid1(VALU_DEP_2)
	v_cmp_ne_u32_e32 vcc_lo, 0, v1
	v_sub_nc_u32_e32 v8, 0x3f1, v6
	v_add_nc_u32_e32 v6, 0xfffffc10, v6
	v_cndmask_b32_e64 v1, 0, 1, vcc_lo
	s_delay_alu instid0(VALU_DEP_1) | instskip(NEXT) | instid1(VALU_DEP_4)
	v_and_or_b32 v1, 0xffe, v3, v1
	v_med3_i32 v3, v8, 0, 13
	s_delay_alu instid0(VALU_DEP_2) | instskip(NEXT) | instid1(VALU_DEP_1)
	v_or_b32_e32 v8, 0x1000, v1
	v_lshrrev_b32_e32 v9, v3, v8
	s_delay_alu instid0(VALU_DEP_1) | instskip(NEXT) | instid1(VALU_DEP_1)
	v_lshlrev_b32_e32 v3, v3, v9
	v_cmp_ne_u32_e32 vcc_lo, v3, v8
	v_lshl_or_b32 v8, v6, 12, v1
	v_cndmask_b32_e64 v3, 0, 1, vcc_lo
	v_cmp_gt_i32_e32 vcc_lo, 1, v6
	s_delay_alu instid0(VALU_DEP_2) | instskip(NEXT) | instid1(VALU_DEP_1)
	v_or_b32_e32 v3, v9, v3
	v_cndmask_b32_e32 v3, v8, v3, vcc_lo
	s_delay_alu instid0(VALU_DEP_1) | instskip(NEXT) | instid1(VALU_DEP_1)
	v_dual_lshrrev_b32 v3, 2, v3 :: v_dual_bitop2_b32 v8, 7, v3 bitop3:0x40
	v_cmp_lt_i32_e32 vcc_lo, 5, v8
	v_cndmask_b32_e64 v9, 0, 1, vcc_lo
	v_cmp_eq_u32_e32 vcc_lo, 3, v8
	v_cndmask_b32_e64 v8, 0, 1, vcc_lo
	v_cmp_ne_u32_e32 vcc_lo, 0, v1
	s_delay_alu instid0(VALU_DEP_2) | instskip(SKIP_1) | instid1(VALU_DEP_2)
	v_or_b32_e32 v8, v8, v9
	v_mov_b32_e32 v9, 0x7e00
	v_add_nc_u32_e32 v3, v3, v8
	s_delay_alu instid0(VALU_DEP_2) | instskip(SKIP_1) | instid1(VALU_DEP_3)
	v_cndmask_b32_e32 v1, 0x7c00, v9, vcc_lo
	v_cmp_gt_i32_e32 vcc_lo, 31, v6
	v_cndmask_b32_e32 v3, 0x7c00, v3, vcc_lo
	v_cmp_eq_u32_e32 vcc_lo, 0x40f, v6
	s_delay_alu instid0(VALU_DEP_2) | instskip(NEXT) | instid1(VALU_DEP_1)
	v_dual_cndmask_b32 v1, v3, v1, vcc_lo :: v_dual_lshrrev_b32 v3, 16, v7
	v_and_or_b32 v1, 0x8000, v3, v1
	s_branch .LBB23_503
.LBB23_499:
	s_mov_b32 s23, -1
                                        ; implicit-def: $vgpr1
	s_branch .LBB23_521
.LBB23_500:
	s_mov_b32 s23, -1
                                        ; implicit-def: $vgpr1
	s_branch .LBB23_509
.LBB23_501:
	s_mov_b32 s23, -1
                                        ; implicit-def: $vgpr1
	s_branch .LBB23_506
.LBB23_502:
	s_mov_b32 s23, -1
                                        ; implicit-def: $vgpr1
.LBB23_503:
	s_delay_alu instid0(SALU_CYCLE_1)
	s_and_not1_b32 vcc_lo, exec_lo, s23
	s_cbranch_vccnz .LBB23_505
; %bb.504:
	s_wait_loadcnt 0x0
	global_load_b32 v1, v[4:5], off
	s_wait_loadcnt 0x0
	v_cvt_f16_f32_e32 v1, v1
.LBB23_505:
	s_mov_b32 s23, 0
.LBB23_506:
	s_delay_alu instid0(SALU_CYCLE_1)
	s_and_not1_b32 vcc_lo, exec_lo, s23
	s_cbranch_vccnz .LBB23_508
; %bb.507:
	s_wait_loadcnt 0x0
	global_load_b32 v1, v[4:5], off
.LBB23_508:
	s_mov_b32 s23, 0
.LBB23_509:
	s_delay_alu instid0(SALU_CYCLE_1)
	s_and_not1_b32 vcc_lo, exec_lo, s23
	s_cbranch_vccnz .LBB23_520
; %bb.510:
	s_cmp_lt_i32 s0, 6
	s_cbranch_scc1 .LBB23_513
; %bb.511:
	s_cmp_gt_i32 s0, 6
	s_cbranch_scc0 .LBB23_514
; %bb.512:
	global_load_b64 v[6:7], v[4:5], off
	s_mov_b32 s23, 0
	s_wait_loadcnt 0x0
	v_and_or_b32 v1, 0x1ff, v7, v6
	v_lshrrev_b32_e32 v3, 8, v7
	v_bfe_u32 v6, v7, 20, 11
	s_delay_alu instid0(VALU_DEP_3) | instskip(NEXT) | instid1(VALU_DEP_2)
	v_cmp_ne_u32_e32 vcc_lo, 0, v1
	v_sub_nc_u32_e32 v8, 0x3f1, v6
	v_add_nc_u32_e32 v6, 0xfffffc10, v6
	v_cndmask_b32_e64 v1, 0, 1, vcc_lo
	s_delay_alu instid0(VALU_DEP_1) | instskip(NEXT) | instid1(VALU_DEP_4)
	v_and_or_b32 v1, 0xffe, v3, v1
	v_med3_i32 v3, v8, 0, 13
	s_delay_alu instid0(VALU_DEP_2) | instskip(NEXT) | instid1(VALU_DEP_1)
	v_or_b32_e32 v8, 0x1000, v1
	v_lshrrev_b32_e32 v9, v3, v8
	s_delay_alu instid0(VALU_DEP_1) | instskip(NEXT) | instid1(VALU_DEP_1)
	v_lshlrev_b32_e32 v3, v3, v9
	v_cmp_ne_u32_e32 vcc_lo, v3, v8
	v_lshl_or_b32 v8, v6, 12, v1
	v_cndmask_b32_e64 v3, 0, 1, vcc_lo
	v_cmp_gt_i32_e32 vcc_lo, 1, v6
	s_delay_alu instid0(VALU_DEP_2) | instskip(NEXT) | instid1(VALU_DEP_1)
	v_or_b32_e32 v3, v9, v3
	v_cndmask_b32_e32 v3, v8, v3, vcc_lo
	s_delay_alu instid0(VALU_DEP_1) | instskip(NEXT) | instid1(VALU_DEP_1)
	v_dual_lshrrev_b32 v3, 2, v3 :: v_dual_bitop2_b32 v8, 7, v3 bitop3:0x40
	v_cmp_lt_i32_e32 vcc_lo, 5, v8
	v_cndmask_b32_e64 v9, 0, 1, vcc_lo
	v_cmp_eq_u32_e32 vcc_lo, 3, v8
	v_cndmask_b32_e64 v8, 0, 1, vcc_lo
	v_cmp_ne_u32_e32 vcc_lo, 0, v1
	s_delay_alu instid0(VALU_DEP_2) | instskip(SKIP_1) | instid1(VALU_DEP_2)
	v_or_b32_e32 v8, v8, v9
	v_mov_b32_e32 v9, 0x7e00
	v_add_nc_u32_e32 v3, v3, v8
	s_delay_alu instid0(VALU_DEP_2) | instskip(SKIP_1) | instid1(VALU_DEP_3)
	v_cndmask_b32_e32 v1, 0x7c00, v9, vcc_lo
	v_cmp_gt_i32_e32 vcc_lo, 31, v6
	v_cndmask_b32_e32 v3, 0x7c00, v3, vcc_lo
	v_cmp_eq_u32_e32 vcc_lo, 0x40f, v6
	s_delay_alu instid0(VALU_DEP_2) | instskip(NEXT) | instid1(VALU_DEP_1)
	v_dual_cndmask_b32 v1, v3, v1, vcc_lo :: v_dual_lshrrev_b32 v3, 16, v7
	v_and_or_b32 v1, 0x8000, v3, v1
	s_branch .LBB23_515
.LBB23_513:
	s_mov_b32 s23, -1
                                        ; implicit-def: $vgpr1
	s_branch .LBB23_518
.LBB23_514:
	s_mov_b32 s23, -1
                                        ; implicit-def: $vgpr1
.LBB23_515:
	s_delay_alu instid0(SALU_CYCLE_1)
	s_and_not1_b32 vcc_lo, exec_lo, s23
	s_cbranch_vccnz .LBB23_517
; %bb.516:
	s_wait_loadcnt 0x0
	global_load_b32 v1, v[4:5], off
	s_wait_loadcnt 0x0
	v_cvt_f16_f32_e32 v1, v1
.LBB23_517:
	s_mov_b32 s23, 0
.LBB23_518:
	s_delay_alu instid0(SALU_CYCLE_1)
	s_and_not1_b32 vcc_lo, exec_lo, s23
	s_cbranch_vccnz .LBB23_520
; %bb.519:
	s_wait_loadcnt 0x0
	global_load_u16 v1, v[4:5], off
.LBB23_520:
	s_mov_b32 s23, 0
.LBB23_521:
	s_delay_alu instid0(SALU_CYCLE_1)
	s_and_not1_b32 vcc_lo, exec_lo, s23
	s_cbranch_vccnz .LBB23_541
; %bb.522:
	s_cmp_lt_i32 s0, 2
	s_cbranch_scc1 .LBB23_526
; %bb.523:
	s_cmp_lt_i32 s0, 3
	s_cbranch_scc1 .LBB23_527
; %bb.524:
	s_cmp_gt_i32 s0, 3
	s_cbranch_scc0 .LBB23_528
; %bb.525:
	global_load_b64 v[6:7], v[4:5], off
	s_mov_b32 s23, 0
	s_wait_loadcnt 0x0
	v_xor_b32_e32 v1, v6, v7
	v_cls_i32_e32 v3, v7
	s_delay_alu instid0(VALU_DEP_2) | instskip(NEXT) | instid1(VALU_DEP_1)
	v_ashrrev_i32_e32 v1, 31, v1
	v_add_nc_u32_e32 v1, 32, v1
	s_delay_alu instid0(VALU_DEP_1) | instskip(NEXT) | instid1(VALU_DEP_1)
	v_add_min_u32_e64 v1, v3, -1, v1
	v_lshlrev_b64_e32 v[6:7], v1, v[6:7]
	v_sub_nc_u32_e32 v1, 32, v1
	s_delay_alu instid0(VALU_DEP_2) | instskip(NEXT) | instid1(VALU_DEP_1)
	v_min_u32_e32 v3, 1, v6
	v_or_b32_e32 v3, v7, v3
	s_delay_alu instid0(VALU_DEP_1) | instskip(NEXT) | instid1(VALU_DEP_1)
	v_cvt_f32_i32_e32 v3, v3
	v_ldexp_f32 v1, v3, v1
	s_delay_alu instid0(VALU_DEP_1)
	v_cvt_f16_f32_e32 v1, v1
	s_branch .LBB23_529
.LBB23_526:
	s_mov_b32 s23, -1
                                        ; implicit-def: $vgpr1
	s_branch .LBB23_535
.LBB23_527:
	s_mov_b32 s23, -1
                                        ; implicit-def: $vgpr1
	s_branch .LBB23_532
.LBB23_528:
	s_mov_b32 s23, -1
                                        ; implicit-def: $vgpr1
.LBB23_529:
	s_delay_alu instid0(SALU_CYCLE_1)
	s_and_not1_b32 vcc_lo, exec_lo, s23
	s_cbranch_vccnz .LBB23_531
; %bb.530:
	s_wait_loadcnt 0x0
	global_load_b32 v1, v[4:5], off
	s_wait_loadcnt 0x0
	v_cvt_f32_i32_e32 v1, v1
	s_delay_alu instid0(VALU_DEP_1)
	v_cvt_f16_f32_e32 v1, v1
.LBB23_531:
	s_mov_b32 s23, 0
.LBB23_532:
	s_delay_alu instid0(SALU_CYCLE_1)
	s_and_not1_b32 vcc_lo, exec_lo, s23
	s_cbranch_vccnz .LBB23_534
; %bb.533:
	s_wait_loadcnt 0x0
	global_load_u16 v1, v[4:5], off
	s_wait_loadcnt 0x0
	v_cvt_f16_i16_e32 v1, v1
.LBB23_534:
	s_mov_b32 s23, 0
.LBB23_535:
	s_delay_alu instid0(SALU_CYCLE_1)
	s_and_not1_b32 vcc_lo, exec_lo, s23
	s_cbranch_vccnz .LBB23_541
; %bb.536:
	s_cmp_gt_i32 s0, 0
	s_mov_b32 s0, 0
	s_cbranch_scc0 .LBB23_538
; %bb.537:
	s_wait_loadcnt 0x0
	global_load_i8 v1, v[4:5], off
	s_wait_loadcnt 0x0
	v_cvt_f16_i16_e32 v1, v1
	s_branch .LBB23_539
.LBB23_538:
	s_mov_b32 s0, -1
                                        ; implicit-def: $vgpr1
.LBB23_539:
	s_delay_alu instid0(SALU_CYCLE_1)
	s_and_not1_b32 vcc_lo, exec_lo, s0
	s_cbranch_vccnz .LBB23_541
; %bb.540:
	s_wait_loadcnt 0x0
	global_load_u8 v1, v[4:5], off
	s_wait_loadcnt 0x0
	v_cvt_f16_u16_e32 v1, v1
.LBB23_541:
	s_branch .LBB23_297
.LBB23_542:
	s_mov_b32 s23, 0
	s_mov_b32 s0, s40
.LBB23_543:
                                        ; implicit-def: $vgpr0
.LBB23_544:
	s_and_not1_b32 s24, s40, exec_lo
	s_and_b32 s0, s0, exec_lo
	s_and_not1_b32 s25, s41, exec_lo
	s_and_b32 s22, s22, exec_lo
	s_or_b32 s44, s24, s0
	s_or_b32 s43, s25, s22
	s_or_not1_b32 s0, s23, exec_lo
.LBB23_545:
	s_wait_xcnt 0x0
	s_or_b32 exec_lo, exec_lo, s45
	s_mov_b32 s22, 0
	s_mov_b32 s23, 0
	;; [unrolled: 1-line block ×3, first 2 shown]
                                        ; implicit-def: $vgpr4_vgpr5
                                        ; implicit-def: $vgpr2
                                        ; implicit-def: $vgpr6
	s_and_saveexec_b32 s45, s0
	s_cbranch_execz .LBB23_925
; %bb.546:
	s_mov_b32 s25, -1
	s_mov_b32 s0, s43
	s_mov_b32 s26, s44
	s_mov_b32 s46, exec_lo
	v_cmpx_gt_i32_e64 s37, v0
	s_cbranch_execz .LBB23_822
; %bb.547:
	s_and_not1_b32 vcc_lo, exec_lo, s31
	s_cbranch_vccnz .LBB23_553
; %bb.548:
	s_and_not1_b32 vcc_lo, exec_lo, s39
	s_cbranch_vccnz .LBB23_554
; %bb.549:
	s_add_co_i32 s0, s38, 1
	s_cmp_eq_u32 s29, 2
	s_cbranch_scc1 .LBB23_555
; %bb.550:
	v_dual_mov_b32 v2, 0 :: v_dual_mov_b32 v4, 0
	s_wait_loadcnt 0x0
	v_mov_b32_e32 v1, v0
	s_and_b32 s22, s0, 28
	s_mov_b64 s[24:25], s[2:3]
	s_mov_b64 s[26:27], s[20:21]
.LBB23_551:                             ; =>This Inner Loop Header: Depth=1
	s_clause 0x1
	s_load_b256 s[48:55], s[24:25], 0x4
	s_load_b128 s[64:67], s[24:25], 0x24
	s_load_b256 s[56:63], s[26:27], 0x0
	s_add_co_i32 s23, s23, 4
	s_wait_xcnt 0x0
	s_add_nc_u64 s[24:25], s[24:25], 48
	s_cmp_eq_u32 s22, s23
	s_add_nc_u64 s[26:27], s[26:27], 32
	s_wait_kmcnt 0x0
	v_mul_hi_u32 v3, s49, v1
	s_delay_alu instid0(VALU_DEP_1) | instskip(NEXT) | instid1(VALU_DEP_1)
	v_add_nc_u32_e32 v3, v1, v3
	v_lshrrev_b32_e32 v3, s50, v3
	s_delay_alu instid0(VALU_DEP_1) | instskip(NEXT) | instid1(VALU_DEP_1)
	v_mul_hi_u32 v5, s52, v3
	v_add_nc_u32_e32 v5, v3, v5
	s_delay_alu instid0(VALU_DEP_1) | instskip(NEXT) | instid1(VALU_DEP_1)
	v_lshrrev_b32_e32 v5, s53, v5
	v_mul_hi_u32 v6, s55, v5
	s_delay_alu instid0(VALU_DEP_1) | instskip(SKIP_1) | instid1(VALU_DEP_1)
	v_add_nc_u32_e32 v6, v5, v6
	v_mul_lo_u32 v7, v3, s48
	v_sub_nc_u32_e32 v1, v1, v7
	v_mul_lo_u32 v7, v5, s51
	s_delay_alu instid0(VALU_DEP_4) | instskip(NEXT) | instid1(VALU_DEP_3)
	v_lshrrev_b32_e32 v6, s64, v6
	v_mad_u32 v4, v1, s57, v4
	v_mad_u32 v1, v1, s56, v2
	s_delay_alu instid0(VALU_DEP_4) | instskip(NEXT) | instid1(VALU_DEP_4)
	v_sub_nc_u32_e32 v2, v3, v7
	v_mul_hi_u32 v8, s66, v6
	v_mul_lo_u32 v3, v6, s54
	s_delay_alu instid0(VALU_DEP_3) | instskip(SKIP_1) | instid1(VALU_DEP_3)
	v_mad_u32 v4, v2, s59, v4
	v_mad_u32 v2, v2, s58, v1
	v_dual_add_nc_u32 v7, v6, v8 :: v_dual_sub_nc_u32 v3, v5, v3
	s_delay_alu instid0(VALU_DEP_1) | instskip(NEXT) | instid1(VALU_DEP_2)
	v_lshrrev_b32_e32 v1, s67, v7
	v_mad_u32 v4, v3, s61, v4
	s_delay_alu instid0(VALU_DEP_4) | instskip(NEXT) | instid1(VALU_DEP_3)
	v_mad_u32 v2, v3, s60, v2
	v_mul_lo_u32 v5, v1, s65
	s_delay_alu instid0(VALU_DEP_1) | instskip(NEXT) | instid1(VALU_DEP_1)
	v_sub_nc_u32_e32 v3, v6, v5
	v_mad_u32 v4, v3, s63, v4
	s_delay_alu instid0(VALU_DEP_4)
	v_mad_u32 v2, v3, s62, v2
	s_cbranch_scc0 .LBB23_551
; %bb.552:
	s_delay_alu instid0(VALU_DEP_2)
	v_mov_b32_e32 v3, v4
	s_branch .LBB23_556
.LBB23_553:
	s_mov_b32 s0, -1
                                        ; implicit-def: $vgpr4
                                        ; implicit-def: $vgpr2
	s_branch .LBB23_561
.LBB23_554:
	v_dual_mov_b32 v4, 0 :: v_dual_mov_b32 v2, 0
	s_branch .LBB23_560
.LBB23_555:
	v_mov_b64_e32 v[2:3], 0
	s_wait_loadcnt 0x0
	v_mov_b32_e32 v1, v0
                                        ; implicit-def: $vgpr4
.LBB23_556:
	s_and_b32 s0, s0, 3
	s_mov_b32 s23, 0
	s_cmp_eq_u32 s0, 0
	s_cbranch_scc1 .LBB23_560
; %bb.557:
	s_lshl_b32 s24, s22, 3
	s_mov_b32 s25, s23
	s_mul_u64 s[26:27], s[22:23], 12
	s_add_nc_u64 s[24:25], s[2:3], s[24:25]
	s_delay_alu instid0(SALU_CYCLE_1)
	s_add_nc_u64 s[22:23], s[24:25], 0xc4
	s_add_nc_u64 s[24:25], s[2:3], s[26:27]
.LBB23_558:                             ; =>This Inner Loop Header: Depth=1
	s_load_b96 s[48:50], s[24:25], 0x4
	s_load_b64 s[26:27], s[22:23], 0x0
	s_add_co_i32 s0, s0, -1
	s_wait_xcnt 0x0
	s_add_nc_u64 s[24:25], s[24:25], 12
	s_cmp_lg_u32 s0, 0
	s_add_nc_u64 s[22:23], s[22:23], 8
	s_wait_kmcnt 0x0
	v_mul_hi_u32 v4, s49, v1
	s_delay_alu instid0(VALU_DEP_1) | instskip(NEXT) | instid1(VALU_DEP_1)
	v_add_nc_u32_e32 v4, v1, v4
	v_lshrrev_b32_e32 v4, s50, v4
	s_delay_alu instid0(VALU_DEP_1) | instskip(NEXT) | instid1(VALU_DEP_1)
	v_mul_lo_u32 v5, v4, s48
	v_sub_nc_u32_e32 v1, v1, v5
	s_delay_alu instid0(VALU_DEP_1)
	v_mad_u32 v3, v1, s27, v3
	v_mad_u32 v2, v1, s26, v2
	v_mov_b32_e32 v1, v4
	s_cbranch_scc1 .LBB23_558
; %bb.559:
	s_delay_alu instid0(VALU_DEP_3)
	v_mov_b32_e32 v4, v3
.LBB23_560:
	s_mov_b32 s0, 0
.LBB23_561:
	s_delay_alu instid0(SALU_CYCLE_1)
	s_and_not1_b32 vcc_lo, exec_lo, s0
	s_cbranch_vccnz .LBB23_564
; %bb.562:
	s_wait_loadcnt 0x0
	v_mov_b32_e32 v1, 0
	s_and_not1_b32 vcc_lo, exec_lo, s36
	s_delay_alu instid0(VALU_DEP_1) | instskip(NEXT) | instid1(VALU_DEP_1)
	v_mul_u64_e32 v[2:3], s[16:17], v[0:1]
	v_add_nc_u32_e32 v2, v0, v3
	s_delay_alu instid0(VALU_DEP_1) | instskip(NEXT) | instid1(VALU_DEP_1)
	v_lshrrev_b32_e32 v6, s10, v2
	v_mul_lo_u32 v2, v6, s8
	s_delay_alu instid0(VALU_DEP_1) | instskip(NEXT) | instid1(VALU_DEP_1)
	v_sub_nc_u32_e32 v2, v0, v2
	v_mul_lo_u32 v4, v2, s13
	v_mul_lo_u32 v2, v2, s12
	s_cbranch_vccnz .LBB23_564
; %bb.563:
	v_mov_b32_e32 v7, v1
	s_delay_alu instid0(VALU_DEP_1) | instskip(NEXT) | instid1(VALU_DEP_1)
	v_mul_u64_e32 v[8:9], s[18:19], v[6:7]
	v_add_nc_u32_e32 v1, v6, v9
	s_delay_alu instid0(VALU_DEP_1) | instskip(NEXT) | instid1(VALU_DEP_1)
	v_lshrrev_b32_e32 v1, s1, v1
	v_mul_lo_u32 v1, v1, s11
	s_delay_alu instid0(VALU_DEP_1) | instskip(NEXT) | instid1(VALU_DEP_1)
	v_sub_nc_u32_e32 v1, v6, v1
	v_mad_u32 v2, v1, s14, v2
	v_mad_u32 v4, v1, s15, v4
.LBB23_564:
	v_mov_b32_e32 v5, 0
	s_and_b32 s0, 0xffff, s9
	s_delay_alu instid0(SALU_CYCLE_1) | instskip(NEXT) | instid1(VALU_DEP_1)
	s_cmp_lt_i32 s0, 11
	v_add_nc_u64_e32 v[4:5], s[6:7], v[4:5]
	s_cbranch_scc1 .LBB23_571
; %bb.565:
	s_cmp_gt_i32 s0, 25
	s_cbranch_scc0 .LBB23_572
; %bb.566:
	s_cmp_gt_i32 s0, 28
	s_cbranch_scc0 .LBB23_573
	;; [unrolled: 3-line block ×4, first 2 shown]
; %bb.569:
	s_cmp_eq_u32 s0, 46
	s_mov_b32 s24, 0
	s_cbranch_scc0 .LBB23_580
; %bb.570:
	s_wait_loadcnt 0x0
	global_load_b32 v1, v[4:5], off
	s_mov_b32 s23, -1
	s_mov_b32 s22, 0
	s_wait_loadcnt 0x0
	v_lshlrev_b32_e32 v1, 16, v1
	s_delay_alu instid0(VALU_DEP_1)
	v_cvt_f16_f32_e32 v1, v1
	s_branch .LBB23_582
.LBB23_571:
	s_mov_b32 s24, -1
	s_mov_b32 s23, 0
	s_mov_b32 s22, s43
                                        ; implicit-def: $vgpr1
	s_branch .LBB23_647
.LBB23_572:
	s_mov_b32 s24, -1
	s_mov_b32 s23, 0
	s_mov_b32 s22, s43
                                        ; implicit-def: $vgpr1
	s_branch .LBB23_611
.LBB23_573:
	s_mov_b32 s24, -1
	s_mov_b32 s23, 0
	s_mov_b32 s22, s43
                                        ; implicit-def: $vgpr1
	s_branch .LBB23_592
.LBB23_574:
	s_mov_b32 s24, -1
	s_mov_b32 s23, 0
	s_mov_b32 s22, s43
                                        ; implicit-def: $vgpr1
	s_branch .LBB23_587
.LBB23_575:
	s_and_not1_saveexec_b32 s27, s27
	s_cbranch_execz .LBB23_382
.LBB23_576:
	v_add_f32_e64 v5, 0x46000000, |v4|
	s_and_not1_b32 s26, s26, exec_lo
	s_delay_alu instid0(VALU_DEP_1) | instskip(NEXT) | instid1(VALU_DEP_1)
	v_and_b32_e32 v5, 0xff, v5
	v_cmp_ne_u32_e32 vcc_lo, 0, v5
	s_and_b32 s43, vcc_lo, exec_lo
	s_delay_alu instid0(SALU_CYCLE_1)
	s_or_b32 s26, s26, s43
	s_or_b32 exec_lo, exec_lo, s27
	v_mov_b32_e32 v6, 0
	s_and_saveexec_b32 s27, s26
	s_cbranch_execnz .LBB23_383
	s_branch .LBB23_384
.LBB23_577:
	s_mov_b32 s24, -1
	s_mov_b32 s23, 0
	s_mov_b32 s22, s43
	s_branch .LBB23_581
.LBB23_578:
	s_and_not1_saveexec_b32 s27, s27
	s_cbranch_execz .LBB23_395
.LBB23_579:
	v_add_f32_e64 v5, 0x42800000, |v4|
	s_and_not1_b32 s26, s26, exec_lo
	s_delay_alu instid0(VALU_DEP_1) | instskip(NEXT) | instid1(VALU_DEP_1)
	v_and_b32_e32 v5, 0xff, v5
	v_cmp_ne_u32_e32 vcc_lo, 0, v5
	s_and_b32 s43, vcc_lo, exec_lo
	s_delay_alu instid0(SALU_CYCLE_1)
	s_or_b32 s26, s26, s43
	s_or_b32 exec_lo, exec_lo, s27
	v_mov_b32_e32 v6, 0
	s_and_saveexec_b32 s27, s26
	s_cbranch_execnz .LBB23_396
	s_branch .LBB23_397
.LBB23_580:
	s_mov_b32 s22, -1
	s_mov_b32 s23, 0
.LBB23_581:
                                        ; implicit-def: $vgpr1
.LBB23_582:
	s_and_b32 vcc_lo, exec_lo, s24
	s_cbranch_vccz .LBB23_586
; %bb.583:
	s_cmp_eq_u32 s0, 44
	s_cbranch_scc0 .LBB23_585
; %bb.584:
	s_wait_loadcnt 0x0
	global_load_u8 v1, v[4:5], off
	s_mov_b32 s22, 0
	s_mov_b32 s23, -1
	s_wait_loadcnt 0x0
	v_lshlrev_b32_e32 v3, 23, v1
	v_cmp_ne_u32_e32 vcc_lo, 0xff, v1
	s_delay_alu instid0(VALU_DEP_2) | instskip(NEXT) | instid1(VALU_DEP_1)
	v_cvt_f16_f32_e32 v3, v3
	v_cndmask_b32_e32 v3, 0x7e00, v3, vcc_lo
	v_cmp_ne_u32_e32 vcc_lo, 0, v1
	s_delay_alu instid0(VALU_DEP_2)
	v_cndmask_b32_e32 v1, 0, v3, vcc_lo
	s_branch .LBB23_586
.LBB23_585:
	s_mov_b32 s22, -1
                                        ; implicit-def: $vgpr1
.LBB23_586:
	s_mov_b32 s24, 0
.LBB23_587:
	s_delay_alu instid0(SALU_CYCLE_1)
	s_and_b32 vcc_lo, exec_lo, s24
	s_cbranch_vccz .LBB23_591
; %bb.588:
	s_cmp_eq_u32 s0, 29
	s_cbranch_scc0 .LBB23_590
; %bb.589:
	global_load_b64 v[6:7], v[4:5], off
	s_mov_b32 s23, -1
	s_mov_b32 s22, 0
	s_mov_b32 s24, 0
	s_wait_loadcnt 0x0
	v_clz_i32_u32_e32 v1, v7
	s_delay_alu instid0(VALU_DEP_1) | instskip(NEXT) | instid1(VALU_DEP_1)
	v_min_u32_e32 v1, 32, v1
	v_lshlrev_b64_e32 v[6:7], v1, v[6:7]
	v_sub_nc_u32_e32 v1, 32, v1
	s_delay_alu instid0(VALU_DEP_2) | instskip(NEXT) | instid1(VALU_DEP_1)
	v_min_u32_e32 v3, 1, v6
	v_or_b32_e32 v3, v7, v3
	s_delay_alu instid0(VALU_DEP_1) | instskip(NEXT) | instid1(VALU_DEP_1)
	v_cvt_f32_u32_e32 v3, v3
	v_ldexp_f32 v1, v3, v1
	s_delay_alu instid0(VALU_DEP_1)
	v_cvt_f16_f32_e32 v1, v1
	s_branch .LBB23_592
.LBB23_590:
	s_mov_b32 s22, -1
                                        ; implicit-def: $vgpr1
.LBB23_591:
	s_mov_b32 s24, 0
.LBB23_592:
	s_delay_alu instid0(SALU_CYCLE_1)
	s_and_b32 vcc_lo, exec_lo, s24
	s_cbranch_vccz .LBB23_610
; %bb.593:
	s_cmp_lt_i32 s0, 27
	s_cbranch_scc1 .LBB23_596
; %bb.594:
	s_cmp_gt_i32 s0, 27
	s_cbranch_scc0 .LBB23_597
; %bb.595:
	s_wait_loadcnt 0x0
	global_load_b32 v1, v[4:5], off
	s_mov_b32 s23, 0
	s_wait_loadcnt 0x0
	v_cvt_f32_u32_e32 v1, v1
	s_delay_alu instid0(VALU_DEP_1)
	v_cvt_f16_f32_e32 v1, v1
	s_branch .LBB23_598
.LBB23_596:
	s_mov_b32 s23, -1
                                        ; implicit-def: $vgpr1
	s_branch .LBB23_601
.LBB23_597:
	s_mov_b32 s23, -1
                                        ; implicit-def: $vgpr1
.LBB23_598:
	s_delay_alu instid0(SALU_CYCLE_1)
	s_and_not1_b32 vcc_lo, exec_lo, s23
	s_cbranch_vccnz .LBB23_600
; %bb.599:
	s_wait_loadcnt 0x0
	global_load_u16 v1, v[4:5], off
	s_wait_loadcnt 0x0
	v_cvt_f16_u16_e32 v1, v1
.LBB23_600:
	s_mov_b32 s23, 0
.LBB23_601:
	s_delay_alu instid0(SALU_CYCLE_1)
	s_and_not1_b32 vcc_lo, exec_lo, s23
	s_cbranch_vccnz .LBB23_609
; %bb.602:
	global_load_u8 v3, v[4:5], off
	s_mov_b32 s23, 0
	s_mov_b32 s24, exec_lo
	s_wait_loadcnt 0x0
	v_cmpx_lt_i16_e32 0x7f, v3
	s_xor_b32 s24, exec_lo, s24
	s_cbranch_execz .LBB23_623
; %bb.603:
	s_mov_b32 s23, -1
	s_mov_b32 s25, exec_lo
	v_cmpx_eq_u16_e32 0x80, v3
; %bb.604:
	s_xor_b32 s23, exec_lo, -1
; %bb.605:
	s_or_b32 exec_lo, exec_lo, s25
	s_delay_alu instid0(SALU_CYCLE_1)
	s_and_b32 s23, s23, exec_lo
	s_or_saveexec_b32 s24, s24
	v_mov_b32_e32 v1, 0x7e00
	s_xor_b32 exec_lo, exec_lo, s24
	s_cbranch_execnz .LBB23_624
.LBB23_606:
	s_or_b32 exec_lo, exec_lo, s24
	s_and_saveexec_b32 s24, s23
	s_cbranch_execz .LBB23_608
.LBB23_607:
	v_and_b32_e32 v1, 0xffff, v3
	s_delay_alu instid0(VALU_DEP_1) | instskip(SKIP_1) | instid1(VALU_DEP_2)
	v_and_b32_e32 v6, 7, v1
	v_bfe_u32 v9, v1, 3, 4
	v_clz_i32_u32_e32 v7, v6
	s_delay_alu instid0(VALU_DEP_2) | instskip(NEXT) | instid1(VALU_DEP_2)
	v_cmp_eq_u32_e32 vcc_lo, 0, v9
	v_min_u32_e32 v7, 32, v7
	s_delay_alu instid0(VALU_DEP_1) | instskip(NEXT) | instid1(VALU_DEP_1)
	v_subrev_nc_u32_e32 v8, 28, v7
	v_dual_lshlrev_b32 v1, v8, v1 :: v_dual_sub_nc_u32 v7, 29, v7
	s_delay_alu instid0(VALU_DEP_1) | instskip(NEXT) | instid1(VALU_DEP_1)
	v_dual_lshlrev_b32 v3, 24, v3 :: v_dual_bitop2_b32 v1, 7, v1 bitop3:0x40
	v_dual_cndmask_b32 v1, v6, v1, vcc_lo :: v_dual_cndmask_b32 v7, v9, v7, vcc_lo
	s_delay_alu instid0(VALU_DEP_2) | instskip(NEXT) | instid1(VALU_DEP_2)
	v_and_b32_e32 v3, 0x80000000, v3
	v_lshlrev_b32_e32 v1, 20, v1
	s_delay_alu instid0(VALU_DEP_3) | instskip(NEXT) | instid1(VALU_DEP_1)
	v_lshl_add_u32 v6, v7, 23, 0x3b800000
	v_or3_b32 v1, v3, v6, v1
	s_delay_alu instid0(VALU_DEP_1)
	v_cvt_f16_f32_e32 v1, v1
.LBB23_608:
	s_or_b32 exec_lo, exec_lo, s24
.LBB23_609:
	s_mov_b32 s23, -1
.LBB23_610:
	s_mov_b32 s24, 0
.LBB23_611:
	s_delay_alu instid0(SALU_CYCLE_1)
	s_and_b32 vcc_lo, exec_lo, s24
	s_cbranch_vccz .LBB23_646
; %bb.612:
	s_cmp_gt_i32 s0, 22
	s_cbranch_scc0 .LBB23_622
; %bb.613:
	s_cmp_lt_i32 s0, 24
	s_cbranch_scc1 .LBB23_625
; %bb.614:
	s_cmp_gt_i32 s0, 24
	s_cbranch_scc0 .LBB23_626
; %bb.615:
	global_load_u8 v3, v[4:5], off
	s_mov_b32 s23, 0
	s_mov_b32 s24, exec_lo
	s_wait_loadcnt 0x0
	v_cmpx_lt_i16_e32 0x7f, v3
	s_xor_b32 s24, exec_lo, s24
	s_cbranch_execz .LBB23_638
; %bb.616:
	s_mov_b32 s23, -1
	s_mov_b32 s25, exec_lo
	v_cmpx_eq_u16_e32 0x80, v3
; %bb.617:
	s_xor_b32 s23, exec_lo, -1
; %bb.618:
	s_or_b32 exec_lo, exec_lo, s25
	s_delay_alu instid0(SALU_CYCLE_1)
	s_and_b32 s23, s23, exec_lo
	s_or_saveexec_b32 s24, s24
	v_mov_b32_e32 v1, 0x7e00
	s_xor_b32 exec_lo, exec_lo, s24
	s_cbranch_execnz .LBB23_639
.LBB23_619:
	s_or_b32 exec_lo, exec_lo, s24
	s_and_saveexec_b32 s24, s23
	s_cbranch_execz .LBB23_621
.LBB23_620:
	v_and_b32_e32 v1, 0xffff, v3
	s_delay_alu instid0(VALU_DEP_1) | instskip(SKIP_1) | instid1(VALU_DEP_2)
	v_and_b32_e32 v6, 3, v1
	v_bfe_u32 v9, v1, 2, 5
	v_clz_i32_u32_e32 v7, v6
	s_delay_alu instid0(VALU_DEP_2) | instskip(NEXT) | instid1(VALU_DEP_2)
	v_cmp_eq_u32_e32 vcc_lo, 0, v9
	v_min_u32_e32 v7, 32, v7
	s_delay_alu instid0(VALU_DEP_1) | instskip(NEXT) | instid1(VALU_DEP_1)
	v_subrev_nc_u32_e32 v8, 29, v7
	v_dual_lshlrev_b32 v1, v8, v1 :: v_dual_sub_nc_u32 v7, 30, v7
	s_delay_alu instid0(VALU_DEP_1) | instskip(NEXT) | instid1(VALU_DEP_1)
	v_dual_lshlrev_b32 v3, 24, v3 :: v_dual_bitop2_b32 v1, 3, v1 bitop3:0x40
	v_dual_cndmask_b32 v1, v6, v1, vcc_lo :: v_dual_cndmask_b32 v7, v9, v7, vcc_lo
	s_delay_alu instid0(VALU_DEP_2) | instskip(NEXT) | instid1(VALU_DEP_2)
	v_and_b32_e32 v3, 0x80000000, v3
	v_lshlrev_b32_e32 v1, 21, v1
	s_delay_alu instid0(VALU_DEP_3) | instskip(NEXT) | instid1(VALU_DEP_1)
	v_lshl_add_u32 v6, v7, 23, 0x37800000
	v_or3_b32 v1, v3, v6, v1
	s_delay_alu instid0(VALU_DEP_1)
	v_cvt_f16_f32_e32 v1, v1
.LBB23_621:
	s_or_b32 exec_lo, exec_lo, s24
	s_mov_b32 s23, 0
	s_branch .LBB23_627
.LBB23_622:
	s_mov_b32 s24, -1
                                        ; implicit-def: $vgpr1
	s_branch .LBB23_633
.LBB23_623:
	s_or_saveexec_b32 s24, s24
	v_mov_b32_e32 v1, 0x7e00
	s_xor_b32 exec_lo, exec_lo, s24
	s_cbranch_execz .LBB23_606
.LBB23_624:
	v_cmp_ne_u16_e32 vcc_lo, 0, v3
	v_mov_b32_e32 v1, v3
	s_and_not1_b32 s23, s23, exec_lo
	s_and_b32 s25, vcc_lo, exec_lo
	s_delay_alu instid0(SALU_CYCLE_1)
	s_or_b32 s23, s23, s25
	s_or_b32 exec_lo, exec_lo, s24
	s_and_saveexec_b32 s24, s23
	s_cbranch_execnz .LBB23_607
	s_branch .LBB23_608
.LBB23_625:
	s_mov_b32 s23, -1
                                        ; implicit-def: $vgpr1
	s_branch .LBB23_630
.LBB23_626:
	s_mov_b32 s23, -1
                                        ; implicit-def: $vgpr1
.LBB23_627:
	s_delay_alu instid0(SALU_CYCLE_1)
	s_and_b32 vcc_lo, exec_lo, s23
	s_cbranch_vccz .LBB23_629
; %bb.628:
	s_wait_loadcnt 0x0
	global_load_u8 v1, v[4:5], off
	s_wait_loadcnt 0x0
	v_lshlrev_b32_e32 v1, 24, v1
	s_delay_alu instid0(VALU_DEP_1) | instskip(NEXT) | instid1(VALU_DEP_1)
	v_and_b32_e32 v3, 0x7f000000, v1
	v_clz_i32_u32_e32 v6, v3
	v_cmp_ne_u32_e32 vcc_lo, 0, v3
	v_add_nc_u32_e32 v8, 0x1000000, v3
	s_delay_alu instid0(VALU_DEP_3) | instskip(NEXT) | instid1(VALU_DEP_1)
	v_min_u32_e32 v6, 32, v6
	v_sub_nc_u32_e64 v6, v6, 4 clamp
	s_delay_alu instid0(VALU_DEP_1) | instskip(NEXT) | instid1(VALU_DEP_1)
	v_dual_lshlrev_b32 v7, v6, v3 :: v_dual_lshlrev_b32 v6, 23, v6
	v_lshrrev_b32_e32 v7, 4, v7
	s_delay_alu instid0(VALU_DEP_1) | instskip(NEXT) | instid1(VALU_DEP_1)
	v_dual_sub_nc_u32 v6, v7, v6 :: v_dual_ashrrev_i32 v7, 8, v8
	v_add_nc_u32_e32 v6, 0x3c000000, v6
	s_delay_alu instid0(VALU_DEP_1) | instskip(NEXT) | instid1(VALU_DEP_1)
	v_and_or_b32 v6, 0x7f800000, v7, v6
	v_cndmask_b32_e32 v3, 0, v6, vcc_lo
	s_delay_alu instid0(VALU_DEP_1) | instskip(NEXT) | instid1(VALU_DEP_1)
	v_and_or_b32 v1, 0x80000000, v1, v3
	v_cvt_f16_f32_e32 v1, v1
.LBB23_629:
	s_mov_b32 s23, 0
.LBB23_630:
	s_delay_alu instid0(SALU_CYCLE_1)
	s_and_not1_b32 vcc_lo, exec_lo, s23
	s_cbranch_vccnz .LBB23_632
; %bb.631:
	s_wait_loadcnt 0x0
	global_load_u8 v1, v[4:5], off
	s_wait_loadcnt 0x0
	v_lshlrev_b32_e32 v3, 25, v1
	v_lshlrev_b16 v1, 8, v1
	s_delay_alu instid0(VALU_DEP_1) | instskip(SKIP_1) | instid1(VALU_DEP_2)
	v_and_or_b32 v7, 0x7f00, v1, 0.5
	v_bfe_i32 v1, v1, 0, 16
	v_add_f32_e32 v7, -0.5, v7
	v_lshrrev_b32_e32 v6, 4, v3
	v_cmp_gt_u32_e32 vcc_lo, 0x8000000, v3
	s_delay_alu instid0(VALU_DEP_2) | instskip(NEXT) | instid1(VALU_DEP_1)
	v_or_b32_e32 v6, 0x70000000, v6
	v_mul_f32_e32 v6, 0x7800000, v6
	s_delay_alu instid0(VALU_DEP_1) | instskip(NEXT) | instid1(VALU_DEP_1)
	v_cndmask_b32_e32 v3, v6, v7, vcc_lo
	v_and_or_b32 v1, 0x80000000, v1, v3
	s_delay_alu instid0(VALU_DEP_1)
	v_cvt_f16_f32_e32 v1, v1
.LBB23_632:
	s_mov_b32 s24, 0
	s_mov_b32 s23, -1
.LBB23_633:
	s_and_not1_b32 vcc_lo, exec_lo, s24
	s_cbranch_vccnz .LBB23_646
; %bb.634:
	s_cmp_gt_i32 s0, 14
	s_cbranch_scc0 .LBB23_637
; %bb.635:
	s_cmp_eq_u32 s0, 15
	s_cbranch_scc0 .LBB23_640
; %bb.636:
	s_wait_loadcnt 0x0
	global_load_u16 v1, v[4:5], off
	s_mov_b32 s23, -1
	s_mov_b32 s22, 0
	s_wait_loadcnt 0x0
	v_lshlrev_b32_e32 v1, 16, v1
	s_delay_alu instid0(VALU_DEP_1)
	v_cvt_f16_f32_e32 v1, v1
	s_branch .LBB23_641
.LBB23_637:
	s_mov_b32 s24, -1
                                        ; implicit-def: $vgpr1
	s_branch .LBB23_642
.LBB23_638:
	s_or_saveexec_b32 s24, s24
	v_mov_b32_e32 v1, 0x7e00
	s_xor_b32 exec_lo, exec_lo, s24
	s_cbranch_execz .LBB23_619
.LBB23_639:
	v_cmp_ne_u16_e32 vcc_lo, 0, v3
	v_mov_b32_e32 v1, v3
	s_and_not1_b32 s23, s23, exec_lo
	s_and_b32 s25, vcc_lo, exec_lo
	s_delay_alu instid0(SALU_CYCLE_1)
	s_or_b32 s23, s23, s25
	s_or_b32 exec_lo, exec_lo, s24
	s_and_saveexec_b32 s24, s23
	s_cbranch_execnz .LBB23_620
	s_branch .LBB23_621
.LBB23_640:
	s_mov_b32 s22, -1
                                        ; implicit-def: $vgpr1
.LBB23_641:
	s_mov_b32 s24, 0
.LBB23_642:
	s_delay_alu instid0(SALU_CYCLE_1)
	s_and_b32 vcc_lo, exec_lo, s24
	s_cbranch_vccz .LBB23_646
; %bb.643:
	s_cmp_eq_u32 s0, 11
	s_cbranch_scc0 .LBB23_645
; %bb.644:
	s_wait_loadcnt 0x0
	global_load_u8 v1, v[4:5], off
	s_mov_b32 s22, 0
	s_mov_b32 s23, -1
	s_wait_loadcnt 0x0
	v_cmp_ne_u16_e32 vcc_lo, 0, v1
	v_cndmask_b32_e64 v1, 0, 0x3c00, vcc_lo
	s_branch .LBB23_646
.LBB23_645:
	s_mov_b32 s22, -1
                                        ; implicit-def: $vgpr1
.LBB23_646:
	s_mov_b32 s24, 0
.LBB23_647:
	s_delay_alu instid0(SALU_CYCLE_1)
	s_and_b32 vcc_lo, exec_lo, s24
	s_cbranch_vccz .LBB23_696
; %bb.648:
	s_cmp_lt_i32 s0, 5
	s_cbranch_scc1 .LBB23_653
; %bb.649:
	s_cmp_lt_i32 s0, 8
	s_cbranch_scc1 .LBB23_654
	;; [unrolled: 3-line block ×3, first 2 shown]
; %bb.651:
	s_cmp_gt_i32 s0, 9
	s_cbranch_scc0 .LBB23_656
; %bb.652:
	global_load_b64 v[6:7], v[4:5], off
	s_mov_b32 s23, 0
	s_wait_loadcnt 0x0
	v_and_or_b32 v1, 0x1ff, v7, v6
	v_lshrrev_b32_e32 v3, 8, v7
	v_bfe_u32 v6, v7, 20, 11
	s_delay_alu instid0(VALU_DEP_3) | instskip(NEXT) | instid1(VALU_DEP_2)
	v_cmp_ne_u32_e32 vcc_lo, 0, v1
	v_sub_nc_u32_e32 v8, 0x3f1, v6
	v_add_nc_u32_e32 v6, 0xfffffc10, v6
	v_cndmask_b32_e64 v1, 0, 1, vcc_lo
	s_delay_alu instid0(VALU_DEP_1) | instskip(NEXT) | instid1(VALU_DEP_4)
	v_and_or_b32 v1, 0xffe, v3, v1
	v_med3_i32 v3, v8, 0, 13
	s_delay_alu instid0(VALU_DEP_2) | instskip(NEXT) | instid1(VALU_DEP_1)
	v_or_b32_e32 v8, 0x1000, v1
	v_lshrrev_b32_e32 v9, v3, v8
	s_delay_alu instid0(VALU_DEP_1) | instskip(NEXT) | instid1(VALU_DEP_1)
	v_lshlrev_b32_e32 v3, v3, v9
	v_cmp_ne_u32_e32 vcc_lo, v3, v8
	v_lshl_or_b32 v8, v6, 12, v1
	v_cndmask_b32_e64 v3, 0, 1, vcc_lo
	v_cmp_gt_i32_e32 vcc_lo, 1, v6
	s_delay_alu instid0(VALU_DEP_2) | instskip(NEXT) | instid1(VALU_DEP_1)
	v_or_b32_e32 v3, v9, v3
	v_cndmask_b32_e32 v3, v8, v3, vcc_lo
	s_delay_alu instid0(VALU_DEP_1) | instskip(NEXT) | instid1(VALU_DEP_1)
	v_dual_lshrrev_b32 v3, 2, v3 :: v_dual_bitop2_b32 v8, 7, v3 bitop3:0x40
	v_cmp_lt_i32_e32 vcc_lo, 5, v8
	v_cndmask_b32_e64 v9, 0, 1, vcc_lo
	v_cmp_eq_u32_e32 vcc_lo, 3, v8
	v_cndmask_b32_e64 v8, 0, 1, vcc_lo
	v_cmp_ne_u32_e32 vcc_lo, 0, v1
	s_delay_alu instid0(VALU_DEP_2) | instskip(SKIP_1) | instid1(VALU_DEP_2)
	v_or_b32_e32 v8, v8, v9
	v_mov_b32_e32 v9, 0x7e00
	v_add_nc_u32_e32 v3, v3, v8
	s_delay_alu instid0(VALU_DEP_2) | instskip(SKIP_1) | instid1(VALU_DEP_3)
	v_cndmask_b32_e32 v1, 0x7c00, v9, vcc_lo
	v_cmp_gt_i32_e32 vcc_lo, 31, v6
	v_cndmask_b32_e32 v3, 0x7c00, v3, vcc_lo
	v_cmp_eq_u32_e32 vcc_lo, 0x40f, v6
	s_delay_alu instid0(VALU_DEP_2) | instskip(NEXT) | instid1(VALU_DEP_1)
	v_dual_cndmask_b32 v1, v3, v1, vcc_lo :: v_dual_lshrrev_b32 v3, 16, v7
	v_and_or_b32 v1, 0x8000, v3, v1
	s_branch .LBB23_657
.LBB23_653:
	s_mov_b32 s23, -1
                                        ; implicit-def: $vgpr1
	s_branch .LBB23_675
.LBB23_654:
	s_mov_b32 s23, -1
                                        ; implicit-def: $vgpr1
	s_branch .LBB23_663
.LBB23_655:
	s_mov_b32 s23, -1
                                        ; implicit-def: $vgpr1
	s_branch .LBB23_660
.LBB23_656:
	s_mov_b32 s23, -1
                                        ; implicit-def: $vgpr1
.LBB23_657:
	s_delay_alu instid0(SALU_CYCLE_1)
	s_and_not1_b32 vcc_lo, exec_lo, s23
	s_cbranch_vccnz .LBB23_659
; %bb.658:
	s_wait_loadcnt 0x0
	global_load_b32 v1, v[4:5], off
	s_wait_loadcnt 0x0
	v_cvt_f16_f32_e32 v1, v1
.LBB23_659:
	s_mov_b32 s23, 0
.LBB23_660:
	s_delay_alu instid0(SALU_CYCLE_1)
	s_and_not1_b32 vcc_lo, exec_lo, s23
	s_cbranch_vccnz .LBB23_662
; %bb.661:
	s_wait_loadcnt 0x0
	global_load_b32 v1, v[4:5], off
.LBB23_662:
	s_mov_b32 s23, 0
.LBB23_663:
	s_delay_alu instid0(SALU_CYCLE_1)
	s_and_not1_b32 vcc_lo, exec_lo, s23
	s_cbranch_vccnz .LBB23_674
; %bb.664:
	s_cmp_lt_i32 s0, 6
	s_cbranch_scc1 .LBB23_667
; %bb.665:
	s_cmp_gt_i32 s0, 6
	s_cbranch_scc0 .LBB23_668
; %bb.666:
	global_load_b64 v[6:7], v[4:5], off
	s_mov_b32 s23, 0
	s_wait_loadcnt 0x0
	v_and_or_b32 v1, 0x1ff, v7, v6
	v_lshrrev_b32_e32 v3, 8, v7
	v_bfe_u32 v6, v7, 20, 11
	s_delay_alu instid0(VALU_DEP_3) | instskip(NEXT) | instid1(VALU_DEP_2)
	v_cmp_ne_u32_e32 vcc_lo, 0, v1
	v_sub_nc_u32_e32 v8, 0x3f1, v6
	v_add_nc_u32_e32 v6, 0xfffffc10, v6
	v_cndmask_b32_e64 v1, 0, 1, vcc_lo
	s_delay_alu instid0(VALU_DEP_1) | instskip(NEXT) | instid1(VALU_DEP_4)
	v_and_or_b32 v1, 0xffe, v3, v1
	v_med3_i32 v3, v8, 0, 13
	s_delay_alu instid0(VALU_DEP_2) | instskip(NEXT) | instid1(VALU_DEP_1)
	v_or_b32_e32 v8, 0x1000, v1
	v_lshrrev_b32_e32 v9, v3, v8
	s_delay_alu instid0(VALU_DEP_1) | instskip(NEXT) | instid1(VALU_DEP_1)
	v_lshlrev_b32_e32 v3, v3, v9
	v_cmp_ne_u32_e32 vcc_lo, v3, v8
	v_lshl_or_b32 v8, v6, 12, v1
	v_cndmask_b32_e64 v3, 0, 1, vcc_lo
	v_cmp_gt_i32_e32 vcc_lo, 1, v6
	s_delay_alu instid0(VALU_DEP_2) | instskip(NEXT) | instid1(VALU_DEP_1)
	v_or_b32_e32 v3, v9, v3
	v_cndmask_b32_e32 v3, v8, v3, vcc_lo
	s_delay_alu instid0(VALU_DEP_1) | instskip(NEXT) | instid1(VALU_DEP_1)
	v_dual_lshrrev_b32 v3, 2, v3 :: v_dual_bitop2_b32 v8, 7, v3 bitop3:0x40
	v_cmp_lt_i32_e32 vcc_lo, 5, v8
	v_cndmask_b32_e64 v9, 0, 1, vcc_lo
	v_cmp_eq_u32_e32 vcc_lo, 3, v8
	v_cndmask_b32_e64 v8, 0, 1, vcc_lo
	v_cmp_ne_u32_e32 vcc_lo, 0, v1
	s_delay_alu instid0(VALU_DEP_2) | instskip(SKIP_1) | instid1(VALU_DEP_2)
	v_or_b32_e32 v8, v8, v9
	v_mov_b32_e32 v9, 0x7e00
	v_add_nc_u32_e32 v3, v3, v8
	s_delay_alu instid0(VALU_DEP_2) | instskip(SKIP_1) | instid1(VALU_DEP_3)
	v_cndmask_b32_e32 v1, 0x7c00, v9, vcc_lo
	v_cmp_gt_i32_e32 vcc_lo, 31, v6
	v_cndmask_b32_e32 v3, 0x7c00, v3, vcc_lo
	v_cmp_eq_u32_e32 vcc_lo, 0x40f, v6
	s_delay_alu instid0(VALU_DEP_2) | instskip(NEXT) | instid1(VALU_DEP_1)
	v_dual_cndmask_b32 v1, v3, v1, vcc_lo :: v_dual_lshrrev_b32 v3, 16, v7
	v_and_or_b32 v1, 0x8000, v3, v1
	s_branch .LBB23_669
.LBB23_667:
	s_mov_b32 s23, -1
                                        ; implicit-def: $vgpr1
	s_branch .LBB23_672
.LBB23_668:
	s_mov_b32 s23, -1
                                        ; implicit-def: $vgpr1
.LBB23_669:
	s_delay_alu instid0(SALU_CYCLE_1)
	s_and_not1_b32 vcc_lo, exec_lo, s23
	s_cbranch_vccnz .LBB23_671
; %bb.670:
	s_wait_loadcnt 0x0
	global_load_b32 v1, v[4:5], off
	s_wait_loadcnt 0x0
	v_cvt_f16_f32_e32 v1, v1
.LBB23_671:
	s_mov_b32 s23, 0
.LBB23_672:
	s_delay_alu instid0(SALU_CYCLE_1)
	s_and_not1_b32 vcc_lo, exec_lo, s23
	s_cbranch_vccnz .LBB23_674
; %bb.673:
	s_wait_loadcnt 0x0
	global_load_u16 v1, v[4:5], off
.LBB23_674:
	s_mov_b32 s23, 0
.LBB23_675:
	s_delay_alu instid0(SALU_CYCLE_1)
	s_and_not1_b32 vcc_lo, exec_lo, s23
	s_cbranch_vccnz .LBB23_695
; %bb.676:
	s_cmp_lt_i32 s0, 2
	s_cbranch_scc1 .LBB23_680
; %bb.677:
	s_cmp_lt_i32 s0, 3
	s_cbranch_scc1 .LBB23_681
; %bb.678:
	s_cmp_gt_i32 s0, 3
	s_cbranch_scc0 .LBB23_682
; %bb.679:
	global_load_b64 v[6:7], v[4:5], off
	s_mov_b32 s23, 0
	s_wait_loadcnt 0x0
	v_xor_b32_e32 v1, v6, v7
	v_cls_i32_e32 v3, v7
	s_delay_alu instid0(VALU_DEP_2) | instskip(NEXT) | instid1(VALU_DEP_1)
	v_ashrrev_i32_e32 v1, 31, v1
	v_add_nc_u32_e32 v1, 32, v1
	s_delay_alu instid0(VALU_DEP_1) | instskip(NEXT) | instid1(VALU_DEP_1)
	v_add_min_u32_e64 v1, v3, -1, v1
	v_lshlrev_b64_e32 v[6:7], v1, v[6:7]
	v_sub_nc_u32_e32 v1, 32, v1
	s_delay_alu instid0(VALU_DEP_2) | instskip(NEXT) | instid1(VALU_DEP_1)
	v_min_u32_e32 v3, 1, v6
	v_or_b32_e32 v3, v7, v3
	s_delay_alu instid0(VALU_DEP_1) | instskip(NEXT) | instid1(VALU_DEP_1)
	v_cvt_f32_i32_e32 v3, v3
	v_ldexp_f32 v1, v3, v1
	s_delay_alu instid0(VALU_DEP_1)
	v_cvt_f16_f32_e32 v1, v1
	s_branch .LBB23_683
.LBB23_680:
	s_mov_b32 s23, -1
                                        ; implicit-def: $vgpr1
	s_branch .LBB23_689
.LBB23_681:
	s_mov_b32 s23, -1
                                        ; implicit-def: $vgpr1
	s_branch .LBB23_686
.LBB23_682:
	s_mov_b32 s23, -1
                                        ; implicit-def: $vgpr1
.LBB23_683:
	s_delay_alu instid0(SALU_CYCLE_1)
	s_and_not1_b32 vcc_lo, exec_lo, s23
	s_cbranch_vccnz .LBB23_685
; %bb.684:
	s_wait_loadcnt 0x0
	global_load_b32 v1, v[4:5], off
	s_wait_loadcnt 0x0
	v_cvt_f32_i32_e32 v1, v1
	s_delay_alu instid0(VALU_DEP_1)
	v_cvt_f16_f32_e32 v1, v1
.LBB23_685:
	s_mov_b32 s23, 0
.LBB23_686:
	s_delay_alu instid0(SALU_CYCLE_1)
	s_and_not1_b32 vcc_lo, exec_lo, s23
	s_cbranch_vccnz .LBB23_688
; %bb.687:
	s_wait_loadcnt 0x0
	global_load_u16 v1, v[4:5], off
	s_wait_loadcnt 0x0
	v_cvt_f16_i16_e32 v1, v1
.LBB23_688:
	s_mov_b32 s23, 0
.LBB23_689:
	s_delay_alu instid0(SALU_CYCLE_1)
	s_and_not1_b32 vcc_lo, exec_lo, s23
	s_cbranch_vccnz .LBB23_695
; %bb.690:
	s_cmp_gt_i32 s0, 0
	s_mov_b32 s0, 0
	s_cbranch_scc0 .LBB23_692
; %bb.691:
	s_wait_loadcnt 0x0
	global_load_i8 v1, v[4:5], off
	s_wait_loadcnt 0x0
	v_cvt_f16_i16_e32 v1, v1
	s_branch .LBB23_693
.LBB23_692:
	s_mov_b32 s0, -1
                                        ; implicit-def: $vgpr1
.LBB23_693:
	s_delay_alu instid0(SALU_CYCLE_1)
	s_and_not1_b32 vcc_lo, exec_lo, s0
	s_cbranch_vccnz .LBB23_695
; %bb.694:
	s_wait_loadcnt 0x0
	global_load_u8 v1, v[4:5], off
	s_wait_loadcnt 0x0
	v_cvt_f16_u16_e32 v1, v1
.LBB23_695:
	s_mov_b32 s23, -1
.LBB23_696:
	s_delay_alu instid0(SALU_CYCLE_1)
	s_and_not1_b32 vcc_lo, exec_lo, s23
	s_cbranch_vccnz .LBB23_704
; %bb.697:
	s_wait_loadcnt 0x0
	v_cmp_nge_f16_e64 s0, v1, -s34
	v_cmp_nge_f16_e32 vcc_lo, s34, v1
	s_and_b32 s23, s35, 0xff
	s_mov_b32 s25, 0
	s_mov_b32 s24, -1
	s_or_b32 vcc_lo, s0, vcc_lo
	s_delay_alu instid0(SALU_CYCLE_1) | instskip(SKIP_2) | instid1(VALU_DEP_1)
	v_dual_mov_b32 v3, 0 :: v_dual_cndmask_b32 v1, 0, v1, vcc_lo
	s_cmp_lt_i32 s23, 11
	s_mov_b32 s0, s44
	v_add_nc_u64_e32 v[2:3], s[4:5], v[2:3]
	s_cbranch_scc1 .LBB23_705
; %bb.698:
	s_and_b32 s24, 0xffff, s23
	s_delay_alu instid0(SALU_CYCLE_1)
	s_cmp_gt_i32 s24, 25
	s_cbranch_scc0 .LBB23_746
; %bb.699:
	s_cmp_gt_i32 s24, 28
	s_cbranch_scc0 .LBB23_747
; %bb.700:
	;; [unrolled: 3-line block ×4, first 2 shown]
	s_mov_b32 s26, 0
	s_mov_b32 s0, -1
	s_cmp_eq_u32 s24, 46
	s_cbranch_scc0 .LBB23_750
; %bb.703:
	s_wait_xcnt 0x0
	v_cvt_f32_f16_e32 v4, v1
	v_cmp_o_f16_e32 vcc_lo, v1, v1
	s_mov_b32 s25, -1
	s_mov_b32 s0, 0
	s_delay_alu instid0(VALU_DEP_2) | instskip(NEXT) | instid1(VALU_DEP_1)
	v_bfe_u32 v5, v4, 16, 1
	v_add3_u32 v4, v4, v5, 0x7fff
	s_delay_alu instid0(VALU_DEP_1) | instskip(NEXT) | instid1(VALU_DEP_1)
	v_lshrrev_b32_e32 v4, 16, v4
	v_cndmask_b32_e32 v4, 0x7fc0, v4, vcc_lo
	global_store_b32 v[2:3], v4, off
	s_branch .LBB23_750
.LBB23_704:
	s_mov_b32 s23, 0
	s_mov_b32 s0, s44
	s_branch .LBB23_745
.LBB23_705:
	s_and_b32 vcc_lo, exec_lo, s24
	s_cbranch_vccz .LBB23_819
; %bb.706:
	s_and_b32 s23, 0xffff, s23
	s_mov_b32 s24, -1
	s_cmp_lt_i32 s23, 5
	s_cbranch_scc1 .LBB23_727
; %bb.707:
	s_cmp_lt_i32 s23, 8
	s_cbranch_scc1 .LBB23_717
; %bb.708:
	s_cmp_lt_i32 s23, 9
	s_cbranch_scc1 .LBB23_714
; %bb.709:
	s_cmp_gt_i32 s23, 9
	s_cbranch_scc0 .LBB23_711
; %bb.710:
	s_wait_xcnt 0x0
	v_cvt_f32_f16_e32 v4, v1
	v_mov_b32_e32 v6, 0
	s_mov_b32 s24, 0
	s_delay_alu instid0(VALU_DEP_2) | instskip(NEXT) | instid1(VALU_DEP_2)
	v_cvt_f64_f32_e32 v[4:5], v4
	v_mov_b32_e32 v7, v6
	global_store_b128 v[2:3], v[4:7], off
.LBB23_711:
	s_and_not1_b32 vcc_lo, exec_lo, s24
	s_cbranch_vccnz .LBB23_713
; %bb.712:
	s_wait_xcnt 0x0
	v_cvt_f32_f16_e32 v4, v1
	v_mov_b32_e32 v5, 0
	global_store_b64 v[2:3], v[4:5], off
.LBB23_713:
	s_mov_b32 s24, 0
.LBB23_714:
	s_delay_alu instid0(SALU_CYCLE_1)
	s_and_not1_b32 vcc_lo, exec_lo, s24
	s_cbranch_vccnz .LBB23_716
; %bb.715:
	s_wait_xcnt 0x0
	v_and_b32_e32 v4, 0xffff, v1
	global_store_b32 v[2:3], v4, off
.LBB23_716:
	s_mov_b32 s24, 0
.LBB23_717:
	s_delay_alu instid0(SALU_CYCLE_1)
	s_and_not1_b32 vcc_lo, exec_lo, s24
	s_cbranch_vccnz .LBB23_726
; %bb.718:
	s_cmp_lt_i32 s23, 6
	s_mov_b32 s24, -1
	s_cbranch_scc1 .LBB23_724
; %bb.719:
	s_cmp_gt_i32 s23, 6
	s_cbranch_scc0 .LBB23_721
; %bb.720:
	s_wait_xcnt 0x0
	v_cvt_f32_f16_e32 v4, v1
	s_mov_b32 s24, 0
	s_delay_alu instid0(VALU_DEP_1)
	v_cvt_f64_f32_e32 v[4:5], v4
	global_store_b64 v[2:3], v[4:5], off
.LBB23_721:
	s_and_not1_b32 vcc_lo, exec_lo, s24
	s_cbranch_vccnz .LBB23_723
; %bb.722:
	s_wait_xcnt 0x0
	v_cvt_f32_f16_e32 v4, v1
	global_store_b32 v[2:3], v4, off
.LBB23_723:
	s_mov_b32 s24, 0
.LBB23_724:
	s_delay_alu instid0(SALU_CYCLE_1)
	s_and_not1_b32 vcc_lo, exec_lo, s24
	s_cbranch_vccnz .LBB23_726
; %bb.725:
	global_store_b16 v[2:3], v1, off
.LBB23_726:
	s_mov_b32 s24, 0
.LBB23_727:
	s_delay_alu instid0(SALU_CYCLE_1)
	s_and_not1_b32 vcc_lo, exec_lo, s24
	s_cbranch_vccnz .LBB23_743
; %bb.728:
	s_cmp_lt_i32 s23, 2
	s_mov_b32 s24, -1
	s_cbranch_scc1 .LBB23_738
; %bb.729:
	s_cmp_lt_i32 s23, 3
	s_cbranch_scc1 .LBB23_735
; %bb.730:
	s_cmp_gt_i32 s23, 3
	s_cbranch_scc0 .LBB23_732
; %bb.731:
	s_wait_xcnt 0x0
	v_cvt_f32_f16_e32 v4, v1
	s_mov_b32 s24, 0
	s_delay_alu instid0(VALU_DEP_1) | instskip(NEXT) | instid1(VALU_DEP_1)
	v_cvt_i32_f32_e32 v4, v4
	v_ashrrev_i32_e32 v5, 31, v4
	global_store_b64 v[2:3], v[4:5], off
.LBB23_732:
	s_and_not1_b32 vcc_lo, exec_lo, s24
	s_cbranch_vccnz .LBB23_734
; %bb.733:
	s_wait_xcnt 0x0
	v_cvt_f32_f16_e32 v4, v1
	s_delay_alu instid0(VALU_DEP_1)
	v_cvt_i32_f32_e32 v4, v4
	global_store_b32 v[2:3], v4, off
.LBB23_734:
	s_mov_b32 s24, 0
.LBB23_735:
	s_delay_alu instid0(SALU_CYCLE_1)
	s_and_not1_b32 vcc_lo, exec_lo, s24
	s_cbranch_vccnz .LBB23_737
; %bb.736:
	s_wait_xcnt 0x0
	v_cvt_i16_f16_e32 v4, v1
	global_store_b16 v[2:3], v4, off
.LBB23_737:
	s_mov_b32 s24, 0
.LBB23_738:
	s_delay_alu instid0(SALU_CYCLE_1)
	s_and_not1_b32 vcc_lo, exec_lo, s24
	s_cbranch_vccnz .LBB23_743
; %bb.739:
	s_cmp_gt_i32 s23, 0
	s_mov_b32 s23, -1
	s_cbranch_scc0 .LBB23_741
; %bb.740:
	s_wait_xcnt 0x0
	v_cvt_i16_f16_e32 v4, v1
	s_mov_b32 s23, 0
	global_store_b8 v[2:3], v4, off
.LBB23_741:
	s_and_not1_b32 vcc_lo, exec_lo, s23
	s_cbranch_vccnz .LBB23_743
; %bb.742:
	s_wait_xcnt 0x0
	v_cvt_f32_f16_e32 v1, v1
	s_delay_alu instid0(VALU_DEP_1)
	v_cvt_i32_f32_e32 v1, v1
	global_store_b8 v[2:3], v1, off
.LBB23_743:
	s_branch .LBB23_820
.LBB23_744:
	s_mov_b32 s23, 0
.LBB23_745:
                                        ; implicit-def: $vgpr0
	s_branch .LBB23_821
.LBB23_746:
	s_mov_b32 s26, -1
	s_mov_b32 s0, s44
	s_branch .LBB23_777
.LBB23_747:
	s_mov_b32 s26, -1
	s_mov_b32 s0, s44
	s_branch .LBB23_760
.LBB23_748:
	s_mov_b32 s26, -1
	s_mov_b32 s0, s44
	s_branch .LBB23_756
.LBB23_749:
	s_mov_b32 s26, -1
	s_mov_b32 s0, s44
.LBB23_750:
	s_and_b32 vcc_lo, exec_lo, s26
	s_cbranch_vccz .LBB23_755
; %bb.751:
	s_cmp_eq_u32 s24, 44
	s_mov_b32 s0, -1
	s_cbranch_scc0 .LBB23_755
; %bb.752:
	s_wait_xcnt 0x0
	v_cvt_f32_f16_e32 v4, v1
	v_mov_b32_e32 v5, 0xff
	s_mov_b32 s25, exec_lo
	s_delay_alu instid0(VALU_DEP_2) | instskip(NEXT) | instid1(VALU_DEP_1)
	v_bfe_u32 v6, v4, 23, 8
	v_cmpx_ne_u32_e32 0xff, v6
	s_cbranch_execz .LBB23_754
; %bb.753:
	v_and_b32_e32 v5, 0x400000, v4
	v_and_or_b32 v6, 0x3fffff, v4, v6
	v_lshrrev_b32_e32 v4, 23, v4
	s_delay_alu instid0(VALU_DEP_3) | instskip(NEXT) | instid1(VALU_DEP_3)
	v_cmp_ne_u32_e32 vcc_lo, 0, v5
	v_cmp_ne_u32_e64 s0, 0, v6
	s_and_b32 s0, vcc_lo, s0
	s_delay_alu instid0(SALU_CYCLE_1) | instskip(NEXT) | instid1(VALU_DEP_1)
	v_cndmask_b32_e64 v5, 0, 1, s0
	v_add_nc_u32_e32 v5, v4, v5
.LBB23_754:
	s_or_b32 exec_lo, exec_lo, s25
	s_mov_b32 s25, -1
	s_mov_b32 s0, 0
	global_store_b8 v[2:3], v5, off
.LBB23_755:
	s_mov_b32 s26, 0
.LBB23_756:
	s_delay_alu instid0(SALU_CYCLE_1)
	s_and_b32 vcc_lo, exec_lo, s26
	s_cbranch_vccz .LBB23_759
; %bb.757:
	s_cmp_eq_u32 s24, 29
	s_mov_b32 s0, -1
	s_cbranch_scc0 .LBB23_759
; %bb.758:
	s_wait_xcnt 0x0
	v_cvt_f32_f16_e32 v4, v1
	v_mov_b32_e32 v5, 0
	s_mov_b32 s25, -1
	s_mov_b32 s0, 0
	s_mov_b32 s26, 0
	v_cvt_u32_f32_e32 v4, v4
	global_store_b64 v[2:3], v[4:5], off
	s_branch .LBB23_760
.LBB23_759:
	s_mov_b32 s26, 0
.LBB23_760:
	s_delay_alu instid0(SALU_CYCLE_1)
	s_and_b32 vcc_lo, exec_lo, s26
	s_cbranch_vccz .LBB23_776
; %bb.761:
	s_cmp_lt_i32 s24, 27
	s_mov_b32 s25, -1
	s_cbranch_scc1 .LBB23_767
; %bb.762:
	s_cmp_gt_i32 s24, 27
	s_cbranch_scc0 .LBB23_764
; %bb.763:
	s_wait_xcnt 0x0
	v_cvt_f32_f16_e32 v4, v1
	s_mov_b32 s25, 0
	s_delay_alu instid0(VALU_DEP_1)
	v_cvt_u32_f32_e32 v4, v4
	global_store_b32 v[2:3], v4, off
.LBB23_764:
	s_and_not1_b32 vcc_lo, exec_lo, s25
	s_cbranch_vccnz .LBB23_766
; %bb.765:
	s_wait_xcnt 0x0
	v_cvt_u16_f16_e32 v4, v1
	global_store_b16 v[2:3], v4, off
.LBB23_766:
	s_mov_b32 s25, 0
.LBB23_767:
	s_delay_alu instid0(SALU_CYCLE_1)
	s_and_not1_b32 vcc_lo, exec_lo, s25
	s_cbranch_vccnz .LBB23_775
; %bb.768:
	s_wait_xcnt 0x0
	v_cvt_f32_f16_e32 v4, v1
	v_mov_b32_e32 v6, 0x80
	s_mov_b32 s25, exec_lo
	s_delay_alu instid0(VALU_DEP_2) | instskip(NEXT) | instid1(VALU_DEP_1)
	v_and_b32_e32 v5, 0x7fffffff, v4
	v_cmpx_gt_u32_e32 0x43800000, v5
	s_cbranch_execz .LBB23_774
; %bb.769:
	v_cmp_lt_u32_e32 vcc_lo, 0x3bffffff, v5
	s_mov_b32 s26, 0
                                        ; implicit-def: $vgpr5
	s_and_saveexec_b32 s27, vcc_lo
	s_delay_alu instid0(SALU_CYCLE_1)
	s_xor_b32 s27, exec_lo, s27
	s_cbranch_execz .LBB23_852
; %bb.770:
	v_bfe_u32 v5, v4, 20, 1
	s_mov_b32 s26, exec_lo
	s_delay_alu instid0(VALU_DEP_1) | instskip(NEXT) | instid1(VALU_DEP_1)
	v_add3_u32 v5, v4, v5, 0x487ffff
	v_lshrrev_b32_e32 v5, 20, v5
	s_and_not1_saveexec_b32 s27, s27
	s_cbranch_execnz .LBB23_853
.LBB23_771:
	s_or_b32 exec_lo, exec_lo, s27
	v_mov_b32_e32 v6, 0
	s_and_saveexec_b32 s27, s26
.LBB23_772:
	v_lshrrev_b32_e32 v4, 24, v4
	s_delay_alu instid0(VALU_DEP_1)
	v_and_or_b32 v6, 0x80, v4, v5
.LBB23_773:
	s_or_b32 exec_lo, exec_lo, s27
.LBB23_774:
	s_delay_alu instid0(SALU_CYCLE_1)
	s_or_b32 exec_lo, exec_lo, s25
	global_store_b8 v[2:3], v6, off
.LBB23_775:
	s_mov_b32 s25, -1
.LBB23_776:
	s_mov_b32 s26, 0
.LBB23_777:
	s_delay_alu instid0(SALU_CYCLE_1)
	s_and_b32 vcc_lo, exec_lo, s26
	s_cbranch_vccz .LBB23_818
; %bb.778:
	s_cmp_gt_i32 s24, 22
	s_mov_b32 s26, -1
	s_cbranch_scc0 .LBB23_810
; %bb.779:
	s_cmp_lt_i32 s24, 24
	s_mov_b32 s25, -1
	s_cbranch_scc1 .LBB23_799
; %bb.780:
	s_cmp_gt_i32 s24, 24
	s_cbranch_scc0 .LBB23_788
; %bb.781:
	s_wait_xcnt 0x0
	v_cvt_f32_f16_e32 v4, v1
	v_mov_b32_e32 v6, 0x80
	s_mov_b32 s25, exec_lo
	s_delay_alu instid0(VALU_DEP_2) | instskip(NEXT) | instid1(VALU_DEP_1)
	v_and_b32_e32 v5, 0x7fffffff, v4
	v_cmpx_gt_u32_e32 0x47800000, v5
	s_cbranch_execz .LBB23_787
; %bb.782:
	v_cmp_lt_u32_e32 vcc_lo, 0x37ffffff, v5
	s_mov_b32 s26, 0
                                        ; implicit-def: $vgpr5
	s_and_saveexec_b32 s27, vcc_lo
	s_delay_alu instid0(SALU_CYCLE_1)
	s_xor_b32 s27, exec_lo, s27
	s_cbranch_execz .LBB23_855
; %bb.783:
	v_bfe_u32 v5, v4, 21, 1
	s_mov_b32 s26, exec_lo
	s_delay_alu instid0(VALU_DEP_1) | instskip(NEXT) | instid1(VALU_DEP_1)
	v_add3_u32 v5, v4, v5, 0x88fffff
	v_lshrrev_b32_e32 v5, 21, v5
	s_and_not1_saveexec_b32 s27, s27
	s_cbranch_execnz .LBB23_856
.LBB23_784:
	s_or_b32 exec_lo, exec_lo, s27
	v_mov_b32_e32 v6, 0
	s_and_saveexec_b32 s27, s26
.LBB23_785:
	v_lshrrev_b32_e32 v4, 24, v4
	s_delay_alu instid0(VALU_DEP_1)
	v_and_or_b32 v6, 0x80, v4, v5
.LBB23_786:
	s_or_b32 exec_lo, exec_lo, s27
.LBB23_787:
	s_delay_alu instid0(SALU_CYCLE_1)
	s_or_b32 exec_lo, exec_lo, s25
	s_mov_b32 s25, 0
	global_store_b8 v[2:3], v6, off
.LBB23_788:
	s_and_b32 vcc_lo, exec_lo, s25
	s_cbranch_vccz .LBB23_798
; %bb.789:
	s_wait_xcnt 0x0
	v_cvt_f32_f16_e32 v4, v1
	s_mov_b32 s25, exec_lo
                                        ; implicit-def: $vgpr5
	s_delay_alu instid0(VALU_DEP_1) | instskip(NEXT) | instid1(VALU_DEP_1)
	v_and_b32_e32 v6, 0x7fffffff, v4
	v_cmpx_gt_u32_e32 0x43f00000, v6
	s_xor_b32 s25, exec_lo, s25
	s_cbranch_execz .LBB23_795
; %bb.790:
	s_mov_b32 s26, exec_lo
                                        ; implicit-def: $vgpr5
	v_cmpx_lt_u32_e32 0x3c7fffff, v6
	s_xor_b32 s26, exec_lo, s26
; %bb.791:
	v_bfe_u32 v5, v4, 20, 1
	s_delay_alu instid0(VALU_DEP_1) | instskip(NEXT) | instid1(VALU_DEP_1)
	v_add3_u32 v5, v4, v5, 0x407ffff
	v_and_b32_e32 v6, 0xff00000, v5
	v_lshrrev_b32_e32 v5, 20, v5
	s_delay_alu instid0(VALU_DEP_2) | instskip(NEXT) | instid1(VALU_DEP_2)
	v_cmp_ne_u32_e32 vcc_lo, 0x7f00000, v6
	v_cndmask_b32_e32 v5, 0x7e, v5, vcc_lo
; %bb.792:
	s_and_not1_saveexec_b32 s26, s26
; %bb.793:
	v_add_f32_e64 v5, 0x46800000, |v4|
; %bb.794:
	s_or_b32 exec_lo, exec_lo, s26
                                        ; implicit-def: $vgpr6
.LBB23_795:
	s_and_not1_saveexec_b32 s25, s25
; %bb.796:
	v_mov_b32_e32 v5, 0x7f
	v_cmp_lt_u32_e32 vcc_lo, 0x7f800000, v6
	s_delay_alu instid0(VALU_DEP_2)
	v_cndmask_b32_e32 v5, 0x7e, v5, vcc_lo
; %bb.797:
	s_or_b32 exec_lo, exec_lo, s25
	v_lshrrev_b32_e32 v4, 24, v4
	s_delay_alu instid0(VALU_DEP_1)
	v_and_or_b32 v4, 0x80, v4, v5
	global_store_b8 v[2:3], v4, off
.LBB23_798:
	s_mov_b32 s25, 0
.LBB23_799:
	s_delay_alu instid0(SALU_CYCLE_1)
	s_and_not1_b32 vcc_lo, exec_lo, s25
	s_cbranch_vccnz .LBB23_809
; %bb.800:
	s_wait_xcnt 0x0
	v_cvt_f32_f16_e32 v4, v1
	s_mov_b32 s25, exec_lo
                                        ; implicit-def: $vgpr5
	s_delay_alu instid0(VALU_DEP_1) | instskip(NEXT) | instid1(VALU_DEP_1)
	v_and_b32_e32 v6, 0x7fffffff, v4
	v_cmpx_gt_u32_e32 0x47800000, v6
	s_xor_b32 s25, exec_lo, s25
	s_cbranch_execz .LBB23_806
; %bb.801:
	s_mov_b32 s26, exec_lo
                                        ; implicit-def: $vgpr5
	v_cmpx_lt_u32_e32 0x387fffff, v6
	s_xor_b32 s26, exec_lo, s26
; %bb.802:
	v_bfe_u32 v5, v4, 21, 1
	s_delay_alu instid0(VALU_DEP_1) | instskip(NEXT) | instid1(VALU_DEP_1)
	v_add3_u32 v5, v4, v5, 0x80fffff
	v_lshrrev_b32_e32 v5, 21, v5
; %bb.803:
	s_and_not1_saveexec_b32 s26, s26
; %bb.804:
	v_add_f32_e64 v5, 0x43000000, |v4|
; %bb.805:
	s_or_b32 exec_lo, exec_lo, s26
                                        ; implicit-def: $vgpr6
.LBB23_806:
	s_and_not1_saveexec_b32 s25, s25
; %bb.807:
	v_mov_b32_e32 v5, 0x7f
	v_cmp_lt_u32_e32 vcc_lo, 0x7f800000, v6
	s_delay_alu instid0(VALU_DEP_2)
	v_cndmask_b32_e32 v5, 0x7c, v5, vcc_lo
; %bb.808:
	s_or_b32 exec_lo, exec_lo, s25
	v_lshrrev_b32_e32 v4, 24, v4
	s_delay_alu instid0(VALU_DEP_1)
	v_and_or_b32 v4, 0x80, v4, v5
	global_store_b8 v[2:3], v4, off
.LBB23_809:
	s_mov_b32 s26, 0
	s_mov_b32 s25, -1
.LBB23_810:
	s_and_not1_b32 vcc_lo, exec_lo, s26
	s_cbranch_vccnz .LBB23_818
; %bb.811:
	s_cmp_gt_i32 s24, 14
	s_mov_b32 s26, -1
	s_cbranch_scc0 .LBB23_815
; %bb.812:
	s_cmp_eq_u32 s24, 15
	s_mov_b32 s0, -1
	s_cbranch_scc0 .LBB23_814
; %bb.813:
	s_wait_xcnt 0x0
	v_cvt_f32_f16_e32 v4, v1
	v_cmp_o_f16_e32 vcc_lo, v1, v1
	s_mov_b32 s25, -1
	s_mov_b32 s0, 0
	s_delay_alu instid0(VALU_DEP_2) | instskip(NEXT) | instid1(VALU_DEP_1)
	v_bfe_u32 v5, v4, 16, 1
	v_add3_u32 v4, v4, v5, 0x7fff
	s_delay_alu instid0(VALU_DEP_1) | instskip(NEXT) | instid1(VALU_DEP_1)
	v_lshrrev_b32_e32 v4, 16, v4
	v_cndmask_b32_e32 v4, 0x7fc0, v4, vcc_lo
	global_store_b16 v[2:3], v4, off
.LBB23_814:
	s_mov_b32 s26, 0
.LBB23_815:
	s_delay_alu instid0(SALU_CYCLE_1)
	s_and_b32 vcc_lo, exec_lo, s26
	s_cbranch_vccz .LBB23_818
; %bb.816:
	s_cmp_eq_u32 s24, 11
	s_mov_b32 s0, -1
	s_cbranch_scc0 .LBB23_818
; %bb.817:
	s_wait_xcnt 0x0
	v_and_b32_e32 v4, 0x7fff, v1
	s_mov_b32 s0, 0
	s_mov_b32 s25, -1
	s_delay_alu instid0(VALU_DEP_1)
	v_cmp_ne_u16_e32 vcc_lo, 0, v4
	v_cndmask_b32_e64 v4, 0, 1, vcc_lo
	global_store_b8 v[2:3], v4, off
.LBB23_818:
.LBB23_819:
	s_and_not1_b32 vcc_lo, exec_lo, s25
	s_cbranch_vccnz .LBB23_744
.LBB23_820:
	v_add_nc_u32_e32 v0, 0x80, v0
	s_mov_b32 s23, -1
.LBB23_821:
	s_and_not1_b32 s24, s44, exec_lo
	s_and_b32 s0, s0, exec_lo
	s_and_not1_b32 s25, s43, exec_lo
	s_and_b32 s22, s22, exec_lo
	s_or_b32 s26, s24, s0
	s_or_b32 s0, s25, s22
	s_or_not1_b32 s25, s23, exec_lo
.LBB23_822:
	s_wait_xcnt 0x0
	s_or_b32 exec_lo, exec_lo, s46
	s_mov_b32 s22, 0
	s_mov_b32 s23, 0
	;; [unrolled: 1-line block ×3, first 2 shown]
                                        ; implicit-def: $vgpr4_vgpr5
                                        ; implicit-def: $vgpr2
                                        ; implicit-def: $vgpr6
	s_and_saveexec_b32 s27, s25
	s_cbranch_execz .LBB23_924
; %bb.823:
	v_cmp_gt_i32_e32 vcc_lo, s37, v0
	s_mov_b32 s25, s0
                                        ; implicit-def: $vgpr4_vgpr5
                                        ; implicit-def: $vgpr2
                                        ; implicit-def: $vgpr6
	s_and_saveexec_b32 s37, vcc_lo
	s_cbranch_execz .LBB23_923
; %bb.824:
	s_and_not1_b32 vcc_lo, exec_lo, s31
	s_cbranch_vccnz .LBB23_830
; %bb.825:
	s_and_not1_b32 vcc_lo, exec_lo, s39
	s_cbranch_vccnz .LBB23_831
; %bb.826:
	s_add_co_i32 s38, s38, 1
	s_cmp_eq_u32 s29, 2
	s_cbranch_scc1 .LBB23_832
; %bb.827:
	v_dual_mov_b32 v2, 0 :: v_dual_mov_b32 v4, 0
	s_wait_loadcnt 0x0
	v_mov_b32_e32 v1, v0
	s_and_b32 s22, s38, 28
	s_mov_b64 s[24:25], s[2:3]
.LBB23_828:                             ; =>This Inner Loop Header: Depth=1
	s_clause 0x1
	s_load_b256 s[48:55], s[24:25], 0x4
	s_load_b128 s[64:67], s[24:25], 0x24
	s_load_b256 s[56:63], s[20:21], 0x0
	s_add_co_i32 s23, s23, 4
	s_wait_xcnt 0x0
	s_add_nc_u64 s[24:25], s[24:25], 48
	s_cmp_eq_u32 s22, s23
	s_add_nc_u64 s[20:21], s[20:21], 32
	s_wait_kmcnt 0x0
	v_mul_hi_u32 v3, s49, v1
	s_delay_alu instid0(VALU_DEP_1) | instskip(NEXT) | instid1(VALU_DEP_1)
	v_add_nc_u32_e32 v3, v1, v3
	v_lshrrev_b32_e32 v3, s50, v3
	s_delay_alu instid0(VALU_DEP_1) | instskip(NEXT) | instid1(VALU_DEP_1)
	v_mul_hi_u32 v5, s52, v3
	v_add_nc_u32_e32 v5, v3, v5
	s_delay_alu instid0(VALU_DEP_1) | instskip(NEXT) | instid1(VALU_DEP_1)
	v_lshrrev_b32_e32 v5, s53, v5
	v_mul_hi_u32 v6, s55, v5
	s_delay_alu instid0(VALU_DEP_1) | instskip(SKIP_1) | instid1(VALU_DEP_1)
	v_add_nc_u32_e32 v6, v5, v6
	v_mul_lo_u32 v7, v3, s48
	v_sub_nc_u32_e32 v1, v1, v7
	v_mul_lo_u32 v7, v5, s51
	s_delay_alu instid0(VALU_DEP_4) | instskip(NEXT) | instid1(VALU_DEP_3)
	v_lshrrev_b32_e32 v6, s64, v6
	v_mad_u32 v4, v1, s57, v4
	v_mad_u32 v1, v1, s56, v2
	s_delay_alu instid0(VALU_DEP_4) | instskip(NEXT) | instid1(VALU_DEP_4)
	v_sub_nc_u32_e32 v2, v3, v7
	v_mul_hi_u32 v8, s66, v6
	v_mul_lo_u32 v3, v6, s54
	s_delay_alu instid0(VALU_DEP_3) | instskip(SKIP_1) | instid1(VALU_DEP_3)
	v_mad_u32 v4, v2, s59, v4
	v_mad_u32 v2, v2, s58, v1
	v_dual_add_nc_u32 v7, v6, v8 :: v_dual_sub_nc_u32 v3, v5, v3
	s_delay_alu instid0(VALU_DEP_1) | instskip(NEXT) | instid1(VALU_DEP_2)
	v_lshrrev_b32_e32 v1, s67, v7
	v_mad_u32 v4, v3, s61, v4
	s_delay_alu instid0(VALU_DEP_4) | instskip(NEXT) | instid1(VALU_DEP_3)
	v_mad_u32 v2, v3, s60, v2
	v_mul_lo_u32 v5, v1, s65
	s_delay_alu instid0(VALU_DEP_1) | instskip(NEXT) | instid1(VALU_DEP_1)
	v_sub_nc_u32_e32 v3, v6, v5
	v_mad_u32 v4, v3, s63, v4
	s_delay_alu instid0(VALU_DEP_4)
	v_mad_u32 v2, v3, s62, v2
	s_cbranch_scc0 .LBB23_828
; %bb.829:
	s_delay_alu instid0(VALU_DEP_2)
	v_mov_b32_e32 v3, v4
	s_branch .LBB23_833
.LBB23_830:
	s_mov_b32 s20, -1
                                        ; implicit-def: $vgpr4
                                        ; implicit-def: $vgpr2
	s_branch .LBB23_838
.LBB23_831:
	v_dual_mov_b32 v4, 0 :: v_dual_mov_b32 v2, 0
	s_branch .LBB23_837
.LBB23_832:
	v_mov_b64_e32 v[2:3], 0
	s_wait_loadcnt 0x0
	v_mov_b32_e32 v1, v0
                                        ; implicit-def: $vgpr4
.LBB23_833:
	s_and_b32 s24, s38, 3
	s_mov_b32 s23, 0
	s_cmp_eq_u32 s24, 0
	s_cbranch_scc1 .LBB23_837
; %bb.834:
	s_lshl_b32 s20, s22, 3
	s_mov_b32 s21, s23
	s_mul_u64 s[22:23], s[22:23], 12
	s_add_nc_u64 s[20:21], s[2:3], s[20:21]
	s_add_nc_u64 s[22:23], s[2:3], s[22:23]
	;; [unrolled: 1-line block ×3, first 2 shown]
.LBB23_835:                             ; =>This Inner Loop Header: Depth=1
	s_load_b96 s[48:50], s[22:23], 0x4
	s_load_b64 s[38:39], s[20:21], 0x0
	s_add_co_i32 s24, s24, -1
	s_wait_xcnt 0x0
	s_add_nc_u64 s[22:23], s[22:23], 12
	s_cmp_lg_u32 s24, 0
	s_add_nc_u64 s[20:21], s[20:21], 8
	s_wait_kmcnt 0x0
	v_mul_hi_u32 v4, s49, v1
	s_delay_alu instid0(VALU_DEP_1) | instskip(NEXT) | instid1(VALU_DEP_1)
	v_add_nc_u32_e32 v4, v1, v4
	v_lshrrev_b32_e32 v4, s50, v4
	s_delay_alu instid0(VALU_DEP_1) | instskip(NEXT) | instid1(VALU_DEP_1)
	v_mul_lo_u32 v5, v4, s48
	v_sub_nc_u32_e32 v1, v1, v5
	s_delay_alu instid0(VALU_DEP_1)
	v_mad_u32 v3, v1, s39, v3
	v_mad_u32 v2, v1, s38, v2
	v_mov_b32_e32 v1, v4
	s_cbranch_scc1 .LBB23_835
; %bb.836:
	s_delay_alu instid0(VALU_DEP_3)
	v_mov_b32_e32 v4, v3
.LBB23_837:
	s_mov_b32 s20, 0
.LBB23_838:
	s_delay_alu instid0(SALU_CYCLE_1)
	s_and_not1_b32 vcc_lo, exec_lo, s20
	s_cbranch_vccnz .LBB23_841
; %bb.839:
	s_wait_loadcnt 0x0
	v_mov_b32_e32 v1, 0
	s_and_not1_b32 vcc_lo, exec_lo, s36
	s_delay_alu instid0(VALU_DEP_1) | instskip(NEXT) | instid1(VALU_DEP_1)
	v_mul_u64_e32 v[2:3], s[16:17], v[0:1]
	v_add_nc_u32_e32 v2, v0, v3
	s_delay_alu instid0(VALU_DEP_1) | instskip(NEXT) | instid1(VALU_DEP_1)
	v_lshrrev_b32_e32 v6, s10, v2
	v_mul_lo_u32 v2, v6, s8
	s_delay_alu instid0(VALU_DEP_1) | instskip(NEXT) | instid1(VALU_DEP_1)
	v_sub_nc_u32_e32 v0, v0, v2
	v_mul_lo_u32 v4, v0, s13
	v_mul_lo_u32 v2, v0, s12
	s_cbranch_vccnz .LBB23_841
; %bb.840:
	v_mov_b32_e32 v7, v1
	s_delay_alu instid0(VALU_DEP_1) | instskip(NEXT) | instid1(VALU_DEP_1)
	v_mul_u64_e32 v[0:1], s[18:19], v[6:7]
	v_add_nc_u32_e32 v0, v6, v1
	s_delay_alu instid0(VALU_DEP_1) | instskip(NEXT) | instid1(VALU_DEP_1)
	v_lshrrev_b32_e32 v0, s1, v0
	v_mul_lo_u32 v0, v0, s11
	s_delay_alu instid0(VALU_DEP_1) | instskip(NEXT) | instid1(VALU_DEP_1)
	v_sub_nc_u32_e32 v0, v6, v0
	v_mad_u32 v2, v0, s14, v2
	v_mad_u32 v4, v0, s15, v4
.LBB23_841:
	v_mov_b32_e32 v5, 0
	s_and_b32 s1, 0xffff, s9
	s_delay_alu instid0(SALU_CYCLE_1) | instskip(NEXT) | instid1(VALU_DEP_1)
	s_cmp_lt_i32 s1, 11
	v_add_nc_u64_e32 v[4:5], s[6:7], v[4:5]
	s_cbranch_scc1 .LBB23_848
; %bb.842:
	s_cmp_gt_i32 s1, 25
	s_mov_b32 s7, 0
	s_cbranch_scc0 .LBB23_849
; %bb.843:
	s_cmp_gt_i32 s1, 28
	s_cbranch_scc0 .LBB23_850
; %bb.844:
	s_cmp_gt_i32 s1, 43
	;; [unrolled: 3-line block ×3, first 2 shown]
	s_cbranch_scc0 .LBB23_854
; %bb.846:
	s_cmp_eq_u32 s1, 46
	s_mov_b32 s10, 0
	s_cbranch_scc0 .LBB23_857
; %bb.847:
	global_load_b32 v0, v[4:5], off
	s_mov_b32 s6, 0
	s_mov_b32 s8, -1
	s_wait_loadcnt 0x0
	v_lshlrev_b32_e32 v0, 16, v0
	s_delay_alu instid0(VALU_DEP_1)
	v_cvt_f16_f32_e32 v6, v0
	s_branch .LBB23_859
.LBB23_848:
	s_mov_b32 s1, -1
	s_mov_b32 s8, 0
	s_mov_b32 s7, 0
	;; [unrolled: 1-line block ×3, first 2 shown]
                                        ; implicit-def: $vgpr6
	s_branch .LBB23_922
.LBB23_849:
	s_mov_b32 s10, -1
	s_mov_b32 s8, 0
	s_mov_b32 s6, s0
                                        ; implicit-def: $vgpr6
	s_branch .LBB23_888
.LBB23_850:
	s_mov_b32 s10, -1
	s_mov_b32 s8, 0
	s_mov_b32 s6, s0
                                        ; implicit-def: $vgpr6
	s_branch .LBB23_869
.LBB23_851:
	s_mov_b32 s10, -1
	s_mov_b32 s8, 0
	s_mov_b32 s6, s0
                                        ; implicit-def: $vgpr6
	s_branch .LBB23_864
.LBB23_852:
	s_and_not1_saveexec_b32 s27, s27
	s_cbranch_execz .LBB23_771
.LBB23_853:
	v_add_f32_e64 v5, 0x46000000, |v4|
	s_and_not1_b32 s26, s26, exec_lo
	s_delay_alu instid0(VALU_DEP_1) | instskip(NEXT) | instid1(VALU_DEP_1)
	v_and_b32_e32 v5, 0xff, v5
	v_cmp_ne_u32_e32 vcc_lo, 0, v5
	s_and_b32 s47, vcc_lo, exec_lo
	s_delay_alu instid0(SALU_CYCLE_1)
	s_or_b32 s26, s26, s47
	s_or_b32 exec_lo, exec_lo, s27
	v_mov_b32_e32 v6, 0
	s_and_saveexec_b32 s27, s26
	s_cbranch_execnz .LBB23_772
	s_branch .LBB23_773
.LBB23_854:
	s_mov_b32 s10, -1
	s_mov_b32 s8, 0
	s_mov_b32 s6, s0
	s_branch .LBB23_858
.LBB23_855:
	s_and_not1_saveexec_b32 s27, s27
	s_cbranch_execz .LBB23_784
.LBB23_856:
	v_add_f32_e64 v5, 0x42800000, |v4|
	s_and_not1_b32 s26, s26, exec_lo
	s_delay_alu instid0(VALU_DEP_1) | instskip(NEXT) | instid1(VALU_DEP_1)
	v_and_b32_e32 v5, 0xff, v5
	v_cmp_ne_u32_e32 vcc_lo, 0, v5
	s_and_b32 s47, vcc_lo, exec_lo
	s_delay_alu instid0(SALU_CYCLE_1)
	s_or_b32 s26, s26, s47
	s_or_b32 exec_lo, exec_lo, s27
	v_mov_b32_e32 v6, 0
	s_and_saveexec_b32 s27, s26
	s_cbranch_execnz .LBB23_785
	s_branch .LBB23_786
.LBB23_857:
	s_mov_b32 s6, -1
	s_mov_b32 s8, 0
.LBB23_858:
                                        ; implicit-def: $vgpr6
.LBB23_859:
	s_and_b32 vcc_lo, exec_lo, s10
	s_cbranch_vccz .LBB23_863
; %bb.860:
	s_cmp_eq_u32 s1, 44
	s_cbranch_scc0 .LBB23_862
; %bb.861:
	global_load_u8 v0, v[4:5], off
	s_mov_b32 s6, 0
	s_mov_b32 s8, -1
	s_wait_loadcnt 0x0
	v_lshlrev_b32_e32 v1, 23, v0
	v_cmp_ne_u32_e32 vcc_lo, 0xff, v0
	s_delay_alu instid0(VALU_DEP_2) | instskip(NEXT) | instid1(VALU_DEP_1)
	v_cvt_f16_f32_e32 v1, v1
	v_cndmask_b32_e32 v1, 0x7e00, v1, vcc_lo
	v_cmp_ne_u32_e32 vcc_lo, 0, v0
	s_delay_alu instid0(VALU_DEP_2)
	v_cndmask_b32_e32 v6, 0, v1, vcc_lo
	s_branch .LBB23_863
.LBB23_862:
	s_mov_b32 s6, -1
                                        ; implicit-def: $vgpr6
.LBB23_863:
	s_mov_b32 s10, 0
.LBB23_864:
	s_delay_alu instid0(SALU_CYCLE_1)
	s_and_b32 vcc_lo, exec_lo, s10
	s_cbranch_vccz .LBB23_868
; %bb.865:
	s_cmp_eq_u32 s1, 29
	s_cbranch_scc0 .LBB23_867
; %bb.866:
	s_wait_loadcnt 0x0
	global_load_b64 v[0:1], v[4:5], off
	s_mov_b32 s6, 0
	s_mov_b32 s8, -1
	s_mov_b32 s10, 0
	s_wait_loadcnt 0x0
	v_clz_i32_u32_e32 v3, v1
	s_delay_alu instid0(VALU_DEP_1) | instskip(NEXT) | instid1(VALU_DEP_1)
	v_min_u32_e32 v3, 32, v3
	v_lshlrev_b64_e32 v[0:1], v3, v[0:1]
	s_delay_alu instid0(VALU_DEP_1) | instskip(NEXT) | instid1(VALU_DEP_1)
	v_min_u32_e32 v0, 1, v0
	v_dual_sub_nc_u32 v1, 32, v3 :: v_dual_bitop2_b32 v0, v1, v0 bitop3:0x54
	s_delay_alu instid0(VALU_DEP_1) | instskip(NEXT) | instid1(VALU_DEP_1)
	v_cvt_f32_u32_e32 v0, v0
	v_ldexp_f32 v0, v0, v1
	s_delay_alu instid0(VALU_DEP_1)
	v_cvt_f16_f32_e32 v6, v0
	s_branch .LBB23_869
.LBB23_867:
	s_mov_b32 s6, -1
                                        ; implicit-def: $vgpr6
.LBB23_868:
	s_mov_b32 s10, 0
.LBB23_869:
	s_delay_alu instid0(SALU_CYCLE_1)
	s_and_b32 vcc_lo, exec_lo, s10
	s_cbranch_vccz .LBB23_887
; %bb.870:
	s_cmp_lt_i32 s1, 27
	s_cbranch_scc1 .LBB23_873
; %bb.871:
	s_cmp_gt_i32 s1, 27
	s_cbranch_scc0 .LBB23_874
; %bb.872:
	global_load_b32 v0, v[4:5], off
	s_mov_b32 s8, 0
	s_wait_loadcnt 0x0
	v_cvt_f32_u32_e32 v0, v0
	s_delay_alu instid0(VALU_DEP_1)
	v_cvt_f16_f32_e32 v6, v0
	s_branch .LBB23_875
.LBB23_873:
	s_mov_b32 s8, -1
                                        ; implicit-def: $vgpr6
	s_branch .LBB23_878
.LBB23_874:
	s_mov_b32 s8, -1
                                        ; implicit-def: $vgpr6
.LBB23_875:
	s_delay_alu instid0(SALU_CYCLE_1)
	s_and_not1_b32 vcc_lo, exec_lo, s8
	s_cbranch_vccnz .LBB23_877
; %bb.876:
	global_load_u16 v0, v[4:5], off
	s_wait_loadcnt 0x0
	v_cvt_f16_u16_e32 v6, v0
.LBB23_877:
	s_mov_b32 s8, 0
.LBB23_878:
	s_delay_alu instid0(SALU_CYCLE_1)
	s_and_not1_b32 vcc_lo, exec_lo, s8
	s_cbranch_vccnz .LBB23_886
; %bb.879:
	global_load_u8 v0, v[4:5], off
	s_mov_b32 s8, 0
	s_mov_b32 s10, exec_lo
	s_wait_loadcnt 0x0
	v_cmpx_lt_i16_e32 0x7f, v0
	s_xor_b32 s10, exec_lo, s10
	s_cbranch_execz .LBB23_900
; %bb.880:
	s_mov_b32 s8, -1
	s_mov_b32 s11, exec_lo
	v_cmpx_eq_u16_e32 0x80, v0
; %bb.881:
	s_xor_b32 s8, exec_lo, -1
; %bb.882:
	s_or_b32 exec_lo, exec_lo, s11
	s_delay_alu instid0(SALU_CYCLE_1)
	s_and_b32 s8, s8, exec_lo
	s_or_saveexec_b32 s10, s10
	v_mov_b32_e32 v6, 0x7e00
	s_xor_b32 exec_lo, exec_lo, s10
	s_cbranch_execnz .LBB23_901
.LBB23_883:
	s_or_b32 exec_lo, exec_lo, s10
	s_and_saveexec_b32 s10, s8
	s_cbranch_execz .LBB23_885
.LBB23_884:
	v_and_b32_e32 v1, 0xffff, v0
	s_delay_alu instid0(VALU_DEP_1) | instskip(SKIP_1) | instid1(VALU_DEP_2)
	v_and_b32_e32 v3, 7, v1
	v_bfe_u32 v8, v1, 3, 4
	v_clz_i32_u32_e32 v6, v3
	s_delay_alu instid0(VALU_DEP_2) | instskip(NEXT) | instid1(VALU_DEP_2)
	v_cmp_eq_u32_e32 vcc_lo, 0, v8
	v_min_u32_e32 v6, 32, v6
	s_delay_alu instid0(VALU_DEP_1) | instskip(NEXT) | instid1(VALU_DEP_1)
	v_subrev_nc_u32_e32 v7, 28, v6
	v_dual_lshlrev_b32 v1, v7, v1 :: v_dual_sub_nc_u32 v6, 29, v6
	s_delay_alu instid0(VALU_DEP_1) | instskip(NEXT) | instid1(VALU_DEP_1)
	v_dual_lshlrev_b32 v0, 24, v0 :: v_dual_bitop2_b32 v1, 7, v1 bitop3:0x40
	v_dual_cndmask_b32 v6, v8, v6 :: v_dual_cndmask_b32 v1, v3, v1
	s_delay_alu instid0(VALU_DEP_2) | instskip(NEXT) | instid1(VALU_DEP_2)
	v_and_b32_e32 v0, 0x80000000, v0
	v_lshl_add_u32 v3, v6, 23, 0x3b800000
	s_delay_alu instid0(VALU_DEP_3) | instskip(NEXT) | instid1(VALU_DEP_1)
	v_lshlrev_b32_e32 v1, 20, v1
	v_or3_b32 v0, v0, v3, v1
	s_delay_alu instid0(VALU_DEP_1)
	v_cvt_f16_f32_e32 v6, v0
.LBB23_885:
	s_or_b32 exec_lo, exec_lo, s10
.LBB23_886:
	s_mov_b32 s8, -1
.LBB23_887:
	s_mov_b32 s10, 0
.LBB23_888:
	s_delay_alu instid0(SALU_CYCLE_1)
	s_and_b32 vcc_lo, exec_lo, s10
	s_cbranch_vccz .LBB23_921
; %bb.889:
	s_cmp_gt_i32 s1, 22
	s_cbranch_scc0 .LBB23_899
; %bb.890:
	s_cmp_lt_i32 s1, 24
	s_cbranch_scc1 .LBB23_902
; %bb.891:
	s_cmp_gt_i32 s1, 24
	s_cbranch_scc0 .LBB23_903
; %bb.892:
	global_load_u8 v0, v[4:5], off
	s_mov_b32 s8, exec_lo
	s_wait_loadcnt 0x0
	v_cmpx_lt_i16_e32 0x7f, v0
	s_xor_b32 s8, exec_lo, s8
	s_cbranch_execz .LBB23_915
; %bb.893:
	s_mov_b32 s7, -1
	s_mov_b32 s10, exec_lo
	v_cmpx_eq_u16_e32 0x80, v0
; %bb.894:
	s_xor_b32 s7, exec_lo, -1
; %bb.895:
	s_or_b32 exec_lo, exec_lo, s10
	s_delay_alu instid0(SALU_CYCLE_1)
	s_and_b32 s7, s7, exec_lo
	s_or_saveexec_b32 s8, s8
	v_mov_b32_e32 v6, 0x7e00
	s_xor_b32 exec_lo, exec_lo, s8
	s_cbranch_execnz .LBB23_916
.LBB23_896:
	s_or_b32 exec_lo, exec_lo, s8
	s_and_saveexec_b32 s8, s7
	s_cbranch_execz .LBB23_898
.LBB23_897:
	v_and_b32_e32 v1, 0xffff, v0
	s_delay_alu instid0(VALU_DEP_1) | instskip(SKIP_1) | instid1(VALU_DEP_2)
	v_and_b32_e32 v3, 3, v1
	v_bfe_u32 v8, v1, 2, 5
	v_clz_i32_u32_e32 v6, v3
	s_delay_alu instid0(VALU_DEP_2) | instskip(NEXT) | instid1(VALU_DEP_2)
	v_cmp_eq_u32_e32 vcc_lo, 0, v8
	v_min_u32_e32 v6, 32, v6
	s_delay_alu instid0(VALU_DEP_1) | instskip(NEXT) | instid1(VALU_DEP_1)
	v_subrev_nc_u32_e32 v7, 29, v6
	v_dual_lshlrev_b32 v1, v7, v1 :: v_dual_sub_nc_u32 v6, 30, v6
	s_delay_alu instid0(VALU_DEP_1) | instskip(NEXT) | instid1(VALU_DEP_1)
	v_dual_lshlrev_b32 v0, 24, v0 :: v_dual_bitop2_b32 v1, 3, v1 bitop3:0x40
	v_dual_cndmask_b32 v6, v8, v6 :: v_dual_cndmask_b32 v1, v3, v1
	s_delay_alu instid0(VALU_DEP_2) | instskip(NEXT) | instid1(VALU_DEP_2)
	v_and_b32_e32 v0, 0x80000000, v0
	v_lshl_add_u32 v3, v6, 23, 0x37800000
	s_delay_alu instid0(VALU_DEP_3) | instskip(NEXT) | instid1(VALU_DEP_1)
	v_lshlrev_b32_e32 v1, 21, v1
	v_or3_b32 v0, v0, v3, v1
	s_delay_alu instid0(VALU_DEP_1)
	v_cvt_f16_f32_e32 v6, v0
.LBB23_898:
	s_or_b32 exec_lo, exec_lo, s8
	s_mov_b32 s7, 0
	s_branch .LBB23_904
.LBB23_899:
	s_mov_b32 s7, -1
                                        ; implicit-def: $vgpr6
	s_branch .LBB23_910
.LBB23_900:
	s_or_saveexec_b32 s10, s10
	v_mov_b32_e32 v6, 0x7e00
	s_xor_b32 exec_lo, exec_lo, s10
	s_cbranch_execz .LBB23_883
.LBB23_901:
	v_cmp_ne_u16_e32 vcc_lo, 0, v0
	v_mov_b32_e32 v6, v0
	s_and_not1_b32 s8, s8, exec_lo
	s_and_b32 s11, vcc_lo, exec_lo
	s_delay_alu instid0(SALU_CYCLE_1)
	s_or_b32 s8, s8, s11
	s_or_b32 exec_lo, exec_lo, s10
	s_and_saveexec_b32 s10, s8
	s_cbranch_execnz .LBB23_884
	s_branch .LBB23_885
.LBB23_902:
	s_mov_b32 s7, -1
                                        ; implicit-def: $vgpr6
	s_branch .LBB23_907
.LBB23_903:
	s_mov_b32 s7, -1
                                        ; implicit-def: $vgpr6
.LBB23_904:
	s_delay_alu instid0(SALU_CYCLE_1)
	s_and_b32 vcc_lo, exec_lo, s7
	s_cbranch_vccz .LBB23_906
; %bb.905:
	global_load_u8 v0, v[4:5], off
	s_wait_loadcnt 0x0
	v_lshlrev_b32_e32 v0, 24, v0
	s_delay_alu instid0(VALU_DEP_1) | instskip(NEXT) | instid1(VALU_DEP_1)
	v_and_b32_e32 v1, 0x7f000000, v0
	v_clz_i32_u32_e32 v3, v1
	v_add_nc_u32_e32 v7, 0x1000000, v1
	v_cmp_ne_u32_e32 vcc_lo, 0, v1
	s_delay_alu instid0(VALU_DEP_3) | instskip(NEXT) | instid1(VALU_DEP_1)
	v_min_u32_e32 v3, 32, v3
	v_sub_nc_u32_e64 v3, v3, 4 clamp
	s_delay_alu instid0(VALU_DEP_1) | instskip(NEXT) | instid1(VALU_DEP_1)
	v_dual_lshlrev_b32 v6, v3, v1 :: v_dual_lshlrev_b32 v3, 23, v3
	v_lshrrev_b32_e32 v6, 4, v6
	s_delay_alu instid0(VALU_DEP_1) | instskip(SKIP_1) | instid1(VALU_DEP_2)
	v_sub_nc_u32_e32 v3, v6, v3
	v_ashrrev_i32_e32 v6, 8, v7
	v_add_nc_u32_e32 v3, 0x3c000000, v3
	s_delay_alu instid0(VALU_DEP_1) | instskip(NEXT) | instid1(VALU_DEP_1)
	v_and_or_b32 v3, 0x7f800000, v6, v3
	v_cndmask_b32_e32 v1, 0, v3, vcc_lo
	s_delay_alu instid0(VALU_DEP_1) | instskip(NEXT) | instid1(VALU_DEP_1)
	v_and_or_b32 v0, 0x80000000, v0, v1
	v_cvt_f16_f32_e32 v6, v0
.LBB23_906:
	s_mov_b32 s7, 0
.LBB23_907:
	s_delay_alu instid0(SALU_CYCLE_1)
	s_and_not1_b32 vcc_lo, exec_lo, s7
	s_cbranch_vccnz .LBB23_909
; %bb.908:
	global_load_u8 v0, v[4:5], off
	s_wait_loadcnt 0x0
	v_lshlrev_b32_e32 v1, 25, v0
	v_lshlrev_b16 v0, 8, v0
	s_delay_alu instid0(VALU_DEP_1) | instskip(SKIP_1) | instid1(VALU_DEP_2)
	v_and_or_b32 v6, 0x7f00, v0, 0.5
	v_bfe_i32 v0, v0, 0, 16
	v_dual_add_f32 v6, -0.5, v6 :: v_dual_lshrrev_b32 v3, 4, v1
	v_cmp_gt_u32_e32 vcc_lo, 0x8000000, v1
	s_delay_alu instid0(VALU_DEP_2) | instskip(NEXT) | instid1(VALU_DEP_1)
	v_or_b32_e32 v3, 0x70000000, v3
	v_mul_f32_e32 v3, 0x7800000, v3
	s_delay_alu instid0(VALU_DEP_1) | instskip(NEXT) | instid1(VALU_DEP_1)
	v_cndmask_b32_e32 v1, v3, v6, vcc_lo
	v_and_or_b32 v0, 0x80000000, v0, v1
	s_delay_alu instid0(VALU_DEP_1)
	v_cvt_f16_f32_e32 v6, v0
.LBB23_909:
	s_mov_b32 s7, 0
	s_mov_b32 s8, -1
.LBB23_910:
	s_and_not1_b32 vcc_lo, exec_lo, s7
	s_mov_b32 s7, 0
	s_cbranch_vccnz .LBB23_921
; %bb.911:
	s_cmp_gt_i32 s1, 14
	s_cbranch_scc0 .LBB23_914
; %bb.912:
	s_cmp_eq_u32 s1, 15
	s_cbranch_scc0 .LBB23_917
; %bb.913:
	global_load_u16 v0, v[4:5], off
	s_mov_b32 s6, 0
	s_mov_b32 s8, -1
	s_wait_loadcnt 0x0
	v_lshlrev_b32_e32 v0, 16, v0
	s_delay_alu instid0(VALU_DEP_1)
	v_cvt_f16_f32_e32 v6, v0
	s_branch .LBB23_919
.LBB23_914:
	s_mov_b32 s7, -1
	s_branch .LBB23_918
.LBB23_915:
	s_or_saveexec_b32 s8, s8
	v_mov_b32_e32 v6, 0x7e00
	s_xor_b32 exec_lo, exec_lo, s8
	s_cbranch_execz .LBB23_896
.LBB23_916:
	v_cmp_ne_u16_e32 vcc_lo, 0, v0
	v_mov_b32_e32 v6, v0
	s_and_not1_b32 s7, s7, exec_lo
	s_and_b32 s10, vcc_lo, exec_lo
	s_delay_alu instid0(SALU_CYCLE_1)
	s_or_b32 s7, s7, s10
	s_or_b32 exec_lo, exec_lo, s8
	s_and_saveexec_b32 s8, s7
	s_cbranch_execnz .LBB23_897
	s_branch .LBB23_898
.LBB23_917:
	s_mov_b32 s6, -1
.LBB23_918:
                                        ; implicit-def: $vgpr6
.LBB23_919:
	s_and_b32 vcc_lo, exec_lo, s7
	s_mov_b32 s7, 0
	s_cbranch_vccz .LBB23_921
; %bb.920:
	s_cmp_lg_u32 s1, 11
	s_mov_b32 s7, -1
	s_cselect_b32 s1, -1, 0
	s_and_not1_b32 s6, s6, exec_lo
	s_and_b32 s1, s1, exec_lo
	s_delay_alu instid0(SALU_CYCLE_1)
	s_or_b32 s6, s6, s1
.LBB23_921:
	s_mov_b32 s1, 0
.LBB23_922:
	s_delay_alu instid0(SALU_CYCLE_1)
	s_and_b32 s23, s1, exec_lo
	s_and_not1_b32 s1, s0, exec_lo
	s_and_b32 s6, s6, exec_lo
	s_and_b32 s24, s8, exec_lo
	;; [unrolled: 1-line block ×3, first 2 shown]
	s_or_b32 s25, s1, s6
.LBB23_923:
	s_wait_xcnt 0x0
	s_or_b32 exec_lo, exec_lo, s37
	s_delay_alu instid0(SALU_CYCLE_1)
	s_and_not1_b32 s0, s0, exec_lo
	s_and_b32 s1, s25, exec_lo
	s_and_b32 s24, s24, exec_lo
	;; [unrolled: 1-line block ×4, first 2 shown]
	s_or_b32 s0, s0, s1
.LBB23_924:
	s_or_b32 exec_lo, exec_lo, s27
	s_delay_alu instid0(SALU_CYCLE_1)
	s_and_not1_b32 s1, s44, exec_lo
	s_and_b32 s6, s26, exec_lo
	s_and_b32 s0, s0, exec_lo
	s_or_b32 s44, s1, s6
	s_and_not1_b32 s1, s43, exec_lo
	s_and_b32 s24, s24, exec_lo
	s_and_b32 s23, s23, exec_lo
	;; [unrolled: 1-line block ×3, first 2 shown]
	s_or_b32 s43, s1, s0
.LBB23_925:
	s_or_b32 exec_lo, exec_lo, s45
	s_delay_alu instid0(SALU_CYCLE_1)
	s_and_not1_b32 s0, s40, exec_lo
	s_and_b32 s1, s44, exec_lo
	s_and_b32 s6, s43, exec_lo
	s_or_b32 s40, s0, s1
	s_and_not1_b32 s1, s41, exec_lo
	s_and_b32 s0, s24, exec_lo
	s_and_b32 s23, s23, exec_lo
	;; [unrolled: 1-line block ×3, first 2 shown]
	s_or_b32 s41, s1, s6
	s_or_b32 exec_lo, exec_lo, s42
	s_mov_b32 s1, 0
	s_and_saveexec_b32 s6, s41
	s_cbranch_execz .LBB23_276
.LBB23_926:
	s_mov_b32 s1, exec_lo
	s_and_not1_b32 s17, s17, exec_lo
	s_trap 2
	s_or_b32 exec_lo, exec_lo, s6
	s_and_saveexec_b32 s6, s17
	s_delay_alu instid0(SALU_CYCLE_1)
	s_xor_b32 s6, exec_lo, s6
	s_cbranch_execnz .LBB23_277
.LBB23_927:
	s_or_b32 exec_lo, exec_lo, s6
	s_and_saveexec_b32 s6, s23
	s_cbranch_execz .LBB23_973
.LBB23_928:
	s_sext_i32_i16 s7, s9
	s_delay_alu instid0(SALU_CYCLE_1)
	s_cmp_lt_i32 s7, 5
	s_cbranch_scc1 .LBB23_933
; %bb.929:
	s_cmp_lt_i32 s7, 8
	s_cbranch_scc1 .LBB23_934
; %bb.930:
	;; [unrolled: 3-line block ×3, first 2 shown]
	s_cmp_gt_i32 s7, 9
	s_cbranch_scc0 .LBB23_936
; %bb.932:
	s_wait_loadcnt 0x0
	global_load_b64 v[0:1], v[4:5], off
	s_mov_b32 s7, 0
	s_wait_loadcnt 0x0
	v_and_or_b32 v0, 0x1ff, v1, v0
	v_lshrrev_b32_e32 v3, 8, v1
	v_bfe_u32 v6, v1, 20, 11
	v_lshrrev_b32_e32 v1, 16, v1
	s_delay_alu instid0(VALU_DEP_4) | instskip(NEXT) | instid1(VALU_DEP_3)
	v_cmp_ne_u32_e32 vcc_lo, 0, v0
	v_sub_nc_u32_e32 v7, 0x3f1, v6
	v_cndmask_b32_e64 v0, 0, 1, vcc_lo
	s_delay_alu instid0(VALU_DEP_1) | instskip(NEXT) | instid1(VALU_DEP_3)
	v_and_or_b32 v0, 0xffe, v3, v0
	v_med3_i32 v3, v7, 0, 13
	s_delay_alu instid0(VALU_DEP_2) | instskip(NEXT) | instid1(VALU_DEP_1)
	v_or_b32_e32 v7, 0x1000, v0
	v_lshrrev_b32_e32 v8, v3, v7
	s_delay_alu instid0(VALU_DEP_1) | instskip(NEXT) | instid1(VALU_DEP_1)
	v_lshlrev_b32_e32 v3, v3, v8
	v_cmp_ne_u32_e32 vcc_lo, v3, v7
	v_cndmask_b32_e64 v3, 0, 1, vcc_lo
	s_delay_alu instid0(VALU_DEP_1) | instskip(SKIP_1) | instid1(VALU_DEP_1)
	v_or_b32_e32 v3, v8, v3
	v_add_nc_u32_e32 v6, 0xfffffc10, v6
	v_lshl_or_b32 v7, v6, 12, v0
	v_cmp_gt_i32_e32 vcc_lo, 1, v6
	s_delay_alu instid0(VALU_DEP_2) | instskip(NEXT) | instid1(VALU_DEP_1)
	v_cndmask_b32_e32 v3, v7, v3, vcc_lo
	v_dual_lshrrev_b32 v3, 2, v3 :: v_dual_bitop2_b32 v7, 7, v3 bitop3:0x40
	s_delay_alu instid0(VALU_DEP_1) | instskip(SKIP_4) | instid1(VALU_DEP_2)
	v_cmp_lt_i32_e32 vcc_lo, 5, v7
	v_cndmask_b32_e64 v8, 0, 1, vcc_lo
	v_cmp_eq_u32_e32 vcc_lo, 3, v7
	v_cndmask_b32_e64 v7, 0, 1, vcc_lo
	v_cmp_ne_u32_e32 vcc_lo, 0, v0
	v_or_b32_e32 v7, v7, v8
	s_delay_alu instid0(VALU_DEP_1) | instskip(NEXT) | instid1(VALU_DEP_1)
	v_dual_mov_b32 v8, 0x7e00 :: v_dual_add_nc_u32 v3, v3, v7
	v_cndmask_b32_e32 v0, 0x7c00, v8, vcc_lo
	v_cmp_gt_i32_e32 vcc_lo, 31, v6
	s_delay_alu instid0(VALU_DEP_3) | instskip(SKIP_1) | instid1(VALU_DEP_2)
	v_cndmask_b32_e32 v3, 0x7c00, v3, vcc_lo
	v_cmp_eq_u32_e32 vcc_lo, 0x40f, v6
	v_cndmask_b32_e32 v0, v3, v0, vcc_lo
	s_delay_alu instid0(VALU_DEP_1)
	v_and_or_b32 v6, 0x8000, v1, v0
	s_branch .LBB23_937
.LBB23_933:
                                        ; implicit-def: $vgpr6
	s_branch .LBB23_954
.LBB23_934:
                                        ; implicit-def: $vgpr6
	s_branch .LBB23_943
.LBB23_935:
	s_mov_b32 s7, -1
                                        ; implicit-def: $vgpr6
	s_branch .LBB23_940
.LBB23_936:
	s_mov_b32 s7, -1
                                        ; implicit-def: $vgpr6
.LBB23_937:
	s_delay_alu instid0(SALU_CYCLE_1)
	s_and_not1_b32 vcc_lo, exec_lo, s7
	s_cbranch_vccnz .LBB23_939
; %bb.938:
	global_load_b32 v0, v[4:5], off
	s_wait_loadcnt 0x0
	v_cvt_f16_f32_e32 v6, v0
.LBB23_939:
	s_mov_b32 s7, 0
.LBB23_940:
	s_delay_alu instid0(SALU_CYCLE_1)
	s_and_not1_b32 vcc_lo, exec_lo, s7
	s_cbranch_vccnz .LBB23_942
; %bb.941:
	global_load_b32 v6, v[4:5], off
.LBB23_942:
	s_cbranch_execnz .LBB23_953
.LBB23_943:
	s_sext_i32_i16 s7, s9
	s_delay_alu instid0(SALU_CYCLE_1)
	s_cmp_lt_i32 s7, 6
	s_cbranch_scc1 .LBB23_946
; %bb.944:
	s_cmp_gt_i32 s7, 6
	s_cbranch_scc0 .LBB23_947
; %bb.945:
	s_wait_loadcnt 0x0
	global_load_b64 v[0:1], v[4:5], off
	s_mov_b32 s7, 0
	s_wait_loadcnt 0x0
	v_and_or_b32 v0, 0x1ff, v1, v0
	v_lshrrev_b32_e32 v3, 8, v1
	v_bfe_u32 v6, v1, 20, 11
	v_lshrrev_b32_e32 v1, 16, v1
	s_delay_alu instid0(VALU_DEP_4) | instskip(NEXT) | instid1(VALU_DEP_3)
	v_cmp_ne_u32_e32 vcc_lo, 0, v0
	v_sub_nc_u32_e32 v7, 0x3f1, v6
	v_cndmask_b32_e64 v0, 0, 1, vcc_lo
	s_delay_alu instid0(VALU_DEP_1) | instskip(NEXT) | instid1(VALU_DEP_3)
	v_and_or_b32 v0, 0xffe, v3, v0
	v_med3_i32 v3, v7, 0, 13
	s_delay_alu instid0(VALU_DEP_2) | instskip(NEXT) | instid1(VALU_DEP_1)
	v_or_b32_e32 v7, 0x1000, v0
	v_lshrrev_b32_e32 v8, v3, v7
	s_delay_alu instid0(VALU_DEP_1) | instskip(NEXT) | instid1(VALU_DEP_1)
	v_lshlrev_b32_e32 v3, v3, v8
	v_cmp_ne_u32_e32 vcc_lo, v3, v7
	v_cndmask_b32_e64 v3, 0, 1, vcc_lo
	s_delay_alu instid0(VALU_DEP_1) | instskip(SKIP_1) | instid1(VALU_DEP_1)
	v_or_b32_e32 v3, v8, v3
	v_add_nc_u32_e32 v6, 0xfffffc10, v6
	v_lshl_or_b32 v7, v6, 12, v0
	v_cmp_gt_i32_e32 vcc_lo, 1, v6
	s_delay_alu instid0(VALU_DEP_2) | instskip(NEXT) | instid1(VALU_DEP_1)
	v_cndmask_b32_e32 v3, v7, v3, vcc_lo
	v_dual_lshrrev_b32 v3, 2, v3 :: v_dual_bitop2_b32 v7, 7, v3 bitop3:0x40
	s_delay_alu instid0(VALU_DEP_1) | instskip(SKIP_4) | instid1(VALU_DEP_2)
	v_cmp_lt_i32_e32 vcc_lo, 5, v7
	v_cndmask_b32_e64 v8, 0, 1, vcc_lo
	v_cmp_eq_u32_e32 vcc_lo, 3, v7
	v_cndmask_b32_e64 v7, 0, 1, vcc_lo
	v_cmp_ne_u32_e32 vcc_lo, 0, v0
	v_or_b32_e32 v7, v7, v8
	s_delay_alu instid0(VALU_DEP_1) | instskip(NEXT) | instid1(VALU_DEP_1)
	v_dual_mov_b32 v8, 0x7e00 :: v_dual_add_nc_u32 v3, v3, v7
	v_cndmask_b32_e32 v0, 0x7c00, v8, vcc_lo
	v_cmp_gt_i32_e32 vcc_lo, 31, v6
	s_delay_alu instid0(VALU_DEP_3) | instskip(SKIP_1) | instid1(VALU_DEP_2)
	v_cndmask_b32_e32 v3, 0x7c00, v3, vcc_lo
	v_cmp_eq_u32_e32 vcc_lo, 0x40f, v6
	v_cndmask_b32_e32 v0, v3, v0, vcc_lo
	s_delay_alu instid0(VALU_DEP_1)
	v_and_or_b32 v6, 0x8000, v1, v0
	s_branch .LBB23_948
.LBB23_946:
	s_mov_b32 s7, -1
                                        ; implicit-def: $vgpr6
	s_branch .LBB23_951
.LBB23_947:
	s_mov_b32 s7, -1
                                        ; implicit-def: $vgpr6
.LBB23_948:
	s_delay_alu instid0(SALU_CYCLE_1)
	s_and_not1_b32 vcc_lo, exec_lo, s7
	s_cbranch_vccnz .LBB23_950
; %bb.949:
	global_load_b32 v0, v[4:5], off
	s_wait_loadcnt 0x0
	v_cvt_f16_f32_e32 v6, v0
.LBB23_950:
	s_mov_b32 s7, 0
.LBB23_951:
	s_delay_alu instid0(SALU_CYCLE_1)
	s_and_not1_b32 vcc_lo, exec_lo, s7
	s_cbranch_vccnz .LBB23_953
; %bb.952:
	s_wait_loadcnt 0x0
	global_load_u16 v6, v[4:5], off
.LBB23_953:
	s_cbranch_execnz .LBB23_972
.LBB23_954:
	s_sext_i32_i16 s7, s9
	s_delay_alu instid0(SALU_CYCLE_1)
	s_cmp_lt_i32 s7, 2
	s_cbranch_scc1 .LBB23_958
; %bb.955:
	s_cmp_lt_i32 s7, 3
	s_cbranch_scc1 .LBB23_959
; %bb.956:
	s_cmp_gt_i32 s7, 3
	s_cbranch_scc0 .LBB23_960
; %bb.957:
	s_wait_loadcnt 0x0
	global_load_b64 v[0:1], v[4:5], off
	s_mov_b32 s7, 0
	s_wait_loadcnt 0x0
	v_xor_b32_e32 v3, v0, v1
	v_cls_i32_e32 v6, v1
	s_delay_alu instid0(VALU_DEP_2) | instskip(NEXT) | instid1(VALU_DEP_1)
	v_ashrrev_i32_e32 v3, 31, v3
	v_add_nc_u32_e32 v3, 32, v3
	s_delay_alu instid0(VALU_DEP_1) | instskip(NEXT) | instid1(VALU_DEP_1)
	v_add_min_u32_e64 v3, v6, -1, v3
	v_lshlrev_b64_e32 v[0:1], v3, v[0:1]
	s_delay_alu instid0(VALU_DEP_1) | instskip(NEXT) | instid1(VALU_DEP_1)
	v_min_u32_e32 v0, 1, v0
	v_dual_sub_nc_u32 v1, 32, v3 :: v_dual_bitop2_b32 v0, v1, v0 bitop3:0x54
	s_delay_alu instid0(VALU_DEP_1) | instskip(NEXT) | instid1(VALU_DEP_1)
	v_cvt_f32_i32_e32 v0, v0
	v_ldexp_f32 v0, v0, v1
	s_delay_alu instid0(VALU_DEP_1)
	v_cvt_f16_f32_e32 v6, v0
	s_branch .LBB23_961
.LBB23_958:
                                        ; implicit-def: $vgpr6
	s_branch .LBB23_967
.LBB23_959:
	s_mov_b32 s7, -1
                                        ; implicit-def: $vgpr6
	s_branch .LBB23_964
.LBB23_960:
	s_mov_b32 s7, -1
                                        ; implicit-def: $vgpr6
.LBB23_961:
	s_delay_alu instid0(SALU_CYCLE_1)
	s_and_not1_b32 vcc_lo, exec_lo, s7
	s_cbranch_vccnz .LBB23_963
; %bb.962:
	global_load_b32 v0, v[4:5], off
	s_wait_loadcnt 0x0
	v_cvt_f32_i32_e32 v0, v0
	s_delay_alu instid0(VALU_DEP_1)
	v_cvt_f16_f32_e32 v6, v0
.LBB23_963:
	s_mov_b32 s7, 0
.LBB23_964:
	s_delay_alu instid0(SALU_CYCLE_1)
	s_and_not1_b32 vcc_lo, exec_lo, s7
	s_cbranch_vccnz .LBB23_966
; %bb.965:
	global_load_u16 v0, v[4:5], off
	s_wait_loadcnt 0x0
	v_cvt_f16_i16_e32 v6, v0
.LBB23_966:
	s_cbranch_execnz .LBB23_972
.LBB23_967:
	s_sext_i32_i16 s7, s9
	s_delay_alu instid0(SALU_CYCLE_1)
	s_cmp_gt_i32 s7, 0
	s_mov_b32 s7, 0
	s_cbranch_scc0 .LBB23_969
; %bb.968:
	global_load_i8 v0, v[4:5], off
	s_wait_loadcnt 0x0
	v_cvt_f16_i16_e32 v6, v0
	s_branch .LBB23_970
.LBB23_969:
	s_mov_b32 s7, -1
                                        ; implicit-def: $vgpr6
.LBB23_970:
	s_delay_alu instid0(SALU_CYCLE_1)
	s_and_not1_b32 vcc_lo, exec_lo, s7
	s_cbranch_vccnz .LBB23_972
; %bb.971:
	global_load_u8 v0, v[4:5], off
	s_wait_loadcnt 0x0
	v_cvt_f16_u16_e32 v6, v0
.LBB23_972:
	s_or_b32 s0, s0, exec_lo
.LBB23_973:
	s_wait_xcnt 0x0
	s_or_b32 exec_lo, exec_lo, s6
	s_mov_b32 s9, 0
	s_mov_b32 s8, 0
                                        ; implicit-def: $sgpr6
                                        ; implicit-def: $vgpr0_vgpr1
                                        ; implicit-def: $vgpr3
	s_and_saveexec_b32 s7, s0
	s_cbranch_execz .LBB23_1048
; %bb.974:
	s_wait_loadcnt 0x0
	v_cmp_nge_f16_e64 s0, v6, -s34
	v_mov_b32_e32 v3, 0
	v_cmp_nge_f16_e32 vcc_lo, s34, v6
	s_and_b32 s6, s35, 0xff
	s_delay_alu instid0(VALU_DEP_2)
	v_add_nc_u64_e32 v[0:1], s[4:5], v[2:3]
	s_or_b32 vcc_lo, s0, vcc_lo
	s_mov_b32 s5, -1
	v_cndmask_b32_e32 v3, 0, v6, vcc_lo
	s_cmp_lt_i32 s6, 11
	s_mov_b32 s0, s40
	s_cbranch_scc1 .LBB23_1052
; %bb.975:
	s_and_b32 s4, 0xffff, s6
	s_mov_b32 s0, s40
	s_cmp_gt_i32 s4, 25
	s_cbranch_scc0 .LBB23_1008
; %bb.976:
	s_cmp_gt_i32 s4, 28
	s_mov_b32 s0, s40
	s_cbranch_scc0 .LBB23_992
; %bb.977:
	s_cmp_gt_i32 s4, 43
	s_mov_b32 s0, s40
	;; [unrolled: 4-line block ×3, first 2 shown]
	s_cbranch_scc0 .LBB23_982
; %bb.979:
	s_cmp_eq_u32 s4, 46
	s_mov_b32 s0, -1
	s_cbranch_scc0 .LBB23_981
; %bb.980:
	v_cvt_f32_f16_e32 v2, v3
	v_cmp_o_f16_e32 vcc_lo, v3, v3
	s_mov_b32 s0, 0
	s_delay_alu instid0(VALU_DEP_2) | instskip(NEXT) | instid1(VALU_DEP_1)
	v_bfe_u32 v4, v2, 16, 1
	v_add3_u32 v2, v2, v4, 0x7fff
	s_delay_alu instid0(VALU_DEP_1) | instskip(NEXT) | instid1(VALU_DEP_1)
	v_lshrrev_b32_e32 v2, 16, v2
	v_cndmask_b32_e32 v2, 0x7fc0, v2, vcc_lo
	global_store_b32 v[0:1], v2, off
.LBB23_981:
	s_mov_b32 s5, 0
.LBB23_982:
	s_delay_alu instid0(SALU_CYCLE_1)
	s_and_b32 vcc_lo, exec_lo, s5
	s_cbranch_vccz .LBB23_987
; %bb.983:
	s_cmp_eq_u32 s4, 44
	s_mov_b32 s0, -1
	s_cbranch_scc0 .LBB23_987
; %bb.984:
	s_wait_xcnt 0x0
	v_cvt_f32_f16_e32 v2, v3
	v_mov_b32_e32 v4, 0xff
	s_mov_b32 s5, exec_lo
	s_delay_alu instid0(VALU_DEP_2) | instskip(NEXT) | instid1(VALU_DEP_1)
	v_bfe_u32 v5, v2, 23, 8
	v_cmpx_ne_u32_e32 0xff, v5
	s_cbranch_execz .LBB23_986
; %bb.985:
	v_and_b32_e32 v4, 0x400000, v2
	v_and_or_b32 v5, 0x3fffff, v2, v5
	v_lshrrev_b32_e32 v2, 23, v2
	s_delay_alu instid0(VALU_DEP_3) | instskip(NEXT) | instid1(VALU_DEP_3)
	v_cmp_ne_u32_e32 vcc_lo, 0, v4
	v_cmp_ne_u32_e64 s0, 0, v5
	s_and_b32 s0, vcc_lo, s0
	s_delay_alu instid0(SALU_CYCLE_1) | instskip(NEXT) | instid1(VALU_DEP_1)
	v_cndmask_b32_e64 v4, 0, 1, s0
	v_add_nc_u32_e32 v4, v2, v4
.LBB23_986:
	s_or_b32 exec_lo, exec_lo, s5
	s_mov_b32 s0, 0
	global_store_b8 v[0:1], v4, off
.LBB23_987:
	s_mov_b32 s5, 0
.LBB23_988:
	s_delay_alu instid0(SALU_CYCLE_1)
	s_and_b32 vcc_lo, exec_lo, s5
	s_cbranch_vccz .LBB23_991
; %bb.989:
	s_cmp_eq_u32 s4, 29
	s_mov_b32 s0, -1
	s_cbranch_scc0 .LBB23_991
; %bb.990:
	s_wait_xcnt 0x0
	v_cvt_f32_f16_e32 v2, v3
	v_mov_b32_e32 v5, 0
	s_mov_b32 s0, 0
	s_delay_alu instid0(VALU_DEP_2)
	v_cvt_u32_f32_e32 v4, v2
	global_store_b64 v[0:1], v[4:5], off
.LBB23_991:
	s_mov_b32 s5, 0
.LBB23_992:
	s_delay_alu instid0(SALU_CYCLE_1)
	s_and_b32 vcc_lo, exec_lo, s5
	s_cbranch_vccz .LBB23_1007
; %bb.993:
	s_cmp_lt_i32 s4, 27
	s_mov_b32 s5, -1
	s_cbranch_scc1 .LBB23_999
; %bb.994:
	s_cmp_gt_i32 s4, 27
	s_cbranch_scc0 .LBB23_996
; %bb.995:
	s_wait_xcnt 0x0
	v_cvt_f32_f16_e32 v2, v3
	s_mov_b32 s5, 0
	s_delay_alu instid0(VALU_DEP_1)
	v_cvt_u32_f32_e32 v2, v2
	global_store_b32 v[0:1], v2, off
.LBB23_996:
	s_and_not1_b32 vcc_lo, exec_lo, s5
	s_cbranch_vccnz .LBB23_998
; %bb.997:
	s_wait_xcnt 0x0
	v_cvt_u16_f16_e32 v2, v3
	global_store_b16 v[0:1], v2, off
.LBB23_998:
	s_mov_b32 s5, 0
.LBB23_999:
	s_delay_alu instid0(SALU_CYCLE_1)
	s_and_not1_b32 vcc_lo, exec_lo, s5
	s_cbranch_vccnz .LBB23_1007
; %bb.1000:
	s_wait_xcnt 0x0
	v_cvt_f32_f16_e32 v2, v3
	v_mov_b32_e32 v5, 0x80
	s_mov_b32 s5, exec_lo
	s_delay_alu instid0(VALU_DEP_2) | instskip(NEXT) | instid1(VALU_DEP_1)
	v_and_b32_e32 v4, 0x7fffffff, v2
	v_cmpx_gt_u32_e32 0x43800000, v4
	s_cbranch_execz .LBB23_1006
; %bb.1001:
	v_cmp_lt_u32_e32 vcc_lo, 0x3bffffff, v4
                                        ; implicit-def: $vgpr4
	s_and_saveexec_b32 s9, vcc_lo
	s_delay_alu instid0(SALU_CYCLE_1)
	s_xor_b32 s9, exec_lo, s9
	s_cbranch_execz .LBB23_1167
; %bb.1002:
	v_bfe_u32 v4, v2, 20, 1
	s_mov_b32 s8, exec_lo
	s_delay_alu instid0(VALU_DEP_1) | instskip(NEXT) | instid1(VALU_DEP_1)
	v_add3_u32 v4, v2, v4, 0x487ffff
	v_lshrrev_b32_e32 v4, 20, v4
	s_and_not1_saveexec_b32 s9, s9
	s_cbranch_execnz .LBB23_1168
.LBB23_1003:
	s_or_b32 exec_lo, exec_lo, s9
	v_mov_b32_e32 v5, 0
	s_and_saveexec_b32 s9, s8
.LBB23_1004:
	v_lshrrev_b32_e32 v2, 24, v2
	s_delay_alu instid0(VALU_DEP_1)
	v_and_or_b32 v5, 0x80, v2, v4
.LBB23_1005:
	s_or_b32 exec_lo, exec_lo, s9
.LBB23_1006:
	s_delay_alu instid0(SALU_CYCLE_1)
	s_or_b32 exec_lo, exec_lo, s5
	global_store_b8 v[0:1], v5, off
.LBB23_1007:
	s_mov_b32 s5, 0
.LBB23_1008:
	s_delay_alu instid0(SALU_CYCLE_1)
	s_and_b32 vcc_lo, exec_lo, s5
	s_mov_b32 s5, 0
	s_cbranch_vccz .LBB23_1051
; %bb.1009:
	s_cmp_gt_i32 s4, 22
	s_mov_b32 s8, -1
	s_cbranch_scc0 .LBB23_1041
; %bb.1010:
	s_cmp_lt_i32 s4, 24
	s_cbranch_scc1 .LBB23_1030
; %bb.1011:
	s_cmp_gt_i32 s4, 24
	s_cbranch_scc0 .LBB23_1019
; %bb.1012:
	s_wait_xcnt 0x0
	v_cvt_f32_f16_e32 v2, v3
	v_mov_b32_e32 v5, 0x80
	s_mov_b32 s8, exec_lo
	s_delay_alu instid0(VALU_DEP_2) | instskip(NEXT) | instid1(VALU_DEP_1)
	v_and_b32_e32 v4, 0x7fffffff, v2
	v_cmpx_gt_u32_e32 0x47800000, v4
	s_cbranch_execz .LBB23_1018
; %bb.1013:
	v_cmp_lt_u32_e32 vcc_lo, 0x37ffffff, v4
	s_mov_b32 s9, 0
                                        ; implicit-def: $vgpr4
	s_and_saveexec_b32 s10, vcc_lo
	s_delay_alu instid0(SALU_CYCLE_1)
	s_xor_b32 s10, exec_lo, s10
	s_cbranch_execz .LBB23_1293
; %bb.1014:
	v_bfe_u32 v4, v2, 21, 1
	s_mov_b32 s9, exec_lo
	s_delay_alu instid0(VALU_DEP_1) | instskip(NEXT) | instid1(VALU_DEP_1)
	v_add3_u32 v4, v2, v4, 0x88fffff
	v_lshrrev_b32_e32 v4, 21, v4
	s_and_not1_saveexec_b32 s10, s10
	s_cbranch_execnz .LBB23_1294
.LBB23_1015:
	s_or_b32 exec_lo, exec_lo, s10
	v_mov_b32_e32 v5, 0
	s_and_saveexec_b32 s10, s9
.LBB23_1016:
	v_lshrrev_b32_e32 v2, 24, v2
	s_delay_alu instid0(VALU_DEP_1)
	v_and_or_b32 v5, 0x80, v2, v4
.LBB23_1017:
	s_or_b32 exec_lo, exec_lo, s10
.LBB23_1018:
	s_delay_alu instid0(SALU_CYCLE_1)
	s_or_b32 exec_lo, exec_lo, s8
	s_mov_b32 s8, 0
	global_store_b8 v[0:1], v5, off
.LBB23_1019:
	s_and_b32 vcc_lo, exec_lo, s8
	s_cbranch_vccz .LBB23_1029
; %bb.1020:
	s_wait_xcnt 0x0
	v_cvt_f32_f16_e32 v2, v3
	s_mov_b32 s8, exec_lo
                                        ; implicit-def: $vgpr4
	s_delay_alu instid0(VALU_DEP_1) | instskip(NEXT) | instid1(VALU_DEP_1)
	v_and_b32_e32 v5, 0x7fffffff, v2
	v_cmpx_gt_u32_e32 0x43f00000, v5
	s_xor_b32 s8, exec_lo, s8
	s_cbranch_execz .LBB23_1026
; %bb.1021:
	s_mov_b32 s9, exec_lo
                                        ; implicit-def: $vgpr4
	v_cmpx_lt_u32_e32 0x3c7fffff, v5
	s_xor_b32 s9, exec_lo, s9
; %bb.1022:
	v_bfe_u32 v4, v2, 20, 1
	s_delay_alu instid0(VALU_DEP_1) | instskip(NEXT) | instid1(VALU_DEP_1)
	v_add3_u32 v4, v2, v4, 0x407ffff
	v_and_b32_e32 v5, 0xff00000, v4
	v_lshrrev_b32_e32 v4, 20, v4
	s_delay_alu instid0(VALU_DEP_2) | instskip(NEXT) | instid1(VALU_DEP_2)
	v_cmp_ne_u32_e32 vcc_lo, 0x7f00000, v5
	v_cndmask_b32_e32 v4, 0x7e, v4, vcc_lo
; %bb.1023:
	s_and_not1_saveexec_b32 s9, s9
; %bb.1024:
	v_add_f32_e64 v4, 0x46800000, |v2|
; %bb.1025:
	s_or_b32 exec_lo, exec_lo, s9
                                        ; implicit-def: $vgpr5
.LBB23_1026:
	s_and_not1_saveexec_b32 s8, s8
; %bb.1027:
	v_mov_b32_e32 v4, 0x7f
	v_cmp_lt_u32_e32 vcc_lo, 0x7f800000, v5
	s_delay_alu instid0(VALU_DEP_2)
	v_cndmask_b32_e32 v4, 0x7e, v4, vcc_lo
; %bb.1028:
	s_or_b32 exec_lo, exec_lo, s8
	v_lshrrev_b32_e32 v2, 24, v2
	s_delay_alu instid0(VALU_DEP_1)
	v_and_or_b32 v2, 0x80, v2, v4
	global_store_b8 v[0:1], v2, off
.LBB23_1029:
	s_mov_b32 s8, 0
.LBB23_1030:
	s_delay_alu instid0(SALU_CYCLE_1)
	s_and_not1_b32 vcc_lo, exec_lo, s8
	s_cbranch_vccnz .LBB23_1040
; %bb.1031:
	s_wait_xcnt 0x0
	v_cvt_f32_f16_e32 v2, v3
	s_mov_b32 s8, exec_lo
                                        ; implicit-def: $vgpr4
	s_delay_alu instid0(VALU_DEP_1) | instskip(NEXT) | instid1(VALU_DEP_1)
	v_and_b32_e32 v5, 0x7fffffff, v2
	v_cmpx_gt_u32_e32 0x47800000, v5
	s_xor_b32 s8, exec_lo, s8
	s_cbranch_execz .LBB23_1037
; %bb.1032:
	s_mov_b32 s9, exec_lo
                                        ; implicit-def: $vgpr4
	v_cmpx_lt_u32_e32 0x387fffff, v5
	s_xor_b32 s9, exec_lo, s9
; %bb.1033:
	v_bfe_u32 v4, v2, 21, 1
	s_delay_alu instid0(VALU_DEP_1) | instskip(NEXT) | instid1(VALU_DEP_1)
	v_add3_u32 v4, v2, v4, 0x80fffff
	v_lshrrev_b32_e32 v4, 21, v4
; %bb.1034:
	s_and_not1_saveexec_b32 s9, s9
; %bb.1035:
	v_add_f32_e64 v4, 0x43000000, |v2|
; %bb.1036:
	s_or_b32 exec_lo, exec_lo, s9
                                        ; implicit-def: $vgpr5
.LBB23_1037:
	s_and_not1_saveexec_b32 s8, s8
; %bb.1038:
	v_mov_b32_e32 v4, 0x7f
	v_cmp_lt_u32_e32 vcc_lo, 0x7f800000, v5
	s_delay_alu instid0(VALU_DEP_2)
	v_cndmask_b32_e32 v4, 0x7c, v4, vcc_lo
; %bb.1039:
	s_or_b32 exec_lo, exec_lo, s8
	v_lshrrev_b32_e32 v2, 24, v2
	s_delay_alu instid0(VALU_DEP_1)
	v_and_or_b32 v2, 0x80, v2, v4
	global_store_b8 v[0:1], v2, off
.LBB23_1040:
	s_mov_b32 s8, 0
.LBB23_1041:
	s_delay_alu instid0(SALU_CYCLE_1)
	s_and_not1_b32 vcc_lo, exec_lo, s8
	s_mov_b32 s9, 0
	s_cbranch_vccnz .LBB23_1052
; %bb.1042:
	s_cmp_gt_i32 s4, 14
	s_mov_b32 s8, -1
	s_cbranch_scc0 .LBB23_1046
; %bb.1043:
	s_cmp_eq_u32 s4, 15
	s_mov_b32 s0, -1
	s_cbranch_scc0 .LBB23_1045
; %bb.1044:
	s_wait_xcnt 0x0
	v_cvt_f32_f16_e32 v2, v3
	v_cmp_o_f16_e32 vcc_lo, v3, v3
	s_mov_b32 s0, 0
	s_delay_alu instid0(VALU_DEP_2) | instskip(NEXT) | instid1(VALU_DEP_1)
	v_bfe_u32 v4, v2, 16, 1
	v_add3_u32 v2, v2, v4, 0x7fff
	s_delay_alu instid0(VALU_DEP_1) | instskip(NEXT) | instid1(VALU_DEP_1)
	v_lshrrev_b32_e32 v2, 16, v2
	v_cndmask_b32_e32 v2, 0x7fc0, v2, vcc_lo
	global_store_b16 v[0:1], v2, off
.LBB23_1045:
	s_mov_b32 s8, 0
.LBB23_1046:
	s_delay_alu instid0(SALU_CYCLE_1)
	s_and_b32 vcc_lo, exec_lo, s8
	s_cbranch_vccz .LBB23_1052
; %bb.1047:
	s_cmp_lg_u32 s4, 11
	s_mov_b32 s9, -1
	s_cselect_b32 s4, -1, 0
	s_and_not1_b32 s0, s0, exec_lo
	s_and_b32 s4, s4, exec_lo
	s_delay_alu instid0(SALU_CYCLE_1)
	s_or_b32 s0, s0, s4
	s_branch .LBB23_1052
.LBB23_1048:
	s_or_b32 exec_lo, exec_lo, s7
	s_and_saveexec_b32 s0, s40
	s_cbranch_execnz .LBB23_1053
.LBB23_1049:
	s_or_b32 exec_lo, exec_lo, s0
	s_and_saveexec_b32 s0, s9
	s_delay_alu instid0(SALU_CYCLE_1)
	s_xor_b32 s0, exec_lo, s0
	s_cbranch_execz .LBB23_1054
.LBB23_1050:
	v_and_b32_e32 v2, 0x7fff, v3
	s_delay_alu instid0(VALU_DEP_1)
	v_cmp_ne_u16_e32 vcc_lo, 0, v2
	v_cndmask_b32_e64 v2, 0, 1, vcc_lo
	s_wait_loadcnt 0x0
	global_store_b8 v[0:1], v2, off
	s_wait_xcnt 0x0
	s_or_b32 exec_lo, exec_lo, s0
	s_and_saveexec_b32 s0, s8
	s_delay_alu instid0(SALU_CYCLE_1)
	s_xor_b32 s0, exec_lo, s0
	s_cbranch_execz .LBB23_1092
	s_branch .LBB23_1055
.LBB23_1051:
	s_mov_b32 s9, 0
.LBB23_1052:
	s_and_not1_b32 s4, s40, exec_lo
	s_and_b32 s0, s0, exec_lo
	s_and_b32 s8, s5, exec_lo
	;; [unrolled: 1-line block ×3, first 2 shown]
	s_or_b32 s40, s4, s0
	s_wait_xcnt 0x0
	s_or_b32 exec_lo, exec_lo, s7
	s_and_saveexec_b32 s0, s40
	s_cbranch_execz .LBB23_1049
.LBB23_1053:
	s_or_b32 s1, s1, exec_lo
	s_and_not1_b32 s9, s9, exec_lo
	s_trap 2
	s_or_b32 exec_lo, exec_lo, s0
	s_and_saveexec_b32 s0, s9
	s_delay_alu instid0(SALU_CYCLE_1)
	s_xor_b32 s0, exec_lo, s0
	s_cbranch_execnz .LBB23_1050
.LBB23_1054:
	s_or_b32 exec_lo, exec_lo, s0
	s_and_saveexec_b32 s0, s8
	s_delay_alu instid0(SALU_CYCLE_1)
	s_xor_b32 s0, exec_lo, s0
	s_cbranch_execz .LBB23_1092
.LBB23_1055:
	s_sext_i32_i16 s5, s6
	s_mov_b32 s4, -1
	s_cmp_lt_i32 s5, 5
	s_cbranch_scc1 .LBB23_1076
; %bb.1056:
	s_cmp_lt_i32 s5, 8
	s_cbranch_scc1 .LBB23_1066
; %bb.1057:
	;; [unrolled: 3-line block ×3, first 2 shown]
	s_cmp_gt_i32 s5, 9
	s_cbranch_scc0 .LBB23_1060
; %bb.1059:
	v_cvt_f32_f16_e32 v2, v3
	s_wait_loadcnt 0x0
	v_mov_b32_e32 v6, 0
	s_mov_b32 s4, 0
	s_delay_alu instid0(VALU_DEP_2) | instskip(NEXT) | instid1(VALU_DEP_2)
	v_cvt_f64_f32_e32 v[4:5], v2
	v_mov_b32_e32 v7, v6
	global_store_b128 v[0:1], v[4:7], off
.LBB23_1060:
	s_and_not1_b32 vcc_lo, exec_lo, s4
	s_cbranch_vccnz .LBB23_1062
; %bb.1061:
	s_wait_xcnt 0x0
	v_cvt_f32_f16_e32 v4, v3
	v_mov_b32_e32 v5, 0
	s_wait_loadcnt 0x0
	global_store_b64 v[0:1], v[4:5], off
.LBB23_1062:
	s_mov_b32 s4, 0
.LBB23_1063:
	s_delay_alu instid0(SALU_CYCLE_1)
	s_and_not1_b32 vcc_lo, exec_lo, s4
	s_cbranch_vccnz .LBB23_1065
; %bb.1064:
	v_and_b32_e32 v2, 0xffff, v3
	s_wait_loadcnt 0x0
	global_store_b32 v[0:1], v2, off
.LBB23_1065:
	s_mov_b32 s4, 0
.LBB23_1066:
	s_delay_alu instid0(SALU_CYCLE_1)
	s_and_not1_b32 vcc_lo, exec_lo, s4
	s_cbranch_vccnz .LBB23_1075
; %bb.1067:
	s_sext_i32_i16 s5, s6
	s_mov_b32 s4, -1
	s_cmp_lt_i32 s5, 6
	s_cbranch_scc1 .LBB23_1073
; %bb.1068:
	s_cmp_gt_i32 s5, 6
	s_cbranch_scc0 .LBB23_1070
; %bb.1069:
	s_wait_xcnt 0x0
	v_cvt_f32_f16_e32 v2, v3
	s_mov_b32 s4, 0
	s_delay_alu instid0(VALU_DEP_1)
	v_cvt_f64_f32_e32 v[4:5], v2
	s_wait_loadcnt 0x0
	global_store_b64 v[0:1], v[4:5], off
.LBB23_1070:
	s_and_not1_b32 vcc_lo, exec_lo, s4
	s_cbranch_vccnz .LBB23_1072
; %bb.1071:
	s_wait_xcnt 0x0
	v_cvt_f32_f16_e32 v2, v3
	s_wait_loadcnt 0x0
	global_store_b32 v[0:1], v2, off
.LBB23_1072:
	s_mov_b32 s4, 0
.LBB23_1073:
	s_delay_alu instid0(SALU_CYCLE_1)
	s_and_not1_b32 vcc_lo, exec_lo, s4
	s_cbranch_vccnz .LBB23_1075
; %bb.1074:
	s_wait_loadcnt 0x0
	global_store_b16 v[0:1], v3, off
.LBB23_1075:
	s_mov_b32 s4, 0
.LBB23_1076:
	s_delay_alu instid0(SALU_CYCLE_1)
	s_and_not1_b32 vcc_lo, exec_lo, s4
	s_cbranch_vccnz .LBB23_1092
; %bb.1077:
	s_sext_i32_i16 s5, s6
	s_mov_b32 s4, -1
	s_cmp_lt_i32 s5, 2
	s_cbranch_scc1 .LBB23_1087
; %bb.1078:
	s_cmp_lt_i32 s5, 3
	s_cbranch_scc1 .LBB23_1084
; %bb.1079:
	s_cmp_gt_i32 s5, 3
	s_cbranch_scc0 .LBB23_1081
; %bb.1080:
	s_wait_xcnt 0x0
	v_cvt_f32_f16_e32 v2, v3
	s_mov_b32 s4, 0
	s_delay_alu instid0(VALU_DEP_1) | instskip(NEXT) | instid1(VALU_DEP_1)
	v_cvt_i32_f32_e32 v4, v2
	v_ashrrev_i32_e32 v5, 31, v4
	s_wait_loadcnt 0x0
	global_store_b64 v[0:1], v[4:5], off
.LBB23_1081:
	s_and_not1_b32 vcc_lo, exec_lo, s4
	s_cbranch_vccnz .LBB23_1083
; %bb.1082:
	s_wait_xcnt 0x0
	v_cvt_f32_f16_e32 v2, v3
	s_delay_alu instid0(VALU_DEP_1)
	v_cvt_i32_f32_e32 v2, v2
	s_wait_loadcnt 0x0
	global_store_b32 v[0:1], v2, off
.LBB23_1083:
	s_mov_b32 s4, 0
.LBB23_1084:
	s_delay_alu instid0(SALU_CYCLE_1)
	s_and_not1_b32 vcc_lo, exec_lo, s4
	s_cbranch_vccnz .LBB23_1086
; %bb.1085:
	s_wait_xcnt 0x0
	v_cvt_i16_f16_e32 v2, v3
	s_wait_loadcnt 0x0
	global_store_b16 v[0:1], v2, off
.LBB23_1086:
	s_mov_b32 s4, 0
.LBB23_1087:
	s_delay_alu instid0(SALU_CYCLE_1)
	s_and_not1_b32 vcc_lo, exec_lo, s4
	s_cbranch_vccnz .LBB23_1092
; %bb.1088:
	s_sext_i32_i16 s4, s6
	s_delay_alu instid0(SALU_CYCLE_1)
	s_cmp_gt_i32 s4, 0
	s_mov_b32 s4, -1
	s_cbranch_scc0 .LBB23_1090
; %bb.1089:
	s_wait_xcnt 0x0
	v_cvt_i16_f16_e32 v2, v3
	s_mov_b32 s4, 0
	s_wait_loadcnt 0x0
	global_store_b8 v[0:1], v2, off
.LBB23_1090:
	s_and_not1_b32 vcc_lo, exec_lo, s4
	s_cbranch_vccnz .LBB23_1092
; %bb.1091:
	s_wait_xcnt 0x0
	v_cvt_f32_f16_e32 v2, v3
	s_delay_alu instid0(VALU_DEP_1)
	v_cvt_i32_f32_e32 v2, v2
	s_wait_loadcnt 0x0
	global_store_b8 v[0:1], v2, off
.LBB23_1092:
	s_wait_xcnt 0x0
	s_or_b32 exec_lo, exec_lo, s0
	s_delay_alu instid0(SALU_CYCLE_1)
	s_and_b32 s8, s1, exec_lo
                                        ; implicit-def: $vgpr9
                                        ; implicit-def: $vgpr0
.LBB23_1093:
	s_or_saveexec_b32 s9, s33
	s_mov_b32 s0, 0
                                        ; implicit-def: $vgpr2_vgpr3
                                        ; implicit-def: $sgpr6
                                        ; implicit-def: $vgpr1
	s_xor_b32 exec_lo, exec_lo, s9
	s_cbranch_execz .LBB23_2102
; %bb.1094:
	s_wait_loadcnt 0x0
	v_cndmask_b32_e64 v1, 0, 1, s31
	s_and_not1_b32 vcc_lo, exec_lo, s31
	s_cbranch_vccnz .LBB23_1100
; %bb.1095:
	s_cmp_lg_u32 s28, 0
	s_mov_b32 s10, 0
	s_cbranch_scc0 .LBB23_1101
; %bb.1096:
	s_min_u32 s1, s29, 15
	s_delay_alu instid0(SALU_CYCLE_1)
	s_add_co_i32 s1, s1, 1
	s_cmp_eq_u32 s29, 2
	s_cbranch_scc1 .LBB23_1102
; %bb.1097:
	v_dual_mov_b32 v6, 0 :: v_dual_mov_b32 v14, 0
	v_mov_b32_e32 v2, v0
	s_and_b32 s0, s1, 28
	s_add_nc_u64 s[4:5], s[2:3], 0xc4
	s_mov_b32 s11, 0
	s_mov_b64 s[6:7], s[2:3]
.LBB23_1098:                            ; =>This Inner Loop Header: Depth=1
	s_clause 0x1
	s_load_b256 s[12:19], s[6:7], 0x4
	s_load_b128 s[36:39], s[6:7], 0x24
	s_load_b256 s[20:27], s[4:5], 0x0
	s_add_co_i32 s11, s11, 4
	s_wait_xcnt 0x0
	s_add_nc_u64 s[6:7], s[6:7], 48
	s_cmp_lg_u32 s0, s11
	s_add_nc_u64 s[4:5], s[4:5], 32
	s_wait_kmcnt 0x0
	v_mul_hi_u32 v3, s13, v2
	s_delay_alu instid0(VALU_DEP_1) | instskip(NEXT) | instid1(VALU_DEP_1)
	v_add_nc_u32_e32 v3, v2, v3
	v_lshrrev_b32_e32 v3, s14, v3
	s_delay_alu instid0(VALU_DEP_1) | instskip(NEXT) | instid1(VALU_DEP_1)
	v_mul_hi_u32 v4, s16, v3
	v_add_nc_u32_e32 v4, v3, v4
	s_delay_alu instid0(VALU_DEP_1) | instskip(NEXT) | instid1(VALU_DEP_1)
	v_lshrrev_b32_e32 v4, s17, v4
	v_mul_hi_u32 v5, s19, v4
	s_delay_alu instid0(VALU_DEP_1) | instskip(SKIP_1) | instid1(VALU_DEP_1)
	v_add_nc_u32_e32 v5, v4, v5
	v_mul_lo_u32 v7, v3, s12
	v_sub_nc_u32_e32 v2, v2, v7
	v_mul_lo_u32 v7, v4, s15
	s_delay_alu instid0(VALU_DEP_4) | instskip(NEXT) | instid1(VALU_DEP_3)
	v_lshrrev_b32_e32 v5, s36, v5
	v_mad_u32 v10, v2, s21, v14
	v_mad_u32 v2, v2, s20, v6
	s_delay_alu instid0(VALU_DEP_4) | instskip(NEXT) | instid1(VALU_DEP_4)
	v_sub_nc_u32_e32 v3, v3, v7
	v_mul_hi_u32 v8, s38, v5
	v_mul_lo_u32 v6, v5, s18
	s_delay_alu instid0(VALU_DEP_1) | instskip(NEXT) | instid1(VALU_DEP_4)
	v_dual_add_nc_u32 v7, v5, v8 :: v_dual_sub_nc_u32 v4, v4, v6
	v_mad_u32 v8, v3, s23, v10
	v_mad_u32 v3, v3, s22, v2
	s_delay_alu instid0(VALU_DEP_3) | instskip(NEXT) | instid1(VALU_DEP_1)
	v_lshrrev_b32_e32 v2, s39, v7
	v_mul_lo_u32 v6, v2, s37
	s_delay_alu instid0(VALU_DEP_4) | instskip(NEXT) | instid1(VALU_DEP_4)
	v_mad_u32 v7, v4, s25, v8
	v_mad_u32 v3, v4, s24, v3
	s_delay_alu instid0(VALU_DEP_3) | instskip(NEXT) | instid1(VALU_DEP_1)
	v_sub_nc_u32_e32 v4, v5, v6
	v_mad_u32 v14, v4, s27, v7
	s_delay_alu instid0(VALU_DEP_3)
	v_mad_u32 v6, v4, s26, v3
	s_cbranch_scc1 .LBB23_1098
; %bb.1099:
	s_delay_alu instid0(VALU_DEP_2)
	v_mov_b32_e32 v7, v14
	s_and_b32 s6, s1, 3
	s_mov_b32 s1, 0
	s_cmp_eq_u32 s6, 0
	s_cbranch_scc0 .LBB23_1103
	s_branch .LBB23_1106
.LBB23_1100:
	s_mov_b32 s10, -1
                                        ; implicit-def: $vgpr14
                                        ; implicit-def: $vgpr6
	s_branch .LBB23_1106
.LBB23_1101:
	v_dual_mov_b32 v14, 0 :: v_dual_mov_b32 v6, 0
	s_branch .LBB23_1106
.LBB23_1102:
	v_mov_b64_e32 v[6:7], 0
	v_mov_b32_e32 v2, v0
                                        ; implicit-def: $vgpr14
	s_and_b32 s6, s1, 3
	s_mov_b32 s1, 0
	s_cmp_eq_u32 s6, 0
	s_cbranch_scc1 .LBB23_1106
.LBB23_1103:
	s_lshl_b32 s4, s0, 3
	s_mov_b32 s5, s1
	s_mul_u64 s[12:13], s[0:1], 12
	s_add_nc_u64 s[4:5], s[2:3], s[4:5]
	s_delay_alu instid0(SALU_CYCLE_1)
	s_add_nc_u64 s[0:1], s[4:5], 0xc4
	s_add_nc_u64 s[4:5], s[2:3], s[12:13]
.LBB23_1104:                            ; =>This Inner Loop Header: Depth=1
	s_load_b96 s[12:14], s[4:5], 0x4
	s_add_co_i32 s6, s6, -1
	s_wait_xcnt 0x0
	s_add_nc_u64 s[4:5], s[4:5], 12
	s_cmp_lg_u32 s6, 0
	s_wait_kmcnt 0x0
	v_mul_hi_u32 v3, s13, v2
	s_delay_alu instid0(VALU_DEP_1) | instskip(NEXT) | instid1(VALU_DEP_1)
	v_add_nc_u32_e32 v3, v2, v3
	v_lshrrev_b32_e32 v3, s14, v3
	s_load_b64 s[14:15], s[0:1], 0x0
	s_wait_xcnt 0x0
	s_add_nc_u64 s[0:1], s[0:1], 8
	s_delay_alu instid0(VALU_DEP_1) | instskip(NEXT) | instid1(VALU_DEP_1)
	v_mul_lo_u32 v4, v3, s12
	v_sub_nc_u32_e32 v2, v2, v4
	s_wait_kmcnt 0x0
	s_delay_alu instid0(VALU_DEP_1)
	v_mad_u32 v7, v2, s15, v7
	v_mad_u32 v6, v2, s14, v6
	v_mov_b32_e32 v2, v3
	s_cbranch_scc1 .LBB23_1104
; %bb.1105:
	s_delay_alu instid0(VALU_DEP_3)
	v_mov_b32_e32 v14, v7
.LBB23_1106:
	s_and_not1_b32 vcc_lo, exec_lo, s10
	s_cbranch_vccnz .LBB23_1109
; %bb.1107:
	s_clause 0x1
	s_load_b96 s[4:6], s[2:3], 0x4
	s_load_b64 s[0:1], s[2:3], 0xc4
	s_cmp_lt_u32 s28, 2
	s_wait_kmcnt 0x0
	v_mul_hi_u32 v2, s5, v0
	s_delay_alu instid0(VALU_DEP_1) | instskip(NEXT) | instid1(VALU_DEP_1)
	v_add_nc_u32_e32 v2, v0, v2
	v_lshrrev_b32_e32 v2, s6, v2
	s_delay_alu instid0(VALU_DEP_1) | instskip(NEXT) | instid1(VALU_DEP_1)
	v_mul_lo_u32 v3, v2, s4
	v_sub_nc_u32_e32 v3, v0, v3
	s_delay_alu instid0(VALU_DEP_1)
	v_mul_lo_u32 v14, v3, s1
	v_mul_lo_u32 v6, v3, s0
	s_cbranch_scc1 .LBB23_1109
; %bb.1108:
	s_clause 0x1
	s_load_b96 s[4:6], s[2:3], 0x10
	s_load_b64 s[0:1], s[2:3], 0xcc
	s_wait_kmcnt 0x0
	v_mul_hi_u32 v3, s5, v2
	s_delay_alu instid0(VALU_DEP_1) | instskip(NEXT) | instid1(VALU_DEP_1)
	v_add_nc_u32_e32 v3, v2, v3
	v_lshrrev_b32_e32 v3, s6, v3
	s_delay_alu instid0(VALU_DEP_1) | instskip(NEXT) | instid1(VALU_DEP_1)
	v_mul_lo_u32 v3, v3, s4
	v_sub_nc_u32_e32 v2, v2, v3
	s_delay_alu instid0(VALU_DEP_1)
	v_mad_u32 v6, v2, s0, v6
	v_mad_u32 v14, v2, s1, v14
.LBB23_1109:
	v_cmp_ne_u32_e32 vcc_lo, 1, v1
	v_add_nc_u32_e32 v2, 0x80, v0
	s_cbranch_vccnz .LBB23_1115
; %bb.1110:
	s_cmp_lg_u32 s28, 0
	s_mov_b32 s10, 0
	s_cbranch_scc0 .LBB23_1116
; %bb.1111:
	s_min_u32 s1, s29, 15
	s_delay_alu instid0(SALU_CYCLE_1)
	s_add_co_i32 s1, s1, 1
	s_cmp_eq_u32 s29, 2
	s_cbranch_scc1 .LBB23_1117
; %bb.1112:
	v_dual_mov_b32 v4, 0 :: v_dual_mov_b32 v12, 0
	v_mov_b32_e32 v3, v2
	s_and_b32 s0, s1, 28
	s_add_nc_u64 s[4:5], s[2:3], 0xc4
	s_mov_b32 s11, 0
	s_mov_b64 s[6:7], s[2:3]
.LBB23_1113:                            ; =>This Inner Loop Header: Depth=1
	s_clause 0x1
	s_load_b256 s[12:19], s[6:7], 0x4
	s_load_b128 s[36:39], s[6:7], 0x24
	s_load_b256 s[20:27], s[4:5], 0x0
	s_add_co_i32 s11, s11, 4
	s_wait_xcnt 0x0
	s_add_nc_u64 s[6:7], s[6:7], 48
	s_cmp_lg_u32 s0, s11
	s_add_nc_u64 s[4:5], s[4:5], 32
	s_wait_kmcnt 0x0
	v_mul_hi_u32 v5, s13, v3
	s_delay_alu instid0(VALU_DEP_1) | instskip(NEXT) | instid1(VALU_DEP_1)
	v_add_nc_u32_e32 v5, v3, v5
	v_lshrrev_b32_e32 v5, s14, v5
	s_delay_alu instid0(VALU_DEP_1) | instskip(NEXT) | instid1(VALU_DEP_1)
	v_mul_hi_u32 v7, s16, v5
	v_add_nc_u32_e32 v7, v5, v7
	s_delay_alu instid0(VALU_DEP_1) | instskip(NEXT) | instid1(VALU_DEP_1)
	v_lshrrev_b32_e32 v7, s17, v7
	v_mul_hi_u32 v8, s19, v7
	s_delay_alu instid0(VALU_DEP_1) | instskip(SKIP_1) | instid1(VALU_DEP_1)
	v_add_nc_u32_e32 v8, v7, v8
	v_mul_lo_u32 v10, v5, s12
	v_sub_nc_u32_e32 v3, v3, v10
	v_mul_lo_u32 v10, v7, s15
	s_delay_alu instid0(VALU_DEP_4) | instskip(NEXT) | instid1(VALU_DEP_3)
	v_lshrrev_b32_e32 v8, s36, v8
	v_mad_u32 v12, v3, s21, v12
	v_mad_u32 v3, v3, s20, v4
	s_delay_alu instid0(VALU_DEP_4) | instskip(NEXT) | instid1(VALU_DEP_4)
	v_sub_nc_u32_e32 v4, v5, v10
	v_mul_hi_u32 v11, s38, v8
	v_mul_lo_u32 v5, v8, s18
	s_delay_alu instid0(VALU_DEP_1) | instskip(NEXT) | instid1(VALU_DEP_4)
	v_dual_add_nc_u32 v10, v8, v11 :: v_dual_sub_nc_u32 v5, v7, v5
	v_mad_u32 v11, v4, s23, v12
	v_mad_u32 v4, v4, s22, v3
	s_delay_alu instid0(VALU_DEP_3) | instskip(NEXT) | instid1(VALU_DEP_1)
	v_lshrrev_b32_e32 v3, s39, v10
	v_mul_lo_u32 v7, v3, s37
	s_delay_alu instid0(VALU_DEP_4) | instskip(NEXT) | instid1(VALU_DEP_4)
	v_mad_u32 v10, v5, s25, v11
	v_mad_u32 v4, v5, s24, v4
	s_delay_alu instid0(VALU_DEP_3) | instskip(NEXT) | instid1(VALU_DEP_1)
	v_sub_nc_u32_e32 v5, v8, v7
	v_mad_u32 v12, v5, s27, v10
	s_delay_alu instid0(VALU_DEP_3)
	v_mad_u32 v4, v5, s26, v4
	s_cbranch_scc1 .LBB23_1113
; %bb.1114:
	s_delay_alu instid0(VALU_DEP_2)
	v_mov_b32_e32 v5, v12
	s_and_b32 s6, s1, 3
	s_mov_b32 s1, 0
	s_cmp_eq_u32 s6, 0
	s_cbranch_scc0 .LBB23_1118
	s_branch .LBB23_1121
.LBB23_1115:
	s_mov_b32 s10, -1
                                        ; implicit-def: $vgpr12
                                        ; implicit-def: $vgpr4
	s_branch .LBB23_1121
.LBB23_1116:
	v_dual_mov_b32 v12, 0 :: v_dual_mov_b32 v4, 0
	s_branch .LBB23_1121
.LBB23_1117:
	v_mov_b64_e32 v[4:5], 0
	v_mov_b32_e32 v3, v2
	s_mov_b32 s0, 0
                                        ; implicit-def: $vgpr12
	s_and_b32 s6, s1, 3
	s_mov_b32 s1, 0
	s_cmp_eq_u32 s6, 0
	s_cbranch_scc1 .LBB23_1121
.LBB23_1118:
	s_lshl_b32 s4, s0, 3
	s_mov_b32 s5, s1
	s_mul_u64 s[12:13], s[0:1], 12
	s_add_nc_u64 s[4:5], s[2:3], s[4:5]
	s_delay_alu instid0(SALU_CYCLE_1)
	s_add_nc_u64 s[0:1], s[4:5], 0xc4
	s_add_nc_u64 s[4:5], s[2:3], s[12:13]
.LBB23_1119:                            ; =>This Inner Loop Header: Depth=1
	s_load_b96 s[12:14], s[4:5], 0x4
	s_add_co_i32 s6, s6, -1
	s_wait_xcnt 0x0
	s_add_nc_u64 s[4:5], s[4:5], 12
	s_cmp_lg_u32 s6, 0
	s_wait_kmcnt 0x0
	v_mul_hi_u32 v7, s13, v3
	s_delay_alu instid0(VALU_DEP_1) | instskip(NEXT) | instid1(VALU_DEP_1)
	v_add_nc_u32_e32 v7, v3, v7
	v_lshrrev_b32_e32 v7, s14, v7
	s_load_b64 s[14:15], s[0:1], 0x0
	s_wait_xcnt 0x0
	s_add_nc_u64 s[0:1], s[0:1], 8
	s_delay_alu instid0(VALU_DEP_1) | instskip(NEXT) | instid1(VALU_DEP_1)
	v_mul_lo_u32 v8, v7, s12
	v_sub_nc_u32_e32 v3, v3, v8
	s_wait_kmcnt 0x0
	s_delay_alu instid0(VALU_DEP_1)
	v_mad_u32 v5, v3, s15, v5
	v_mad_u32 v4, v3, s14, v4
	v_mov_b32_e32 v3, v7
	s_cbranch_scc1 .LBB23_1119
; %bb.1120:
	s_delay_alu instid0(VALU_DEP_3)
	v_mov_b32_e32 v12, v5
.LBB23_1121:
	s_and_not1_b32 vcc_lo, exec_lo, s10
	s_cbranch_vccnz .LBB23_1124
; %bb.1122:
	s_clause 0x1
	s_load_b96 s[4:6], s[2:3], 0x4
	s_load_b64 s[0:1], s[2:3], 0xc4
	s_cmp_lt_u32 s28, 2
	s_wait_kmcnt 0x0
	v_mul_hi_u32 v3, s5, v2
	s_delay_alu instid0(VALU_DEP_1) | instskip(NEXT) | instid1(VALU_DEP_1)
	v_add_nc_u32_e32 v3, v2, v3
	v_lshrrev_b32_e32 v3, s6, v3
	s_delay_alu instid0(VALU_DEP_1) | instskip(NEXT) | instid1(VALU_DEP_1)
	v_mul_lo_u32 v4, v3, s4
	v_sub_nc_u32_e32 v2, v2, v4
	s_delay_alu instid0(VALU_DEP_1)
	v_mul_lo_u32 v12, v2, s1
	v_mul_lo_u32 v4, v2, s0
	s_cbranch_scc1 .LBB23_1124
; %bb.1123:
	s_clause 0x1
	s_load_b96 s[4:6], s[2:3], 0x10
	s_load_b64 s[0:1], s[2:3], 0xcc
	s_wait_kmcnt 0x0
	v_mul_hi_u32 v2, s5, v3
	s_delay_alu instid0(VALU_DEP_1) | instskip(NEXT) | instid1(VALU_DEP_1)
	v_add_nc_u32_e32 v2, v3, v2
	v_lshrrev_b32_e32 v2, s6, v2
	s_delay_alu instid0(VALU_DEP_1) | instskip(NEXT) | instid1(VALU_DEP_1)
	v_mul_lo_u32 v2, v2, s4
	v_sub_nc_u32_e32 v2, v3, v2
	s_delay_alu instid0(VALU_DEP_1)
	v_mad_u32 v4, v2, s0, v4
	v_mad_u32 v12, v2, s1, v12
.LBB23_1124:
	v_cmp_ne_u32_e32 vcc_lo, 1, v1
	v_add_nc_u32_e32 v0, 0x100, v0
	s_cbranch_vccnz .LBB23_1130
; %bb.1125:
	s_cmp_lg_u32 s28, 0
	s_mov_b32 s10, 0
	s_cbranch_scc0 .LBB23_1131
; %bb.1126:
	s_min_u32 s1, s29, 15
	s_delay_alu instid0(SALU_CYCLE_1)
	s_add_co_i32 s1, s1, 1
	s_cmp_eq_u32 s29, 2
	s_cbranch_scc1 .LBB23_1132
; %bb.1127:
	v_dual_mov_b32 v2, 0 :: v_dual_mov_b32 v10, 0
	v_mov_b32_e32 v5, v0
	s_and_b32 s0, s1, 28
	s_add_nc_u64 s[4:5], s[2:3], 0xc4
	s_mov_b32 s11, 0
	s_mov_b64 s[6:7], s[2:3]
.LBB23_1128:                            ; =>This Inner Loop Header: Depth=1
	s_clause 0x1
	s_load_b256 s[12:19], s[6:7], 0x4
	s_load_b128 s[36:39], s[6:7], 0x24
	s_load_b256 s[20:27], s[4:5], 0x0
	s_add_co_i32 s11, s11, 4
	s_wait_xcnt 0x0
	s_add_nc_u64 s[6:7], s[6:7], 48
	s_cmp_lg_u32 s0, s11
	s_add_nc_u64 s[4:5], s[4:5], 32
	s_wait_kmcnt 0x0
	v_mul_hi_u32 v3, s13, v5
	s_delay_alu instid0(VALU_DEP_1) | instskip(NEXT) | instid1(VALU_DEP_1)
	v_add_nc_u32_e32 v3, v5, v3
	v_lshrrev_b32_e32 v3, s14, v3
	s_delay_alu instid0(VALU_DEP_1) | instskip(NEXT) | instid1(VALU_DEP_1)
	v_mul_hi_u32 v7, s16, v3
	v_add_nc_u32_e32 v7, v3, v7
	s_delay_alu instid0(VALU_DEP_1) | instskip(NEXT) | instid1(VALU_DEP_1)
	v_lshrrev_b32_e32 v7, s17, v7
	v_mul_hi_u32 v8, s19, v7
	s_delay_alu instid0(VALU_DEP_1) | instskip(NEXT) | instid1(VALU_DEP_1)
	v_add_nc_u32_e32 v8, v7, v8
	v_lshrrev_b32_e32 v8, s36, v8
	v_mul_lo_u32 v11, v3, s12
	s_delay_alu instid0(VALU_DEP_2) | instskip(NEXT) | instid1(VALU_DEP_2)
	v_mul_hi_u32 v13, s38, v8
	v_sub_nc_u32_e32 v5, v5, v11
	s_delay_alu instid0(VALU_DEP_1) | instskip(SKIP_1) | instid1(VALU_DEP_4)
	v_mad_u32 v10, v5, s21, v10
	v_mad_u32 v2, v5, s20, v2
	v_add_nc_u32_e32 v5, v8, v13
	s_delay_alu instid0(VALU_DEP_1) | instskip(SKIP_1) | instid1(VALU_DEP_1)
	v_lshrrev_b32_e32 v5, s39, v5
	v_mul_lo_u32 v11, v7, s15
	v_sub_nc_u32_e32 v3, v3, v11
	v_mul_lo_u32 v11, v8, s18
	s_delay_alu instid0(VALU_DEP_2) | instskip(SKIP_1) | instid1(VALU_DEP_3)
	v_mad_u32 v10, v3, s23, v10
	v_mad_u32 v2, v3, s22, v2
	v_sub_nc_u32_e32 v3, v7, v11
	v_mul_lo_u32 v7, v5, s37
	s_delay_alu instid0(VALU_DEP_2) | instskip(NEXT) | instid1(VALU_DEP_4)
	v_mad_u32 v10, v3, s25, v10
	v_mad_u32 v2, v3, s24, v2
	s_delay_alu instid0(VALU_DEP_3) | instskip(NEXT) | instid1(VALU_DEP_1)
	v_sub_nc_u32_e32 v3, v8, v7
	v_mad_u32 v10, v3, s27, v10
	s_delay_alu instid0(VALU_DEP_3)
	v_mad_u32 v2, v3, s26, v2
	s_cbranch_scc1 .LBB23_1128
; %bb.1129:
	s_delay_alu instid0(VALU_DEP_2)
	v_mov_b32_e32 v3, v10
	s_and_b32 s6, s1, 3
	s_mov_b32 s1, 0
	s_cmp_eq_u32 s6, 0
	s_cbranch_scc0 .LBB23_1133
	s_branch .LBB23_1136
.LBB23_1130:
	s_mov_b32 s10, -1
                                        ; implicit-def: $vgpr10
                                        ; implicit-def: $vgpr2
	s_branch .LBB23_1136
.LBB23_1131:
	v_dual_mov_b32 v10, 0 :: v_dual_mov_b32 v2, 0
	s_branch .LBB23_1136
.LBB23_1132:
	v_mov_b64_e32 v[2:3], 0
	v_mov_b32_e32 v5, v0
	s_mov_b32 s0, 0
                                        ; implicit-def: $vgpr10
	s_and_b32 s6, s1, 3
	s_mov_b32 s1, 0
	s_cmp_eq_u32 s6, 0
	s_cbranch_scc1 .LBB23_1136
.LBB23_1133:
	s_lshl_b32 s4, s0, 3
	s_mov_b32 s5, s1
	s_mul_u64 s[12:13], s[0:1], 12
	s_add_nc_u64 s[4:5], s[2:3], s[4:5]
	s_delay_alu instid0(SALU_CYCLE_1)
	s_add_nc_u64 s[0:1], s[4:5], 0xc4
	s_add_nc_u64 s[4:5], s[2:3], s[12:13]
.LBB23_1134:                            ; =>This Inner Loop Header: Depth=1
	s_load_b96 s[12:14], s[4:5], 0x4
	s_add_co_i32 s6, s6, -1
	s_wait_xcnt 0x0
	s_add_nc_u64 s[4:5], s[4:5], 12
	s_cmp_lg_u32 s6, 0
	s_wait_kmcnt 0x0
	v_mul_hi_u32 v7, s13, v5
	s_delay_alu instid0(VALU_DEP_1) | instskip(NEXT) | instid1(VALU_DEP_1)
	v_add_nc_u32_e32 v7, v5, v7
	v_lshrrev_b32_e32 v7, s14, v7
	s_load_b64 s[14:15], s[0:1], 0x0
	s_wait_xcnt 0x0
	s_add_nc_u64 s[0:1], s[0:1], 8
	s_delay_alu instid0(VALU_DEP_1) | instskip(NEXT) | instid1(VALU_DEP_1)
	v_mul_lo_u32 v8, v7, s12
	v_sub_nc_u32_e32 v5, v5, v8
	s_wait_kmcnt 0x0
	s_delay_alu instid0(VALU_DEP_1)
	v_mad_u32 v3, v5, s15, v3
	v_mad_u32 v2, v5, s14, v2
	v_mov_b32_e32 v5, v7
	s_cbranch_scc1 .LBB23_1134
; %bb.1135:
	s_delay_alu instid0(VALU_DEP_3)
	v_mov_b32_e32 v10, v3
.LBB23_1136:
	s_and_not1_b32 vcc_lo, exec_lo, s10
	s_cbranch_vccnz .LBB23_1139
; %bb.1137:
	s_clause 0x1
	s_load_b96 s[4:6], s[2:3], 0x4
	s_load_b64 s[0:1], s[2:3], 0xc4
	s_cmp_lt_u32 s28, 2
	s_wait_kmcnt 0x0
	v_mul_hi_u32 v2, s5, v0
	s_delay_alu instid0(VALU_DEP_1) | instskip(NEXT) | instid1(VALU_DEP_1)
	v_add_nc_u32_e32 v2, v0, v2
	v_lshrrev_b32_e32 v3, s6, v2
	s_delay_alu instid0(VALU_DEP_1) | instskip(NEXT) | instid1(VALU_DEP_1)
	v_mul_lo_u32 v2, v3, s4
	v_sub_nc_u32_e32 v0, v0, v2
	s_delay_alu instid0(VALU_DEP_1)
	v_mul_lo_u32 v10, v0, s1
	v_mul_lo_u32 v2, v0, s0
	s_cbranch_scc1 .LBB23_1139
; %bb.1138:
	s_clause 0x1
	s_load_b96 s[4:6], s[2:3], 0x10
	s_load_b64 s[0:1], s[2:3], 0xcc
	s_wait_kmcnt 0x0
	v_mul_hi_u32 v0, s5, v3
	s_delay_alu instid0(VALU_DEP_1) | instskip(NEXT) | instid1(VALU_DEP_1)
	v_add_nc_u32_e32 v0, v3, v0
	v_lshrrev_b32_e32 v0, s6, v0
	s_delay_alu instid0(VALU_DEP_1) | instskip(NEXT) | instid1(VALU_DEP_1)
	v_mul_lo_u32 v0, v0, s4
	v_sub_nc_u32_e32 v0, v3, v0
	s_delay_alu instid0(VALU_DEP_1)
	v_mad_u32 v2, v0, s0, v2
	v_mad_u32 v10, v0, s1, v10
.LBB23_1139:
	v_cmp_ne_u32_e32 vcc_lo, 1, v1
	s_cbranch_vccnz .LBB23_1145
; %bb.1140:
	s_cmp_lg_u32 s28, 0
	s_mov_b32 s10, 0
	s_cbranch_scc0 .LBB23_1146
; %bb.1141:
	s_min_u32 s1, s29, 15
	s_delay_alu instid0(SALU_CYCLE_1)
	s_add_co_i32 s1, s1, 1
	s_cmp_eq_u32 s29, 2
	s_cbranch_scc1 .LBB23_1147
; %bb.1142:
	v_dual_mov_b32 v0, 0 :: v_dual_mov_b32 v8, 0
	v_mov_b32_e32 v3, v9
	s_and_b32 s0, s1, 28
	s_add_nc_u64 s[4:5], s[2:3], 0xc4
	s_mov_b32 s11, 0
	s_mov_b64 s[6:7], s[2:3]
.LBB23_1143:                            ; =>This Inner Loop Header: Depth=1
	s_clause 0x1
	s_load_b256 s[12:19], s[6:7], 0x4
	s_load_b128 s[36:39], s[6:7], 0x24
	s_load_b256 s[20:27], s[4:5], 0x0
	s_add_co_i32 s11, s11, 4
	s_wait_xcnt 0x0
	s_add_nc_u64 s[6:7], s[6:7], 48
	s_cmp_lg_u32 s0, s11
	s_add_nc_u64 s[4:5], s[4:5], 32
	s_wait_kmcnt 0x0
	v_mul_hi_u32 v1, s13, v3
	s_delay_alu instid0(VALU_DEP_1) | instskip(NEXT) | instid1(VALU_DEP_1)
	v_add_nc_u32_e32 v1, v3, v1
	v_lshrrev_b32_e32 v1, s14, v1
	s_delay_alu instid0(VALU_DEP_1) | instskip(NEXT) | instid1(VALU_DEP_1)
	v_mul_lo_u32 v11, v1, s12
	v_sub_nc_u32_e32 v3, v3, v11
	v_mul_hi_u32 v5, s16, v1
	s_delay_alu instid0(VALU_DEP_2) | instskip(SKIP_1) | instid1(VALU_DEP_3)
	v_mad_u32 v8, v3, s21, v8
	v_mad_u32 v0, v3, s20, v0
	v_add_nc_u32_e32 v5, v1, v5
	s_delay_alu instid0(VALU_DEP_1) | instskip(NEXT) | instid1(VALU_DEP_1)
	v_lshrrev_b32_e32 v5, s17, v5
	v_mul_lo_u32 v11, v5, s15
	s_delay_alu instid0(VALU_DEP_1) | instskip(SKIP_1) | instid1(VALU_DEP_2)
	v_sub_nc_u32_e32 v1, v1, v11
	v_mul_hi_u32 v7, s19, v5
	v_mad_u32 v8, v1, s23, v8
	v_mad_u32 v0, v1, s22, v0
	s_delay_alu instid0(VALU_DEP_3) | instskip(NEXT) | instid1(VALU_DEP_1)
	v_add_nc_u32_e32 v7, v5, v7
	v_lshrrev_b32_e32 v7, s36, v7
	s_delay_alu instid0(VALU_DEP_1) | instskip(SKIP_1) | instid1(VALU_DEP_1)
	v_mul_hi_u32 v13, s38, v7
	v_mul_lo_u32 v11, v7, s18
	v_dual_add_nc_u32 v3, v7, v13 :: v_dual_sub_nc_u32 v1, v5, v11
	s_delay_alu instid0(VALU_DEP_1) | instskip(NEXT) | instid1(VALU_DEP_2)
	v_lshrrev_b32_e32 v3, s39, v3
	v_mad_u32 v8, v1, s25, v8
	v_mad_u32 v0, v1, s24, v0
	s_delay_alu instid0(VALU_DEP_3) | instskip(NEXT) | instid1(VALU_DEP_1)
	v_mul_lo_u32 v5, v3, s37
	v_sub_nc_u32_e32 v1, v7, v5
	s_delay_alu instid0(VALU_DEP_1) | instskip(NEXT) | instid1(VALU_DEP_4)
	v_mad_u32 v8, v1, s27, v8
	v_mad_u32 v0, v1, s26, v0
	s_cbranch_scc1 .LBB23_1143
; %bb.1144:
	s_delay_alu instid0(VALU_DEP_2)
	v_mov_b32_e32 v1, v8
	s_and_b32 s6, s1, 3
	s_mov_b32 s1, 0
	s_cmp_eq_u32 s6, 0
	s_cbranch_scc0 .LBB23_1148
	s_branch .LBB23_1151
.LBB23_1145:
	s_mov_b32 s10, -1
                                        ; implicit-def: $vgpr8
                                        ; implicit-def: $vgpr0
	s_branch .LBB23_1151
.LBB23_1146:
	v_dual_mov_b32 v8, 0 :: v_dual_mov_b32 v0, 0
	s_branch .LBB23_1151
.LBB23_1147:
	v_mov_b64_e32 v[0:1], 0
	v_mov_b32_e32 v3, v9
	s_mov_b32 s0, 0
                                        ; implicit-def: $vgpr8
	s_and_b32 s6, s1, 3
	s_mov_b32 s1, 0
	s_cmp_eq_u32 s6, 0
	s_cbranch_scc1 .LBB23_1151
.LBB23_1148:
	s_lshl_b32 s4, s0, 3
	s_mov_b32 s5, s1
	s_mul_u64 s[12:13], s[0:1], 12
	s_add_nc_u64 s[4:5], s[2:3], s[4:5]
	s_delay_alu instid0(SALU_CYCLE_1)
	s_add_nc_u64 s[0:1], s[4:5], 0xc4
	s_add_nc_u64 s[4:5], s[2:3], s[12:13]
.LBB23_1149:                            ; =>This Inner Loop Header: Depth=1
	s_load_b96 s[12:14], s[4:5], 0x4
	s_add_co_i32 s6, s6, -1
	s_wait_xcnt 0x0
	s_add_nc_u64 s[4:5], s[4:5], 12
	s_cmp_lg_u32 s6, 0
	s_wait_kmcnt 0x0
	v_mul_hi_u32 v5, s13, v3
	s_delay_alu instid0(VALU_DEP_1) | instskip(NEXT) | instid1(VALU_DEP_1)
	v_add_nc_u32_e32 v5, v3, v5
	v_lshrrev_b32_e32 v5, s14, v5
	s_load_b64 s[14:15], s[0:1], 0x0
	s_wait_xcnt 0x0
	s_add_nc_u64 s[0:1], s[0:1], 8
	s_delay_alu instid0(VALU_DEP_1) | instskip(NEXT) | instid1(VALU_DEP_1)
	v_mul_lo_u32 v7, v5, s12
	v_sub_nc_u32_e32 v3, v3, v7
	s_wait_kmcnt 0x0
	s_delay_alu instid0(VALU_DEP_1)
	v_mad_u32 v1, v3, s15, v1
	v_mad_u32 v0, v3, s14, v0
	v_mov_b32_e32 v3, v5
	s_cbranch_scc1 .LBB23_1149
; %bb.1150:
	s_delay_alu instid0(VALU_DEP_3)
	v_mov_b32_e32 v8, v1
.LBB23_1151:
	s_and_not1_b32 vcc_lo, exec_lo, s10
	s_cbranch_vccnz .LBB23_1154
; %bb.1152:
	s_clause 0x1
	s_load_b96 s[4:6], s[2:3], 0x4
	s_load_b64 s[0:1], s[2:3], 0xc4
	s_cmp_lt_u32 s28, 2
	s_wait_kmcnt 0x0
	v_mul_hi_u32 v0, s5, v9
	s_delay_alu instid0(VALU_DEP_1) | instskip(NEXT) | instid1(VALU_DEP_1)
	v_add_nc_u32_e32 v0, v9, v0
	v_lshrrev_b32_e32 v1, s6, v0
	s_delay_alu instid0(VALU_DEP_1) | instskip(NEXT) | instid1(VALU_DEP_1)
	v_mul_lo_u32 v0, v1, s4
	v_sub_nc_u32_e32 v0, v9, v0
	s_delay_alu instid0(VALU_DEP_1)
	v_mul_lo_u32 v8, v0, s1
	v_mul_lo_u32 v0, v0, s0
	s_cbranch_scc1 .LBB23_1154
; %bb.1153:
	s_clause 0x1
	s_load_b96 s[4:6], s[2:3], 0x10
	s_load_b64 s[0:1], s[2:3], 0xcc
	s_wait_kmcnt 0x0
	v_mul_hi_u32 v3, s5, v1
	s_delay_alu instid0(VALU_DEP_1) | instskip(NEXT) | instid1(VALU_DEP_1)
	v_add_nc_u32_e32 v3, v1, v3
	v_lshrrev_b32_e32 v3, s6, v3
	s_delay_alu instid0(VALU_DEP_1) | instskip(NEXT) | instid1(VALU_DEP_1)
	v_mul_lo_u32 v3, v3, s4
	v_sub_nc_u32_e32 v1, v1, v3
	s_delay_alu instid0(VALU_DEP_1)
	v_mad_u32 v0, v1, s0, v0
	v_mad_u32 v8, v1, s1, v8
.LBB23_1154:
	v_mov_b32_e32 v15, 0
	s_load_b128 s[4:7], s[2:3], 0x148
	global_load_u8 v1, v15, s[2:3] offset:347
	s_wait_kmcnt 0x0
	v_add_nc_u64_e32 v[14:15], s[6:7], v[14:15]
	s_wait_loadcnt 0x0
	v_and_b32_e32 v3, 0xffff, v1
	v_readfirstlane_b32 s0, v1
	s_delay_alu instid0(VALU_DEP_2)
	v_cmp_gt_i32_e32 vcc_lo, 11, v3
	s_cbranch_vccnz .LBB23_1161
; %bb.1155:
	s_and_b32 s1, 0xffff, s0
	s_mov_b32 s11, 0
	s_cmp_gt_i32 s1, 25
	s_cbranch_scc0 .LBB23_1163
; %bb.1156:
	s_cmp_gt_i32 s1, 28
	s_cbranch_scc0 .LBB23_1164
; %bb.1157:
	;; [unrolled: 3-line block ×4, first 2 shown]
	s_cmp_eq_u32 s1, 46
	s_mov_b32 s13, 0
	s_cbranch_scc0 .LBB23_1169
; %bb.1160:
	global_load_b32 v1, v[14:15], off
	s_mov_b32 s10, 0
	s_mov_b32 s12, -1
	s_wait_loadcnt 0x0
	v_lshlrev_b32_e32 v1, 16, v1
	s_delay_alu instid0(VALU_DEP_1)
	v_cvt_f16_f32_e32 v1, v1
	s_branch .LBB23_1171
.LBB23_1161:
	s_mov_b32 s12, 0
	s_mov_b32 s1, s8
                                        ; implicit-def: $vgpr1
	s_cbranch_execnz .LBB23_1234
.LBB23_1162:
	s_and_not1_b32 vcc_lo, exec_lo, s12
	s_cbranch_vccz .LBB23_1279
	s_branch .LBB23_2100
.LBB23_1163:
	s_mov_b32 s12, 0
	s_mov_b32 s10, 0
                                        ; implicit-def: $vgpr1
	s_cbranch_execnz .LBB23_1199
	s_branch .LBB23_1230
.LBB23_1164:
	s_mov_b32 s13, -1
	s_mov_b32 s12, 0
	s_mov_b32 s10, 0
                                        ; implicit-def: $vgpr1
	s_branch .LBB23_1180
.LBB23_1165:
	s_mov_b32 s12, 0
	s_mov_b32 s10, 0
                                        ; implicit-def: $vgpr1
	s_cbranch_execnz .LBB23_1176
	s_branch .LBB23_1179
.LBB23_1166:
	s_mov_b32 s13, -1
	s_mov_b32 s12, 0
	s_mov_b32 s10, 0
	s_branch .LBB23_1170
.LBB23_1167:
	s_and_not1_saveexec_b32 s9, s9
	s_cbranch_execz .LBB23_1003
.LBB23_1168:
	v_add_f32_e64 v4, 0x46000000, |v2|
	s_and_not1_b32 s8, s8, exec_lo
	s_delay_alu instid0(VALU_DEP_1) | instskip(NEXT) | instid1(VALU_DEP_1)
	v_and_b32_e32 v4, 0xff, v4
	v_cmp_ne_u32_e32 vcc_lo, 0, v4
	s_and_b32 s10, vcc_lo, exec_lo
	s_delay_alu instid0(SALU_CYCLE_1)
	s_or_b32 s8, s8, s10
	s_or_b32 exec_lo, exec_lo, s9
	v_mov_b32_e32 v5, 0
	s_and_saveexec_b32 s9, s8
	s_cbranch_execnz .LBB23_1004
	s_branch .LBB23_1005
.LBB23_1169:
	s_mov_b32 s10, -1
	s_mov_b32 s12, 0
.LBB23_1170:
                                        ; implicit-def: $vgpr1
.LBB23_1171:
	s_and_b32 vcc_lo, exec_lo, s13
	s_cbranch_vccz .LBB23_1174
; %bb.1172:
	s_cmp_eq_u32 s1, 44
	s_cbranch_scc0 .LBB23_1175
; %bb.1173:
	global_load_u8 v1, v[14:15], off
	s_mov_b32 s10, 0
	s_mov_b32 s12, -1
	s_wait_loadcnt 0x0
	v_lshlrev_b32_e32 v3, 23, v1
	v_cmp_ne_u32_e32 vcc_lo, 0xff, v1
	s_delay_alu instid0(VALU_DEP_2) | instskip(NEXT) | instid1(VALU_DEP_1)
	v_cvt_f16_f32_e32 v3, v3
	v_cndmask_b32_e32 v3, 0x7e00, v3, vcc_lo
	v_cmp_ne_u32_e32 vcc_lo, 0, v1
	s_delay_alu instid0(VALU_DEP_2)
	v_cndmask_b32_e32 v1, 0, v3, vcc_lo
.LBB23_1174:
	s_branch .LBB23_1179
.LBB23_1175:
	s_mov_b32 s10, -1
                                        ; implicit-def: $vgpr1
	s_branch .LBB23_1179
.LBB23_1176:
	s_cmp_eq_u32 s1, 29
	s_cbranch_scc0 .LBB23_1178
; %bb.1177:
	global_load_b64 v[16:17], v[14:15], off
	s_mov_b32 s10, 0
	s_mov_b32 s12, -1
	s_mov_b32 s13, 0
	s_wait_loadcnt 0x0
	v_clz_i32_u32_e32 v1, v17
	s_delay_alu instid0(VALU_DEP_1) | instskip(NEXT) | instid1(VALU_DEP_1)
	v_min_u32_e32 v1, 32, v1
	v_lshlrev_b64_e32 v[16:17], v1, v[16:17]
	v_sub_nc_u32_e32 v1, 32, v1
	s_delay_alu instid0(VALU_DEP_2) | instskip(NEXT) | instid1(VALU_DEP_1)
	v_min_u32_e32 v3, 1, v16
	v_or_b32_e32 v3, v17, v3
	s_delay_alu instid0(VALU_DEP_1) | instskip(NEXT) | instid1(VALU_DEP_1)
	v_cvt_f32_u32_e32 v3, v3
	v_ldexp_f32 v1, v3, v1
	s_delay_alu instid0(VALU_DEP_1)
	v_cvt_f16_f32_e32 v1, v1
	s_branch .LBB23_1180
.LBB23_1178:
	s_mov_b32 s10, -1
                                        ; implicit-def: $vgpr1
.LBB23_1179:
	s_mov_b32 s13, 0
.LBB23_1180:
	s_delay_alu instid0(SALU_CYCLE_1)
	s_and_b32 vcc_lo, exec_lo, s13
	s_cbranch_vccz .LBB23_1198
; %bb.1181:
	s_cmp_lt_i32 s1, 27
	s_cbranch_scc1 .LBB23_1184
; %bb.1182:
	s_cmp_gt_i32 s1, 27
	s_cbranch_scc0 .LBB23_1185
; %bb.1183:
	global_load_b32 v1, v[14:15], off
	s_mov_b32 s12, 0
	s_wait_loadcnt 0x0
	v_cvt_f32_u32_e32 v1, v1
	s_delay_alu instid0(VALU_DEP_1)
	v_cvt_f16_f32_e32 v1, v1
	s_branch .LBB23_1186
.LBB23_1184:
	s_mov_b32 s12, -1
                                        ; implicit-def: $vgpr1
	s_branch .LBB23_1189
.LBB23_1185:
	s_mov_b32 s12, -1
                                        ; implicit-def: $vgpr1
.LBB23_1186:
	s_delay_alu instid0(SALU_CYCLE_1)
	s_and_not1_b32 vcc_lo, exec_lo, s12
	s_cbranch_vccnz .LBB23_1188
; %bb.1187:
	global_load_u16 v1, v[14:15], off
	s_wait_loadcnt 0x0
	v_cvt_f16_u16_e32 v1, v1
.LBB23_1188:
	s_mov_b32 s12, 0
.LBB23_1189:
	s_delay_alu instid0(SALU_CYCLE_1)
	s_and_not1_b32 vcc_lo, exec_lo, s12
	s_cbranch_vccnz .LBB23_1197
; %bb.1190:
	global_load_u8 v3, v[14:15], off
	s_mov_b32 s12, 0
	s_mov_b32 s13, exec_lo
	s_wait_loadcnt 0x0
	v_cmpx_lt_i16_e32 0x7f, v3
	s_xor_b32 s13, exec_lo, s13
	s_cbranch_execz .LBB23_1210
; %bb.1191:
	s_mov_b32 s12, -1
	s_mov_b32 s14, exec_lo
	v_cmpx_eq_u16_e32 0x80, v3
; %bb.1192:
	s_xor_b32 s12, exec_lo, -1
; %bb.1193:
	s_or_b32 exec_lo, exec_lo, s14
	s_delay_alu instid0(SALU_CYCLE_1)
	s_and_b32 s12, s12, exec_lo
	s_or_saveexec_b32 s13, s13
	v_mov_b32_e32 v1, 0x7e00
	s_xor_b32 exec_lo, exec_lo, s13
	s_cbranch_execnz .LBB23_1211
.LBB23_1194:
	s_or_b32 exec_lo, exec_lo, s13
	s_and_saveexec_b32 s13, s12
	s_cbranch_execz .LBB23_1196
.LBB23_1195:
	v_and_b32_e32 v1, 0xffff, v3
	s_delay_alu instid0(VALU_DEP_1) | instskip(SKIP_1) | instid1(VALU_DEP_2)
	v_and_b32_e32 v5, 7, v1
	v_bfe_u32 v11, v1, 3, 4
	v_clz_i32_u32_e32 v7, v5
	s_delay_alu instid0(VALU_DEP_2) | instskip(NEXT) | instid1(VALU_DEP_2)
	v_cmp_eq_u32_e32 vcc_lo, 0, v11
	v_min_u32_e32 v7, 32, v7
	s_delay_alu instid0(VALU_DEP_1) | instskip(NEXT) | instid1(VALU_DEP_1)
	v_subrev_nc_u32_e32 v9, 28, v7
	v_dual_lshlrev_b32 v1, v9, v1 :: v_dual_sub_nc_u32 v7, 29, v7
	s_delay_alu instid0(VALU_DEP_1) | instskip(NEXT) | instid1(VALU_DEP_1)
	v_dual_lshlrev_b32 v3, 24, v3 :: v_dual_bitop2_b32 v1, 7, v1 bitop3:0x40
	v_dual_cndmask_b32 v1, v5, v1, vcc_lo :: v_dual_cndmask_b32 v7, v11, v7, vcc_lo
	s_delay_alu instid0(VALU_DEP_2) | instskip(NEXT) | instid1(VALU_DEP_2)
	v_and_b32_e32 v3, 0x80000000, v3
	v_lshlrev_b32_e32 v1, 20, v1
	s_delay_alu instid0(VALU_DEP_3) | instskip(NEXT) | instid1(VALU_DEP_1)
	v_lshl_add_u32 v5, v7, 23, 0x3b800000
	v_or3_b32 v1, v3, v5, v1
	s_delay_alu instid0(VALU_DEP_1)
	v_cvt_f16_f32_e32 v1, v1
.LBB23_1196:
	s_or_b32 exec_lo, exec_lo, s13
.LBB23_1197:
	s_mov_b32 s12, -1
.LBB23_1198:
	s_branch .LBB23_1230
.LBB23_1199:
	s_cmp_gt_i32 s1, 22
	s_cbranch_scc0 .LBB23_1209
; %bb.1200:
	s_cmp_lt_i32 s1, 24
	s_cbranch_scc1 .LBB23_1212
; %bb.1201:
	s_cmp_gt_i32 s1, 24
	s_cbranch_scc0 .LBB23_1213
; %bb.1202:
	global_load_u8 v3, v[14:15], off
	s_mov_b32 s12, exec_lo
	s_wait_loadcnt 0x0
	v_cmpx_lt_i16_e32 0x7f, v3
	s_xor_b32 s12, exec_lo, s12
	s_cbranch_execz .LBB23_1224
; %bb.1203:
	s_mov_b32 s11, -1
	s_mov_b32 s13, exec_lo
	v_cmpx_eq_u16_e32 0x80, v3
; %bb.1204:
	s_xor_b32 s11, exec_lo, -1
; %bb.1205:
	s_or_b32 exec_lo, exec_lo, s13
	s_delay_alu instid0(SALU_CYCLE_1)
	s_and_b32 s11, s11, exec_lo
	s_or_saveexec_b32 s12, s12
	v_mov_b32_e32 v1, 0x7e00
	s_xor_b32 exec_lo, exec_lo, s12
	s_cbranch_execnz .LBB23_1225
.LBB23_1206:
	s_or_b32 exec_lo, exec_lo, s12
	s_and_saveexec_b32 s12, s11
	s_cbranch_execz .LBB23_1208
.LBB23_1207:
	v_and_b32_e32 v1, 0xffff, v3
	s_delay_alu instid0(VALU_DEP_1) | instskip(SKIP_1) | instid1(VALU_DEP_2)
	v_and_b32_e32 v5, 3, v1
	v_bfe_u32 v11, v1, 2, 5
	v_clz_i32_u32_e32 v7, v5
	s_delay_alu instid0(VALU_DEP_2) | instskip(NEXT) | instid1(VALU_DEP_2)
	v_cmp_eq_u32_e32 vcc_lo, 0, v11
	v_min_u32_e32 v7, 32, v7
	s_delay_alu instid0(VALU_DEP_1) | instskip(NEXT) | instid1(VALU_DEP_1)
	v_subrev_nc_u32_e32 v9, 29, v7
	v_dual_lshlrev_b32 v1, v9, v1 :: v_dual_sub_nc_u32 v7, 30, v7
	s_delay_alu instid0(VALU_DEP_1) | instskip(NEXT) | instid1(VALU_DEP_1)
	v_dual_lshlrev_b32 v3, 24, v3 :: v_dual_bitop2_b32 v1, 3, v1 bitop3:0x40
	v_dual_cndmask_b32 v1, v5, v1, vcc_lo :: v_dual_cndmask_b32 v7, v11, v7, vcc_lo
	s_delay_alu instid0(VALU_DEP_2) | instskip(NEXT) | instid1(VALU_DEP_2)
	v_and_b32_e32 v3, 0x80000000, v3
	v_lshlrev_b32_e32 v1, 21, v1
	s_delay_alu instid0(VALU_DEP_3) | instskip(NEXT) | instid1(VALU_DEP_1)
	v_lshl_add_u32 v5, v7, 23, 0x37800000
	v_or3_b32 v1, v3, v5, v1
	s_delay_alu instid0(VALU_DEP_1)
	v_cvt_f16_f32_e32 v1, v1
.LBB23_1208:
	s_or_b32 exec_lo, exec_lo, s12
	s_mov_b32 s11, 0
	s_branch .LBB23_1214
.LBB23_1209:
                                        ; implicit-def: $vgpr1
	s_mov_b32 s11, 0
	s_branch .LBB23_1220
.LBB23_1210:
	s_or_saveexec_b32 s13, s13
	v_mov_b32_e32 v1, 0x7e00
	s_xor_b32 exec_lo, exec_lo, s13
	s_cbranch_execz .LBB23_1194
.LBB23_1211:
	v_cmp_ne_u16_e32 vcc_lo, 0, v3
	v_mov_b32_e32 v1, v3
	s_and_not1_b32 s12, s12, exec_lo
	s_and_b32 s14, vcc_lo, exec_lo
	s_delay_alu instid0(SALU_CYCLE_1)
	s_or_b32 s12, s12, s14
	s_or_b32 exec_lo, exec_lo, s13
	s_and_saveexec_b32 s13, s12
	s_cbranch_execnz .LBB23_1195
	s_branch .LBB23_1196
.LBB23_1212:
	s_mov_b32 s11, -1
                                        ; implicit-def: $vgpr1
	s_branch .LBB23_1217
.LBB23_1213:
	s_mov_b32 s11, -1
                                        ; implicit-def: $vgpr1
.LBB23_1214:
	s_delay_alu instid0(SALU_CYCLE_1)
	s_and_b32 vcc_lo, exec_lo, s11
	s_cbranch_vccz .LBB23_1216
; %bb.1215:
	global_load_u8 v1, v[14:15], off
	s_wait_loadcnt 0x0
	v_lshlrev_b32_e32 v1, 24, v1
	s_delay_alu instid0(VALU_DEP_1) | instskip(NEXT) | instid1(VALU_DEP_1)
	v_and_b32_e32 v3, 0x7f000000, v1
	v_clz_i32_u32_e32 v5, v3
	v_add_nc_u32_e32 v9, 0x1000000, v3
	v_cmp_ne_u32_e32 vcc_lo, 0, v3
	s_delay_alu instid0(VALU_DEP_3) | instskip(NEXT) | instid1(VALU_DEP_1)
	v_min_u32_e32 v5, 32, v5
	v_sub_nc_u32_e64 v5, v5, 4 clamp
	s_delay_alu instid0(VALU_DEP_1) | instskip(NEXT) | instid1(VALU_DEP_1)
	v_dual_lshlrev_b32 v7, v5, v3 :: v_dual_lshlrev_b32 v5, 23, v5
	v_lshrrev_b32_e32 v7, 4, v7
	s_delay_alu instid0(VALU_DEP_1) | instskip(SKIP_1) | instid1(VALU_DEP_2)
	v_sub_nc_u32_e32 v5, v7, v5
	v_ashrrev_i32_e32 v7, 8, v9
	v_add_nc_u32_e32 v5, 0x3c000000, v5
	s_delay_alu instid0(VALU_DEP_1) | instskip(NEXT) | instid1(VALU_DEP_1)
	v_and_or_b32 v5, 0x7f800000, v7, v5
	v_cndmask_b32_e32 v3, 0, v5, vcc_lo
	s_delay_alu instid0(VALU_DEP_1) | instskip(NEXT) | instid1(VALU_DEP_1)
	v_and_or_b32 v1, 0x80000000, v1, v3
	v_cvt_f16_f32_e32 v1, v1
.LBB23_1216:
	s_mov_b32 s11, 0
.LBB23_1217:
	s_delay_alu instid0(SALU_CYCLE_1)
	s_and_not1_b32 vcc_lo, exec_lo, s11
	s_cbranch_vccnz .LBB23_1219
; %bb.1218:
	global_load_u8 v1, v[14:15], off
	s_wait_loadcnt 0x0
	v_lshlrev_b32_e32 v3, 25, v1
	v_lshlrev_b16 v1, 8, v1
	s_delay_alu instid0(VALU_DEP_1) | instskip(SKIP_1) | instid1(VALU_DEP_2)
	v_and_or_b32 v7, 0x7f00, v1, 0.5
	v_bfe_i32 v1, v1, 0, 16
	v_add_f32_e32 v7, -0.5, v7
	v_lshrrev_b32_e32 v5, 4, v3
	v_cmp_gt_u32_e32 vcc_lo, 0x8000000, v3
	s_delay_alu instid0(VALU_DEP_2) | instskip(NEXT) | instid1(VALU_DEP_1)
	v_or_b32_e32 v5, 0x70000000, v5
	v_mul_f32_e32 v5, 0x7800000, v5
	s_delay_alu instid0(VALU_DEP_1) | instskip(NEXT) | instid1(VALU_DEP_1)
	v_cndmask_b32_e32 v3, v5, v7, vcc_lo
	v_and_or_b32 v1, 0x80000000, v1, v3
	s_delay_alu instid0(VALU_DEP_1)
	v_cvt_f16_f32_e32 v1, v1
.LBB23_1219:
	s_mov_b32 s12, -1
	s_mov_b32 s11, 0
	s_cbranch_execnz .LBB23_1230
.LBB23_1220:
	s_cmp_gt_i32 s1, 14
	s_cbranch_scc0 .LBB23_1223
; %bb.1221:
	s_cmp_eq_u32 s1, 15
	s_cbranch_scc0 .LBB23_1226
; %bb.1222:
	global_load_u16 v1, v[14:15], off
	s_mov_b32 s10, 0
	s_mov_b32 s12, -1
	s_wait_loadcnt 0x0
	v_lshlrev_b32_e32 v1, 16, v1
	s_delay_alu instid0(VALU_DEP_1)
	v_cvt_f16_f32_e32 v1, v1
	s_branch .LBB23_1228
.LBB23_1223:
	s_mov_b32 s11, -1
	s_branch .LBB23_1227
.LBB23_1224:
	s_or_saveexec_b32 s12, s12
	v_mov_b32_e32 v1, 0x7e00
	s_xor_b32 exec_lo, exec_lo, s12
	s_cbranch_execz .LBB23_1206
.LBB23_1225:
	v_cmp_ne_u16_e32 vcc_lo, 0, v3
	v_mov_b32_e32 v1, v3
	s_and_not1_b32 s11, s11, exec_lo
	s_and_b32 s13, vcc_lo, exec_lo
	s_delay_alu instid0(SALU_CYCLE_1)
	s_or_b32 s11, s11, s13
	s_or_b32 exec_lo, exec_lo, s12
	s_and_saveexec_b32 s12, s11
	s_cbranch_execnz .LBB23_1207
	s_branch .LBB23_1208
.LBB23_1226:
	s_mov_b32 s10, -1
.LBB23_1227:
                                        ; implicit-def: $vgpr1
.LBB23_1228:
	s_and_b32 vcc_lo, exec_lo, s11
	s_mov_b32 s11, 0
	s_cbranch_vccz .LBB23_1230
; %bb.1229:
	s_cmp_lg_u32 s1, 11
	s_mov_b32 s11, -1
	s_cselect_b32 s10, -1, 0
.LBB23_1230:
	s_delay_alu instid0(SALU_CYCLE_1)
	s_and_b32 vcc_lo, exec_lo, s10
	s_mov_b32 s1, s8
	s_cbranch_vccnz .LBB23_1291
; %bb.1231:
	s_and_not1_b32 vcc_lo, exec_lo, s11
	s_cbranch_vccnz .LBB23_1233
.LBB23_1232:
	global_load_u8 v1, v[14:15], off
	s_mov_b32 s12, -1
	s_wait_loadcnt 0x0
	v_cmp_ne_u16_e32 vcc_lo, 0, v1
	v_cndmask_b32_e64 v1, 0, 0x3c00, vcc_lo
.LBB23_1233:
	s_branch .LBB23_1162
.LBB23_1234:
	s_and_b32 s10, 0xffff, s0
	s_delay_alu instid0(SALU_CYCLE_1)
	s_cmp_lt_i32 s10, 5
	s_cbranch_scc1 .LBB23_1239
; %bb.1235:
	s_cmp_lt_i32 s10, 8
	s_cbranch_scc1 .LBB23_1240
; %bb.1236:
	s_cmp_lt_i32 s10, 9
	s_cbranch_scc1 .LBB23_1241
; %bb.1237:
	s_cmp_gt_i32 s10, 9
	s_cbranch_scc0 .LBB23_1242
; %bb.1238:
	global_load_b64 v[16:17], v[14:15], off
	s_mov_b32 s11, 0
	s_wait_loadcnt 0x0
	v_and_or_b32 v1, 0x1ff, v17, v16
	v_lshrrev_b32_e32 v3, 8, v17
	v_bfe_u32 v5, v17, 20, 11
	s_delay_alu instid0(VALU_DEP_3) | instskip(NEXT) | instid1(VALU_DEP_2)
	v_cmp_ne_u32_e32 vcc_lo, 0, v1
	v_sub_nc_u32_e32 v7, 0x3f1, v5
	v_add_nc_u32_e32 v5, 0xfffffc10, v5
	v_cndmask_b32_e64 v1, 0, 1, vcc_lo
	s_delay_alu instid0(VALU_DEP_1) | instskip(NEXT) | instid1(VALU_DEP_4)
	v_and_or_b32 v1, 0xffe, v3, v1
	v_med3_i32 v3, v7, 0, 13
	s_delay_alu instid0(VALU_DEP_2) | instskip(NEXT) | instid1(VALU_DEP_1)
	v_or_b32_e32 v7, 0x1000, v1
	v_lshrrev_b32_e32 v9, v3, v7
	s_delay_alu instid0(VALU_DEP_1) | instskip(NEXT) | instid1(VALU_DEP_1)
	v_lshlrev_b32_e32 v3, v3, v9
	v_cmp_ne_u32_e32 vcc_lo, v3, v7
	v_lshl_or_b32 v7, v5, 12, v1
	v_cndmask_b32_e64 v3, 0, 1, vcc_lo
	v_cmp_gt_i32_e32 vcc_lo, 1, v5
	s_delay_alu instid0(VALU_DEP_2) | instskip(NEXT) | instid1(VALU_DEP_1)
	v_or_b32_e32 v3, v9, v3
	v_cndmask_b32_e32 v3, v7, v3, vcc_lo
	s_delay_alu instid0(VALU_DEP_1) | instskip(NEXT) | instid1(VALU_DEP_1)
	v_and_b32_e32 v7, 7, v3
	v_cmp_lt_i32_e32 vcc_lo, 5, v7
	v_cndmask_b32_e64 v9, 0, 1, vcc_lo
	v_cmp_eq_u32_e32 vcc_lo, 3, v7
	v_cndmask_b32_e64 v7, 0, 1, vcc_lo
	v_cmp_ne_u32_e32 vcc_lo, 0, v1
	s_delay_alu instid0(VALU_DEP_2) | instskip(SKIP_1) | instid1(VALU_DEP_2)
	v_dual_lshrrev_b32 v3, 2, v3 :: v_dual_bitop2_b32 v7, v7, v9 bitop3:0x54
	v_mov_b32_e32 v9, 0x7e00
	v_add_nc_u32_e32 v3, v3, v7
	s_delay_alu instid0(VALU_DEP_2) | instskip(SKIP_1) | instid1(VALU_DEP_3)
	v_cndmask_b32_e32 v1, 0x7c00, v9, vcc_lo
	v_cmp_gt_i32_e32 vcc_lo, 31, v5
	v_cndmask_b32_e32 v3, 0x7c00, v3, vcc_lo
	v_cmp_eq_u32_e32 vcc_lo, 0x40f, v5
	s_delay_alu instid0(VALU_DEP_2) | instskip(SKIP_1) | instid1(VALU_DEP_1)
	v_cndmask_b32_e32 v1, v3, v1, vcc_lo
	v_lshrrev_b32_e32 v3, 16, v17
	v_and_or_b32 v1, 0x8000, v3, v1
	s_branch .LBB23_1243
.LBB23_1239:
                                        ; implicit-def: $vgpr1
	s_branch .LBB23_1260
.LBB23_1240:
                                        ; implicit-def: $vgpr1
	s_branch .LBB23_1249
.LBB23_1241:
	s_mov_b32 s11, -1
                                        ; implicit-def: $vgpr1
	s_branch .LBB23_1246
.LBB23_1242:
	s_mov_b32 s11, -1
                                        ; implicit-def: $vgpr1
.LBB23_1243:
	s_delay_alu instid0(SALU_CYCLE_1)
	s_and_not1_b32 vcc_lo, exec_lo, s11
	s_cbranch_vccnz .LBB23_1245
; %bb.1244:
	global_load_b32 v1, v[14:15], off
	s_wait_loadcnt 0x0
	v_cvt_f16_f32_e32 v1, v1
.LBB23_1245:
	s_mov_b32 s11, 0
.LBB23_1246:
	s_delay_alu instid0(SALU_CYCLE_1)
	s_and_not1_b32 vcc_lo, exec_lo, s11
	s_cbranch_vccnz .LBB23_1248
; %bb.1247:
	global_load_b32 v1, v[14:15], off
.LBB23_1248:
	s_cbranch_execnz .LBB23_1259
.LBB23_1249:
	s_cmp_lt_i32 s10, 6
	s_cbranch_scc1 .LBB23_1252
; %bb.1250:
	s_cmp_gt_i32 s10, 6
	s_cbranch_scc0 .LBB23_1253
; %bb.1251:
	global_load_b64 v[16:17], v[14:15], off
	s_mov_b32 s11, 0
	s_wait_loadcnt 0x0
	v_and_or_b32 v1, 0x1ff, v17, v16
	v_lshrrev_b32_e32 v3, 8, v17
	v_bfe_u32 v5, v17, 20, 11
	s_delay_alu instid0(VALU_DEP_3) | instskip(NEXT) | instid1(VALU_DEP_2)
	v_cmp_ne_u32_e32 vcc_lo, 0, v1
	v_sub_nc_u32_e32 v7, 0x3f1, v5
	v_add_nc_u32_e32 v5, 0xfffffc10, v5
	v_cndmask_b32_e64 v1, 0, 1, vcc_lo
	s_delay_alu instid0(VALU_DEP_1) | instskip(NEXT) | instid1(VALU_DEP_4)
	v_and_or_b32 v1, 0xffe, v3, v1
	v_med3_i32 v3, v7, 0, 13
	s_delay_alu instid0(VALU_DEP_2) | instskip(NEXT) | instid1(VALU_DEP_1)
	v_or_b32_e32 v7, 0x1000, v1
	v_lshrrev_b32_e32 v9, v3, v7
	s_delay_alu instid0(VALU_DEP_1) | instskip(NEXT) | instid1(VALU_DEP_1)
	v_lshlrev_b32_e32 v3, v3, v9
	v_cmp_ne_u32_e32 vcc_lo, v3, v7
	v_lshl_or_b32 v7, v5, 12, v1
	v_cndmask_b32_e64 v3, 0, 1, vcc_lo
	v_cmp_gt_i32_e32 vcc_lo, 1, v5
	s_delay_alu instid0(VALU_DEP_2) | instskip(NEXT) | instid1(VALU_DEP_1)
	v_or_b32_e32 v3, v9, v3
	v_cndmask_b32_e32 v3, v7, v3, vcc_lo
	s_delay_alu instid0(VALU_DEP_1) | instskip(NEXT) | instid1(VALU_DEP_1)
	v_and_b32_e32 v7, 7, v3
	v_cmp_lt_i32_e32 vcc_lo, 5, v7
	v_cndmask_b32_e64 v9, 0, 1, vcc_lo
	v_cmp_eq_u32_e32 vcc_lo, 3, v7
	v_cndmask_b32_e64 v7, 0, 1, vcc_lo
	v_cmp_ne_u32_e32 vcc_lo, 0, v1
	s_delay_alu instid0(VALU_DEP_2) | instskip(SKIP_1) | instid1(VALU_DEP_2)
	v_dual_lshrrev_b32 v3, 2, v3 :: v_dual_bitop2_b32 v7, v7, v9 bitop3:0x54
	v_mov_b32_e32 v9, 0x7e00
	v_add_nc_u32_e32 v3, v3, v7
	s_delay_alu instid0(VALU_DEP_2) | instskip(SKIP_1) | instid1(VALU_DEP_3)
	v_cndmask_b32_e32 v1, 0x7c00, v9, vcc_lo
	v_cmp_gt_i32_e32 vcc_lo, 31, v5
	v_cndmask_b32_e32 v3, 0x7c00, v3, vcc_lo
	v_cmp_eq_u32_e32 vcc_lo, 0x40f, v5
	s_delay_alu instid0(VALU_DEP_2) | instskip(SKIP_1) | instid1(VALU_DEP_1)
	v_cndmask_b32_e32 v1, v3, v1, vcc_lo
	v_lshrrev_b32_e32 v3, 16, v17
	v_and_or_b32 v1, 0x8000, v3, v1
	s_branch .LBB23_1254
.LBB23_1252:
	s_mov_b32 s11, -1
                                        ; implicit-def: $vgpr1
	s_branch .LBB23_1257
.LBB23_1253:
	s_mov_b32 s11, -1
                                        ; implicit-def: $vgpr1
.LBB23_1254:
	s_delay_alu instid0(SALU_CYCLE_1)
	s_and_not1_b32 vcc_lo, exec_lo, s11
	s_cbranch_vccnz .LBB23_1256
; %bb.1255:
	s_wait_loadcnt 0x0
	global_load_b32 v1, v[14:15], off
	s_wait_loadcnt 0x0
	v_cvt_f16_f32_e32 v1, v1
.LBB23_1256:
	s_mov_b32 s11, 0
.LBB23_1257:
	s_delay_alu instid0(SALU_CYCLE_1)
	s_and_not1_b32 vcc_lo, exec_lo, s11
	s_cbranch_vccnz .LBB23_1259
; %bb.1258:
	s_wait_loadcnt 0x0
	global_load_u16 v1, v[14:15], off
.LBB23_1259:
	s_cbranch_execnz .LBB23_1278
.LBB23_1260:
	s_cmp_lt_i32 s10, 2
	s_cbranch_scc1 .LBB23_1264
; %bb.1261:
	s_cmp_lt_i32 s10, 3
	s_cbranch_scc1 .LBB23_1265
; %bb.1262:
	s_cmp_gt_i32 s10, 3
	s_cbranch_scc0 .LBB23_1266
; %bb.1263:
	global_load_b64 v[16:17], v[14:15], off
	s_mov_b32 s11, 0
	s_wait_loadcnt 0x0
	v_xor_b32_e32 v1, v16, v17
	v_cls_i32_e32 v3, v17
	s_delay_alu instid0(VALU_DEP_2) | instskip(NEXT) | instid1(VALU_DEP_1)
	v_ashrrev_i32_e32 v1, 31, v1
	v_add_nc_u32_e32 v1, 32, v1
	s_delay_alu instid0(VALU_DEP_1) | instskip(NEXT) | instid1(VALU_DEP_1)
	v_add_min_u32_e64 v1, v3, -1, v1
	v_lshlrev_b64_e32 v[16:17], v1, v[16:17]
	v_sub_nc_u32_e32 v1, 32, v1
	s_delay_alu instid0(VALU_DEP_2) | instskip(NEXT) | instid1(VALU_DEP_1)
	v_min_u32_e32 v3, 1, v16
	v_or_b32_e32 v3, v17, v3
	s_delay_alu instid0(VALU_DEP_1) | instskip(NEXT) | instid1(VALU_DEP_1)
	v_cvt_f32_i32_e32 v3, v3
	v_ldexp_f32 v1, v3, v1
	s_delay_alu instid0(VALU_DEP_1)
	v_cvt_f16_f32_e32 v1, v1
	s_branch .LBB23_1267
.LBB23_1264:
                                        ; implicit-def: $vgpr1
	s_branch .LBB23_1273
.LBB23_1265:
	s_mov_b32 s11, -1
                                        ; implicit-def: $vgpr1
	s_branch .LBB23_1270
.LBB23_1266:
	s_mov_b32 s11, -1
                                        ; implicit-def: $vgpr1
.LBB23_1267:
	s_delay_alu instid0(SALU_CYCLE_1)
	s_and_not1_b32 vcc_lo, exec_lo, s11
	s_cbranch_vccnz .LBB23_1269
; %bb.1268:
	s_wait_loadcnt 0x0
	global_load_b32 v1, v[14:15], off
	s_wait_loadcnt 0x0
	v_cvt_f32_i32_e32 v1, v1
	s_delay_alu instid0(VALU_DEP_1)
	v_cvt_f16_f32_e32 v1, v1
.LBB23_1269:
	s_mov_b32 s11, 0
.LBB23_1270:
	s_delay_alu instid0(SALU_CYCLE_1)
	s_and_not1_b32 vcc_lo, exec_lo, s11
	s_cbranch_vccnz .LBB23_1272
; %bb.1271:
	s_wait_loadcnt 0x0
	global_load_u16 v1, v[14:15], off
	s_wait_loadcnt 0x0
	v_cvt_f16_i16_e32 v1, v1
.LBB23_1272:
	s_cbranch_execnz .LBB23_1278
.LBB23_1273:
	s_cmp_gt_i32 s10, 0
	s_mov_b32 s10, 0
	s_cbranch_scc0 .LBB23_1275
; %bb.1274:
	s_wait_loadcnt 0x0
	global_load_i8 v1, v[14:15], off
	s_wait_loadcnt 0x0
	v_cvt_f16_i16_e32 v1, v1
	s_branch .LBB23_1276
.LBB23_1275:
	s_mov_b32 s10, -1
                                        ; implicit-def: $vgpr1
.LBB23_1276:
	s_delay_alu instid0(SALU_CYCLE_1)
	s_and_not1_b32 vcc_lo, exec_lo, s10
	s_cbranch_vccnz .LBB23_1278
; %bb.1277:
	s_wait_loadcnt 0x0
	global_load_u8 v1, v[14:15], off
	s_wait_loadcnt 0x0
	v_cvt_f16_u16_e32 v1, v1
.LBB23_1278:
.LBB23_1279:
	v_mov_b32_e32 v13, 0
	s_and_b32 s0, 0xffff, s0
	s_delay_alu instid0(SALU_CYCLE_1) | instskip(NEXT) | instid1(VALU_DEP_1)
	s_cmp_lt_i32 s0, 11
	v_add_nc_u64_e32 v[12:13], s[6:7], v[12:13]
	s_cbranch_scc1 .LBB23_1286
; %bb.1280:
	s_cmp_gt_i32 s0, 25
	s_mov_b32 s11, 0
	s_cbranch_scc0 .LBB23_1288
; %bb.1281:
	s_cmp_gt_i32 s0, 28
	s_cbranch_scc0 .LBB23_1289
; %bb.1282:
	s_cmp_gt_i32 s0, 43
	;; [unrolled: 3-line block ×3, first 2 shown]
	s_cbranch_scc0 .LBB23_1292
; %bb.1284:
	s_cmp_eq_u32 s0, 46
	s_mov_b32 s13, 0
	s_cbranch_scc0 .LBB23_1295
; %bb.1285:
	global_load_b32 v3, v[12:13], off
	s_mov_b32 s10, 0
	s_mov_b32 s12, -1
	s_wait_loadcnt 0x0
	v_lshlrev_b32_e32 v3, 16, v3
	s_delay_alu instid0(VALU_DEP_1)
	v_cvt_f16_f32_e32 v3, v3
	s_branch .LBB23_1297
.LBB23_1286:
	s_mov_b32 s12, 0
                                        ; implicit-def: $vgpr3
	s_cbranch_execnz .LBB23_1362
.LBB23_1287:
	s_and_not1_b32 vcc_lo, exec_lo, s12
	s_cbranch_vccz .LBB23_1409
	s_branch .LBB23_2100
.LBB23_1288:
	s_mov_b32 s12, 0
	s_mov_b32 s10, 0
                                        ; implicit-def: $vgpr3
	s_cbranch_execnz .LBB23_1326
	s_branch .LBB23_1358
.LBB23_1289:
	s_mov_b32 s13, -1
	s_mov_b32 s12, 0
	s_mov_b32 s10, 0
                                        ; implicit-def: $vgpr3
	s_branch .LBB23_1307
.LBB23_1290:
	s_mov_b32 s13, -1
	s_mov_b32 s12, 0
	s_mov_b32 s10, 0
                                        ; implicit-def: $vgpr3
	s_branch .LBB23_1302
.LBB23_1291:
	s_or_b32 s1, s8, exec_lo
	s_trap 2
	s_cbranch_execz .LBB23_1232
	s_branch .LBB23_1233
.LBB23_1292:
	s_mov_b32 s13, -1
	s_mov_b32 s12, 0
	s_mov_b32 s10, 0
	s_branch .LBB23_1296
.LBB23_1293:
	s_and_not1_saveexec_b32 s10, s10
	s_cbranch_execz .LBB23_1015
.LBB23_1294:
	v_add_f32_e64 v4, 0x42800000, |v2|
	s_and_not1_b32 s9, s9, exec_lo
	s_delay_alu instid0(VALU_DEP_1) | instskip(NEXT) | instid1(VALU_DEP_1)
	v_and_b32_e32 v4, 0xff, v4
	v_cmp_ne_u32_e32 vcc_lo, 0, v4
	s_and_b32 s11, vcc_lo, exec_lo
	s_delay_alu instid0(SALU_CYCLE_1)
	s_or_b32 s9, s9, s11
	s_or_b32 exec_lo, exec_lo, s10
	v_mov_b32_e32 v5, 0
	s_and_saveexec_b32 s10, s9
	s_cbranch_execnz .LBB23_1016
	s_branch .LBB23_1017
.LBB23_1295:
	s_mov_b32 s10, -1
	s_mov_b32 s12, 0
.LBB23_1296:
                                        ; implicit-def: $vgpr3
.LBB23_1297:
	s_and_b32 vcc_lo, exec_lo, s13
	s_cbranch_vccz .LBB23_1301
; %bb.1298:
	s_cmp_eq_u32 s0, 44
	s_cbranch_scc0 .LBB23_1300
; %bb.1299:
	global_load_u8 v3, v[12:13], off
	s_mov_b32 s10, 0
	s_mov_b32 s12, -1
	s_wait_loadcnt 0x0
	v_lshlrev_b32_e32 v5, 23, v3
	v_cmp_ne_u32_e32 vcc_lo, 0xff, v3
	s_delay_alu instid0(VALU_DEP_2) | instskip(NEXT) | instid1(VALU_DEP_1)
	v_cvt_f16_f32_e32 v5, v5
	v_cndmask_b32_e32 v5, 0x7e00, v5, vcc_lo
	v_cmp_ne_u32_e32 vcc_lo, 0, v3
	s_delay_alu instid0(VALU_DEP_2)
	v_cndmask_b32_e32 v3, 0, v5, vcc_lo
	s_branch .LBB23_1301
.LBB23_1300:
	s_mov_b32 s10, -1
                                        ; implicit-def: $vgpr3
.LBB23_1301:
	s_mov_b32 s13, 0
.LBB23_1302:
	s_delay_alu instid0(SALU_CYCLE_1)
	s_and_b32 vcc_lo, exec_lo, s13
	s_cbranch_vccz .LBB23_1306
; %bb.1303:
	s_cmp_eq_u32 s0, 29
	s_cbranch_scc0 .LBB23_1305
; %bb.1304:
	global_load_b64 v[14:15], v[12:13], off
	s_mov_b32 s10, 0
	s_mov_b32 s12, -1
	s_mov_b32 s13, 0
	s_wait_loadcnt 0x0
	v_clz_i32_u32_e32 v3, v15
	s_delay_alu instid0(VALU_DEP_1) | instskip(NEXT) | instid1(VALU_DEP_1)
	v_min_u32_e32 v3, 32, v3
	v_lshlrev_b64_e32 v[14:15], v3, v[14:15]
	v_sub_nc_u32_e32 v3, 32, v3
	s_delay_alu instid0(VALU_DEP_2) | instskip(NEXT) | instid1(VALU_DEP_1)
	v_min_u32_e32 v5, 1, v14
	v_or_b32_e32 v5, v15, v5
	s_delay_alu instid0(VALU_DEP_1) | instskip(NEXT) | instid1(VALU_DEP_1)
	v_cvt_f32_u32_e32 v5, v5
	v_ldexp_f32 v3, v5, v3
	s_delay_alu instid0(VALU_DEP_1)
	v_cvt_f16_f32_e32 v3, v3
	s_branch .LBB23_1307
.LBB23_1305:
	s_mov_b32 s10, -1
                                        ; implicit-def: $vgpr3
.LBB23_1306:
	s_mov_b32 s13, 0
.LBB23_1307:
	s_delay_alu instid0(SALU_CYCLE_1)
	s_and_b32 vcc_lo, exec_lo, s13
	s_cbranch_vccz .LBB23_1325
; %bb.1308:
	s_cmp_lt_i32 s0, 27
	s_cbranch_scc1 .LBB23_1311
; %bb.1309:
	s_cmp_gt_i32 s0, 27
	s_cbranch_scc0 .LBB23_1312
; %bb.1310:
	global_load_b32 v3, v[12:13], off
	s_mov_b32 s12, 0
	s_wait_loadcnt 0x0
	v_cvt_f32_u32_e32 v3, v3
	s_delay_alu instid0(VALU_DEP_1)
	v_cvt_f16_f32_e32 v3, v3
	s_branch .LBB23_1313
.LBB23_1311:
	s_mov_b32 s12, -1
                                        ; implicit-def: $vgpr3
	s_branch .LBB23_1316
.LBB23_1312:
	s_mov_b32 s12, -1
                                        ; implicit-def: $vgpr3
.LBB23_1313:
	s_delay_alu instid0(SALU_CYCLE_1)
	s_and_not1_b32 vcc_lo, exec_lo, s12
	s_cbranch_vccnz .LBB23_1315
; %bb.1314:
	global_load_u16 v3, v[12:13], off
	s_wait_loadcnt 0x0
	v_cvt_f16_u16_e32 v3, v3
.LBB23_1315:
	s_mov_b32 s12, 0
.LBB23_1316:
	s_delay_alu instid0(SALU_CYCLE_1)
	s_and_not1_b32 vcc_lo, exec_lo, s12
	s_cbranch_vccnz .LBB23_1324
; %bb.1317:
	global_load_u8 v5, v[12:13], off
	s_mov_b32 s12, 0
	s_mov_b32 s13, exec_lo
	s_wait_loadcnt 0x0
	v_cmpx_lt_i16_e32 0x7f, v5
	s_xor_b32 s13, exec_lo, s13
	s_cbranch_execz .LBB23_1337
; %bb.1318:
	s_mov_b32 s12, -1
	s_mov_b32 s14, exec_lo
	v_cmpx_eq_u16_e32 0x80, v5
; %bb.1319:
	s_xor_b32 s12, exec_lo, -1
; %bb.1320:
	s_or_b32 exec_lo, exec_lo, s14
	s_delay_alu instid0(SALU_CYCLE_1)
	s_and_b32 s12, s12, exec_lo
	s_or_saveexec_b32 s13, s13
	v_mov_b32_e32 v3, 0x7e00
	s_xor_b32 exec_lo, exec_lo, s13
	s_cbranch_execnz .LBB23_1338
.LBB23_1321:
	s_or_b32 exec_lo, exec_lo, s13
	s_and_saveexec_b32 s13, s12
	s_cbranch_execz .LBB23_1323
.LBB23_1322:
	v_and_b32_e32 v3, 0xffff, v5
	s_delay_alu instid0(VALU_DEP_1) | instskip(SKIP_1) | instid1(VALU_DEP_2)
	v_and_b32_e32 v7, 7, v3
	v_bfe_u32 v14, v3, 3, 4
	v_clz_i32_u32_e32 v9, v7
	s_delay_alu instid0(VALU_DEP_2) | instskip(NEXT) | instid1(VALU_DEP_2)
	v_cmp_eq_u32_e32 vcc_lo, 0, v14
	v_min_u32_e32 v9, 32, v9
	s_delay_alu instid0(VALU_DEP_1) | instskip(NEXT) | instid1(VALU_DEP_1)
	v_subrev_nc_u32_e32 v11, 28, v9
	v_dual_lshlrev_b32 v3, v11, v3 :: v_dual_sub_nc_u32 v9, 29, v9
	s_delay_alu instid0(VALU_DEP_1) | instskip(NEXT) | instid1(VALU_DEP_1)
	v_dual_lshlrev_b32 v5, 24, v5 :: v_dual_bitop2_b32 v3, 7, v3 bitop3:0x40
	v_dual_cndmask_b32 v3, v7, v3, vcc_lo :: v_dual_cndmask_b32 v9, v14, v9, vcc_lo
	s_delay_alu instid0(VALU_DEP_2) | instskip(NEXT) | instid1(VALU_DEP_2)
	v_and_b32_e32 v5, 0x80000000, v5
	v_lshlrev_b32_e32 v3, 20, v3
	s_delay_alu instid0(VALU_DEP_3) | instskip(NEXT) | instid1(VALU_DEP_1)
	v_lshl_add_u32 v7, v9, 23, 0x3b800000
	v_or3_b32 v3, v5, v7, v3
	s_delay_alu instid0(VALU_DEP_1)
	v_cvt_f16_f32_e32 v3, v3
.LBB23_1323:
	s_or_b32 exec_lo, exec_lo, s13
.LBB23_1324:
	s_mov_b32 s12, -1
.LBB23_1325:
	s_branch .LBB23_1358
.LBB23_1326:
	s_cmp_gt_i32 s0, 22
	s_cbranch_scc0 .LBB23_1336
; %bb.1327:
	s_cmp_lt_i32 s0, 24
	s_cbranch_scc1 .LBB23_1339
; %bb.1328:
	s_cmp_gt_i32 s0, 24
	s_cbranch_scc0 .LBB23_1340
; %bb.1329:
	global_load_u8 v5, v[12:13], off
	s_mov_b32 s12, exec_lo
	s_wait_loadcnt 0x0
	v_cmpx_lt_i16_e32 0x7f, v5
	s_xor_b32 s12, exec_lo, s12
	s_cbranch_execz .LBB23_1352
; %bb.1330:
	s_mov_b32 s11, -1
	s_mov_b32 s13, exec_lo
	v_cmpx_eq_u16_e32 0x80, v5
; %bb.1331:
	s_xor_b32 s11, exec_lo, -1
; %bb.1332:
	s_or_b32 exec_lo, exec_lo, s13
	s_delay_alu instid0(SALU_CYCLE_1)
	s_and_b32 s11, s11, exec_lo
	s_or_saveexec_b32 s12, s12
	v_mov_b32_e32 v3, 0x7e00
	s_xor_b32 exec_lo, exec_lo, s12
	s_cbranch_execnz .LBB23_1353
.LBB23_1333:
	s_or_b32 exec_lo, exec_lo, s12
	s_and_saveexec_b32 s12, s11
	s_cbranch_execz .LBB23_1335
.LBB23_1334:
	v_and_b32_e32 v3, 0xffff, v5
	s_delay_alu instid0(VALU_DEP_1) | instskip(SKIP_1) | instid1(VALU_DEP_2)
	v_and_b32_e32 v7, 3, v3
	v_bfe_u32 v14, v3, 2, 5
	v_clz_i32_u32_e32 v9, v7
	s_delay_alu instid0(VALU_DEP_2) | instskip(NEXT) | instid1(VALU_DEP_2)
	v_cmp_eq_u32_e32 vcc_lo, 0, v14
	v_min_u32_e32 v9, 32, v9
	s_delay_alu instid0(VALU_DEP_1) | instskip(NEXT) | instid1(VALU_DEP_1)
	v_subrev_nc_u32_e32 v11, 29, v9
	v_dual_lshlrev_b32 v3, v11, v3 :: v_dual_sub_nc_u32 v9, 30, v9
	s_delay_alu instid0(VALU_DEP_1) | instskip(NEXT) | instid1(VALU_DEP_1)
	v_dual_lshlrev_b32 v5, 24, v5 :: v_dual_bitop2_b32 v3, 3, v3 bitop3:0x40
	v_dual_cndmask_b32 v3, v7, v3, vcc_lo :: v_dual_cndmask_b32 v9, v14, v9, vcc_lo
	s_delay_alu instid0(VALU_DEP_2) | instskip(NEXT) | instid1(VALU_DEP_2)
	v_and_b32_e32 v5, 0x80000000, v5
	v_lshlrev_b32_e32 v3, 21, v3
	s_delay_alu instid0(VALU_DEP_3) | instskip(NEXT) | instid1(VALU_DEP_1)
	v_lshl_add_u32 v7, v9, 23, 0x37800000
	v_or3_b32 v3, v5, v7, v3
	s_delay_alu instid0(VALU_DEP_1)
	v_cvt_f16_f32_e32 v3, v3
.LBB23_1335:
	s_or_b32 exec_lo, exec_lo, s12
	s_mov_b32 s11, 0
	s_branch .LBB23_1341
.LBB23_1336:
	s_mov_b32 s11, -1
                                        ; implicit-def: $vgpr3
	s_branch .LBB23_1347
.LBB23_1337:
	s_or_saveexec_b32 s13, s13
	v_mov_b32_e32 v3, 0x7e00
	s_xor_b32 exec_lo, exec_lo, s13
	s_cbranch_execz .LBB23_1321
.LBB23_1338:
	v_cmp_ne_u16_e32 vcc_lo, 0, v5
	v_mov_b32_e32 v3, v5
	s_and_not1_b32 s12, s12, exec_lo
	s_and_b32 s14, vcc_lo, exec_lo
	s_delay_alu instid0(SALU_CYCLE_1)
	s_or_b32 s12, s12, s14
	s_or_b32 exec_lo, exec_lo, s13
	s_and_saveexec_b32 s13, s12
	s_cbranch_execnz .LBB23_1322
	s_branch .LBB23_1323
.LBB23_1339:
	s_mov_b32 s11, -1
                                        ; implicit-def: $vgpr3
	s_branch .LBB23_1344
.LBB23_1340:
	s_mov_b32 s11, -1
                                        ; implicit-def: $vgpr3
.LBB23_1341:
	s_delay_alu instid0(SALU_CYCLE_1)
	s_and_b32 vcc_lo, exec_lo, s11
	s_cbranch_vccz .LBB23_1343
; %bb.1342:
	global_load_u8 v3, v[12:13], off
	s_wait_loadcnt 0x0
	v_lshlrev_b32_e32 v3, 24, v3
	s_delay_alu instid0(VALU_DEP_1) | instskip(NEXT) | instid1(VALU_DEP_1)
	v_and_b32_e32 v5, 0x7f000000, v3
	v_clz_i32_u32_e32 v7, v5
	v_add_nc_u32_e32 v11, 0x1000000, v5
	v_cmp_ne_u32_e32 vcc_lo, 0, v5
	s_delay_alu instid0(VALU_DEP_3) | instskip(NEXT) | instid1(VALU_DEP_1)
	v_min_u32_e32 v7, 32, v7
	v_sub_nc_u32_e64 v7, v7, 4 clamp
	s_delay_alu instid0(VALU_DEP_1) | instskip(NEXT) | instid1(VALU_DEP_1)
	v_dual_lshlrev_b32 v9, v7, v5 :: v_dual_lshlrev_b32 v7, 23, v7
	v_lshrrev_b32_e32 v9, 4, v9
	s_delay_alu instid0(VALU_DEP_1) | instskip(SKIP_1) | instid1(VALU_DEP_2)
	v_sub_nc_u32_e32 v7, v9, v7
	v_ashrrev_i32_e32 v9, 8, v11
	v_add_nc_u32_e32 v7, 0x3c000000, v7
	s_delay_alu instid0(VALU_DEP_1) | instskip(NEXT) | instid1(VALU_DEP_1)
	v_and_or_b32 v7, 0x7f800000, v9, v7
	v_cndmask_b32_e32 v5, 0, v7, vcc_lo
	s_delay_alu instid0(VALU_DEP_1) | instskip(NEXT) | instid1(VALU_DEP_1)
	v_and_or_b32 v3, 0x80000000, v3, v5
	v_cvt_f16_f32_e32 v3, v3
.LBB23_1343:
	s_mov_b32 s11, 0
.LBB23_1344:
	s_delay_alu instid0(SALU_CYCLE_1)
	s_and_not1_b32 vcc_lo, exec_lo, s11
	s_cbranch_vccnz .LBB23_1346
; %bb.1345:
	global_load_u8 v3, v[12:13], off
	s_wait_loadcnt 0x0
	v_lshlrev_b32_e32 v5, 25, v3
	v_lshlrev_b16 v3, 8, v3
	s_delay_alu instid0(VALU_DEP_1) | instskip(SKIP_1) | instid1(VALU_DEP_2)
	v_and_or_b32 v9, 0x7f00, v3, 0.5
	v_bfe_i32 v3, v3, 0, 16
	v_add_f32_e32 v9, -0.5, v9
	v_lshrrev_b32_e32 v7, 4, v5
	v_cmp_gt_u32_e32 vcc_lo, 0x8000000, v5
	s_delay_alu instid0(VALU_DEP_2) | instskip(NEXT) | instid1(VALU_DEP_1)
	v_or_b32_e32 v7, 0x70000000, v7
	v_mul_f32_e32 v7, 0x7800000, v7
	s_delay_alu instid0(VALU_DEP_1) | instskip(NEXT) | instid1(VALU_DEP_1)
	v_cndmask_b32_e32 v5, v7, v9, vcc_lo
	v_and_or_b32 v3, 0x80000000, v3, v5
	s_delay_alu instid0(VALU_DEP_1)
	v_cvt_f16_f32_e32 v3, v3
.LBB23_1346:
	s_mov_b32 s11, 0
	s_mov_b32 s12, -1
.LBB23_1347:
	s_and_not1_b32 vcc_lo, exec_lo, s11
	s_mov_b32 s11, 0
	s_cbranch_vccnz .LBB23_1358
; %bb.1348:
	s_cmp_gt_i32 s0, 14
	s_cbranch_scc0 .LBB23_1351
; %bb.1349:
	s_cmp_eq_u32 s0, 15
	s_cbranch_scc0 .LBB23_1354
; %bb.1350:
	global_load_u16 v3, v[12:13], off
	s_mov_b32 s10, 0
	s_mov_b32 s12, -1
	s_wait_loadcnt 0x0
	v_lshlrev_b32_e32 v3, 16, v3
	s_delay_alu instid0(VALU_DEP_1)
	v_cvt_f16_f32_e32 v3, v3
	s_branch .LBB23_1356
.LBB23_1351:
	s_mov_b32 s11, -1
	s_branch .LBB23_1355
.LBB23_1352:
	s_or_saveexec_b32 s12, s12
	v_mov_b32_e32 v3, 0x7e00
	s_xor_b32 exec_lo, exec_lo, s12
	s_cbranch_execz .LBB23_1333
.LBB23_1353:
	v_cmp_ne_u16_e32 vcc_lo, 0, v5
	v_mov_b32_e32 v3, v5
	s_and_not1_b32 s11, s11, exec_lo
	s_and_b32 s13, vcc_lo, exec_lo
	s_delay_alu instid0(SALU_CYCLE_1)
	s_or_b32 s11, s11, s13
	s_or_b32 exec_lo, exec_lo, s12
	s_and_saveexec_b32 s12, s11
	s_cbranch_execnz .LBB23_1334
	s_branch .LBB23_1335
.LBB23_1354:
	s_mov_b32 s10, -1
.LBB23_1355:
                                        ; implicit-def: $vgpr3
.LBB23_1356:
	s_and_b32 vcc_lo, exec_lo, s11
	s_mov_b32 s11, 0
	s_cbranch_vccz .LBB23_1358
; %bb.1357:
	s_cmp_lg_u32 s0, 11
	s_mov_b32 s11, -1
	s_cselect_b32 s10, -1, 0
.LBB23_1358:
	s_delay_alu instid0(SALU_CYCLE_1)
	s_and_b32 vcc_lo, exec_lo, s10
	s_cbranch_vccnz .LBB23_1421
; %bb.1359:
	s_and_not1_b32 vcc_lo, exec_lo, s11
	s_cbranch_vccnz .LBB23_1361
.LBB23_1360:
	global_load_u8 v3, v[12:13], off
	s_mov_b32 s12, -1
	s_wait_loadcnt 0x0
	v_cmp_ne_u16_e32 vcc_lo, 0, v3
	v_cndmask_b32_e64 v3, 0, 0x3c00, vcc_lo
.LBB23_1361:
	s_branch .LBB23_1287
.LBB23_1362:
	s_cmp_lt_i32 s0, 5
	s_cbranch_scc1 .LBB23_1367
; %bb.1363:
	s_cmp_lt_i32 s0, 8
	s_cbranch_scc1 .LBB23_1368
; %bb.1364:
	;; [unrolled: 3-line block ×3, first 2 shown]
	s_cmp_gt_i32 s0, 9
	s_cbranch_scc0 .LBB23_1370
; %bb.1366:
	global_load_b64 v[14:15], v[12:13], off
	s_mov_b32 s10, 0
	s_wait_loadcnt 0x0
	v_and_or_b32 v3, 0x1ff, v15, v14
	v_lshrrev_b32_e32 v5, 8, v15
	v_bfe_u32 v7, v15, 20, 11
	s_delay_alu instid0(VALU_DEP_3) | instskip(NEXT) | instid1(VALU_DEP_2)
	v_cmp_ne_u32_e32 vcc_lo, 0, v3
	v_sub_nc_u32_e32 v9, 0x3f1, v7
	v_add_nc_u32_e32 v7, 0xfffffc10, v7
	v_cndmask_b32_e64 v3, 0, 1, vcc_lo
	s_delay_alu instid0(VALU_DEP_1) | instskip(NEXT) | instid1(VALU_DEP_4)
	v_and_or_b32 v3, 0xffe, v5, v3
	v_med3_i32 v5, v9, 0, 13
	s_delay_alu instid0(VALU_DEP_2) | instskip(NEXT) | instid1(VALU_DEP_1)
	v_or_b32_e32 v9, 0x1000, v3
	v_lshrrev_b32_e32 v11, v5, v9
	s_delay_alu instid0(VALU_DEP_1) | instskip(NEXT) | instid1(VALU_DEP_1)
	v_lshlrev_b32_e32 v5, v5, v11
	v_cmp_ne_u32_e32 vcc_lo, v5, v9
	v_lshl_or_b32 v9, v7, 12, v3
	v_cndmask_b32_e64 v5, 0, 1, vcc_lo
	v_cmp_gt_i32_e32 vcc_lo, 1, v7
	s_delay_alu instid0(VALU_DEP_2) | instskip(NEXT) | instid1(VALU_DEP_1)
	v_or_b32_e32 v5, v11, v5
	v_cndmask_b32_e32 v5, v9, v5, vcc_lo
	s_delay_alu instid0(VALU_DEP_1) | instskip(NEXT) | instid1(VALU_DEP_1)
	v_and_b32_e32 v9, 7, v5
	v_cmp_lt_i32_e32 vcc_lo, 5, v9
	v_cndmask_b32_e64 v11, 0, 1, vcc_lo
	v_cmp_eq_u32_e32 vcc_lo, 3, v9
	v_cndmask_b32_e64 v9, 0, 1, vcc_lo
	v_cmp_ne_u32_e32 vcc_lo, 0, v3
	s_delay_alu instid0(VALU_DEP_2) | instskip(SKIP_1) | instid1(VALU_DEP_2)
	v_dual_lshrrev_b32 v5, 2, v5 :: v_dual_bitop2_b32 v9, v9, v11 bitop3:0x54
	v_mov_b32_e32 v11, 0x7e00
	v_add_nc_u32_e32 v5, v5, v9
	s_delay_alu instid0(VALU_DEP_2) | instskip(SKIP_1) | instid1(VALU_DEP_3)
	v_cndmask_b32_e32 v3, 0x7c00, v11, vcc_lo
	v_cmp_gt_i32_e32 vcc_lo, 31, v7
	v_cndmask_b32_e32 v5, 0x7c00, v5, vcc_lo
	v_cmp_eq_u32_e32 vcc_lo, 0x40f, v7
	s_delay_alu instid0(VALU_DEP_2) | instskip(SKIP_1) | instid1(VALU_DEP_1)
	v_cndmask_b32_e32 v3, v5, v3, vcc_lo
	v_lshrrev_b32_e32 v5, 16, v15
	v_and_or_b32 v3, 0x8000, v5, v3
	s_branch .LBB23_1371
.LBB23_1367:
                                        ; implicit-def: $vgpr3
	s_branch .LBB23_1389
.LBB23_1368:
	s_mov_b32 s10, -1
                                        ; implicit-def: $vgpr3
	s_branch .LBB23_1377
.LBB23_1369:
	s_mov_b32 s10, -1
                                        ; implicit-def: $vgpr3
	s_branch .LBB23_1374
.LBB23_1370:
	s_mov_b32 s10, -1
                                        ; implicit-def: $vgpr3
.LBB23_1371:
	s_delay_alu instid0(SALU_CYCLE_1)
	s_and_not1_b32 vcc_lo, exec_lo, s10
	s_cbranch_vccnz .LBB23_1373
; %bb.1372:
	global_load_b32 v3, v[12:13], off
	s_wait_loadcnt 0x0
	v_cvt_f16_f32_e32 v3, v3
.LBB23_1373:
	s_mov_b32 s10, 0
.LBB23_1374:
	s_delay_alu instid0(SALU_CYCLE_1)
	s_and_not1_b32 vcc_lo, exec_lo, s10
	s_cbranch_vccnz .LBB23_1376
; %bb.1375:
	global_load_b32 v3, v[12:13], off
.LBB23_1376:
	s_mov_b32 s10, 0
.LBB23_1377:
	s_delay_alu instid0(SALU_CYCLE_1)
	s_and_not1_b32 vcc_lo, exec_lo, s10
	s_cbranch_vccnz .LBB23_1388
; %bb.1378:
	s_cmp_lt_i32 s0, 6
	s_cbranch_scc1 .LBB23_1381
; %bb.1379:
	s_cmp_gt_i32 s0, 6
	s_cbranch_scc0 .LBB23_1382
; %bb.1380:
	global_load_b64 v[14:15], v[12:13], off
	s_mov_b32 s10, 0
	s_wait_loadcnt 0x0
	v_and_or_b32 v3, 0x1ff, v15, v14
	v_lshrrev_b32_e32 v5, 8, v15
	v_bfe_u32 v7, v15, 20, 11
	s_delay_alu instid0(VALU_DEP_3) | instskip(NEXT) | instid1(VALU_DEP_2)
	v_cmp_ne_u32_e32 vcc_lo, 0, v3
	v_sub_nc_u32_e32 v9, 0x3f1, v7
	v_add_nc_u32_e32 v7, 0xfffffc10, v7
	v_cndmask_b32_e64 v3, 0, 1, vcc_lo
	s_delay_alu instid0(VALU_DEP_1) | instskip(NEXT) | instid1(VALU_DEP_4)
	v_and_or_b32 v3, 0xffe, v5, v3
	v_med3_i32 v5, v9, 0, 13
	s_delay_alu instid0(VALU_DEP_2) | instskip(NEXT) | instid1(VALU_DEP_1)
	v_or_b32_e32 v9, 0x1000, v3
	v_lshrrev_b32_e32 v11, v5, v9
	s_delay_alu instid0(VALU_DEP_1) | instskip(NEXT) | instid1(VALU_DEP_1)
	v_lshlrev_b32_e32 v5, v5, v11
	v_cmp_ne_u32_e32 vcc_lo, v5, v9
	v_lshl_or_b32 v9, v7, 12, v3
	v_cndmask_b32_e64 v5, 0, 1, vcc_lo
	v_cmp_gt_i32_e32 vcc_lo, 1, v7
	s_delay_alu instid0(VALU_DEP_2) | instskip(NEXT) | instid1(VALU_DEP_1)
	v_or_b32_e32 v5, v11, v5
	v_cndmask_b32_e32 v5, v9, v5, vcc_lo
	s_delay_alu instid0(VALU_DEP_1) | instskip(NEXT) | instid1(VALU_DEP_1)
	v_and_b32_e32 v9, 7, v5
	v_cmp_lt_i32_e32 vcc_lo, 5, v9
	v_cndmask_b32_e64 v11, 0, 1, vcc_lo
	v_cmp_eq_u32_e32 vcc_lo, 3, v9
	v_cndmask_b32_e64 v9, 0, 1, vcc_lo
	v_cmp_ne_u32_e32 vcc_lo, 0, v3
	s_delay_alu instid0(VALU_DEP_2) | instskip(SKIP_1) | instid1(VALU_DEP_2)
	v_dual_lshrrev_b32 v5, 2, v5 :: v_dual_bitop2_b32 v9, v9, v11 bitop3:0x54
	v_mov_b32_e32 v11, 0x7e00
	v_add_nc_u32_e32 v5, v5, v9
	s_delay_alu instid0(VALU_DEP_2) | instskip(SKIP_1) | instid1(VALU_DEP_3)
	v_cndmask_b32_e32 v3, 0x7c00, v11, vcc_lo
	v_cmp_gt_i32_e32 vcc_lo, 31, v7
	v_cndmask_b32_e32 v5, 0x7c00, v5, vcc_lo
	v_cmp_eq_u32_e32 vcc_lo, 0x40f, v7
	s_delay_alu instid0(VALU_DEP_2) | instskip(SKIP_1) | instid1(VALU_DEP_1)
	v_cndmask_b32_e32 v3, v5, v3, vcc_lo
	v_lshrrev_b32_e32 v5, 16, v15
	v_and_or_b32 v3, 0x8000, v5, v3
	s_branch .LBB23_1383
.LBB23_1381:
	s_mov_b32 s10, -1
                                        ; implicit-def: $vgpr3
	s_branch .LBB23_1386
.LBB23_1382:
	s_mov_b32 s10, -1
                                        ; implicit-def: $vgpr3
.LBB23_1383:
	s_delay_alu instid0(SALU_CYCLE_1)
	s_and_not1_b32 vcc_lo, exec_lo, s10
	s_cbranch_vccnz .LBB23_1385
; %bb.1384:
	s_wait_loadcnt 0x0
	global_load_b32 v3, v[12:13], off
	s_wait_loadcnt 0x0
	v_cvt_f16_f32_e32 v3, v3
.LBB23_1385:
	s_mov_b32 s10, 0
.LBB23_1386:
	s_delay_alu instid0(SALU_CYCLE_1)
	s_and_not1_b32 vcc_lo, exec_lo, s10
	s_cbranch_vccnz .LBB23_1388
; %bb.1387:
	s_wait_loadcnt 0x0
	global_load_u16 v3, v[12:13], off
.LBB23_1388:
	s_cbranch_execnz .LBB23_1408
.LBB23_1389:
	s_cmp_lt_i32 s0, 2
	s_cbranch_scc1 .LBB23_1393
; %bb.1390:
	s_cmp_lt_i32 s0, 3
	s_cbranch_scc1 .LBB23_1394
; %bb.1391:
	s_cmp_gt_i32 s0, 3
	s_cbranch_scc0 .LBB23_1395
; %bb.1392:
	global_load_b64 v[14:15], v[12:13], off
	s_mov_b32 s10, 0
	s_wait_loadcnt 0x0
	v_xor_b32_e32 v3, v14, v15
	v_cls_i32_e32 v5, v15
	s_delay_alu instid0(VALU_DEP_2) | instskip(NEXT) | instid1(VALU_DEP_1)
	v_ashrrev_i32_e32 v3, 31, v3
	v_add_nc_u32_e32 v3, 32, v3
	s_delay_alu instid0(VALU_DEP_1) | instskip(NEXT) | instid1(VALU_DEP_1)
	v_add_min_u32_e64 v3, v5, -1, v3
	v_lshlrev_b64_e32 v[14:15], v3, v[14:15]
	v_sub_nc_u32_e32 v3, 32, v3
	s_delay_alu instid0(VALU_DEP_2) | instskip(NEXT) | instid1(VALU_DEP_1)
	v_min_u32_e32 v5, 1, v14
	v_or_b32_e32 v5, v15, v5
	s_delay_alu instid0(VALU_DEP_1) | instskip(NEXT) | instid1(VALU_DEP_1)
	v_cvt_f32_i32_e32 v5, v5
	v_ldexp_f32 v3, v5, v3
	s_delay_alu instid0(VALU_DEP_1)
	v_cvt_f16_f32_e32 v3, v3
	s_branch .LBB23_1396
.LBB23_1393:
	s_mov_b32 s10, -1
                                        ; implicit-def: $vgpr3
	s_branch .LBB23_1402
.LBB23_1394:
	s_mov_b32 s10, -1
                                        ; implicit-def: $vgpr3
	s_branch .LBB23_1399
.LBB23_1395:
	s_mov_b32 s10, -1
                                        ; implicit-def: $vgpr3
.LBB23_1396:
	s_delay_alu instid0(SALU_CYCLE_1)
	s_and_not1_b32 vcc_lo, exec_lo, s10
	s_cbranch_vccnz .LBB23_1398
; %bb.1397:
	s_wait_loadcnt 0x0
	global_load_b32 v3, v[12:13], off
	s_wait_loadcnt 0x0
	v_cvt_f32_i32_e32 v3, v3
	s_delay_alu instid0(VALU_DEP_1)
	v_cvt_f16_f32_e32 v3, v3
.LBB23_1398:
	s_mov_b32 s10, 0
.LBB23_1399:
	s_delay_alu instid0(SALU_CYCLE_1)
	s_and_not1_b32 vcc_lo, exec_lo, s10
	s_cbranch_vccnz .LBB23_1401
; %bb.1400:
	s_wait_loadcnt 0x0
	global_load_u16 v3, v[12:13], off
	s_wait_loadcnt 0x0
	v_cvt_f16_i16_e32 v3, v3
.LBB23_1401:
	s_mov_b32 s10, 0
.LBB23_1402:
	s_delay_alu instid0(SALU_CYCLE_1)
	s_and_not1_b32 vcc_lo, exec_lo, s10
	s_cbranch_vccnz .LBB23_1408
; %bb.1403:
	s_cmp_gt_i32 s0, 0
	s_mov_b32 s10, 0
	s_cbranch_scc0 .LBB23_1405
; %bb.1404:
	s_wait_loadcnt 0x0
	global_load_i8 v3, v[12:13], off
	s_wait_loadcnt 0x0
	v_cvt_f16_i16_e32 v3, v3
	s_branch .LBB23_1406
.LBB23_1405:
	s_mov_b32 s10, -1
                                        ; implicit-def: $vgpr3
.LBB23_1406:
	s_delay_alu instid0(SALU_CYCLE_1)
	s_and_not1_b32 vcc_lo, exec_lo, s10
	s_cbranch_vccnz .LBB23_1408
; %bb.1407:
	s_wait_loadcnt 0x0
	global_load_u8 v3, v[12:13], off
	s_wait_loadcnt 0x0
	v_cvt_f16_u16_e32 v3, v3
.LBB23_1408:
.LBB23_1409:
	v_mov_b32_e32 v11, 0
	s_cmp_lt_i32 s0, 11
	s_delay_alu instid0(VALU_DEP_1)
	v_add_nc_u64_e32 v[10:11], s[6:7], v[10:11]
	s_cbranch_scc1 .LBB23_1416
; %bb.1410:
	s_cmp_gt_i32 s0, 25
	s_mov_b32 s11, 0
	s_cbranch_scc0 .LBB23_1418
; %bb.1411:
	s_cmp_gt_i32 s0, 28
	s_cbranch_scc0 .LBB23_1419
; %bb.1412:
	s_cmp_gt_i32 s0, 43
	;; [unrolled: 3-line block ×3, first 2 shown]
	s_cbranch_scc0 .LBB23_1422
; %bb.1414:
	s_cmp_eq_u32 s0, 46
	s_mov_b32 s13, 0
	s_cbranch_scc0 .LBB23_1423
; %bb.1415:
	global_load_b32 v5, v[10:11], off
	s_mov_b32 s10, 0
	s_mov_b32 s12, -1
	s_wait_loadcnt 0x0
	v_lshlrev_b32_e32 v5, 16, v5
	s_wait_xcnt 0x1
	s_delay_alu instid0(VALU_DEP_1)
	v_cvt_f16_f32_e32 v12, v5
	s_branch .LBB23_1425
.LBB23_1416:
	s_mov_b32 s12, 0
                                        ; implicit-def: $vgpr12
	s_cbranch_execnz .LBB23_1491
.LBB23_1417:
	s_and_not1_b32 vcc_lo, exec_lo, s12
	s_cbranch_vccz .LBB23_1539
	s_branch .LBB23_2100
.LBB23_1418:
	s_mov_b32 s13, -1
	s_mov_b32 s12, 0
	s_mov_b32 s10, 0
                                        ; implicit-def: $vgpr12
	s_branch .LBB23_1454
.LBB23_1419:
	s_mov_b32 s13, -1
	s_mov_b32 s12, 0
	s_mov_b32 s10, 0
                                        ; implicit-def: $vgpr12
	s_branch .LBB23_1435
.LBB23_1420:
	s_mov_b32 s13, -1
	s_mov_b32 s12, 0
	s_mov_b32 s10, 0
                                        ; implicit-def: $vgpr12
	s_branch .LBB23_1430
.LBB23_1421:
	s_or_b32 s1, s1, exec_lo
	s_trap 2
	s_cbranch_execz .LBB23_1360
	s_branch .LBB23_1361
.LBB23_1422:
	s_mov_b32 s13, -1
	s_mov_b32 s12, 0
	s_mov_b32 s10, 0
	s_branch .LBB23_1424
.LBB23_1423:
	s_mov_b32 s10, -1
	s_mov_b32 s12, 0
.LBB23_1424:
                                        ; implicit-def: $vgpr12
.LBB23_1425:
	s_and_b32 vcc_lo, exec_lo, s13
	s_cbranch_vccz .LBB23_1429
; %bb.1426:
	s_cmp_eq_u32 s0, 44
	s_cbranch_scc0 .LBB23_1428
; %bb.1427:
	global_load_u8 v5, v[10:11], off
	s_mov_b32 s10, 0
	s_mov_b32 s12, -1
	s_wait_loadcnt 0x0
	v_lshlrev_b32_e32 v7, 23, v5
	v_cmp_ne_u32_e32 vcc_lo, 0xff, v5
	s_delay_alu instid0(VALU_DEP_2) | instskip(NEXT) | instid1(VALU_DEP_1)
	v_cvt_f16_f32_e32 v7, v7
	v_cndmask_b32_e32 v7, 0x7e00, v7, vcc_lo
	v_cmp_ne_u32_e32 vcc_lo, 0, v5
	s_wait_xcnt 0x1
	s_delay_alu instid0(VALU_DEP_2)
	v_cndmask_b32_e32 v12, 0, v7, vcc_lo
	s_branch .LBB23_1429
.LBB23_1428:
	s_mov_b32 s10, -1
                                        ; implicit-def: $vgpr12
.LBB23_1429:
	s_mov_b32 s13, 0
.LBB23_1430:
	s_delay_alu instid0(SALU_CYCLE_1)
	s_and_b32 vcc_lo, exec_lo, s13
	s_cbranch_vccz .LBB23_1434
; %bb.1431:
	s_cmp_eq_u32 s0, 29
	s_cbranch_scc0 .LBB23_1433
; %bb.1432:
	global_load_b64 v[12:13], v[10:11], off
	s_mov_b32 s10, 0
	s_mov_b32 s12, -1
	s_mov_b32 s13, 0
	s_wait_loadcnt 0x0
	v_clz_i32_u32_e32 v5, v13
	s_delay_alu instid0(VALU_DEP_1) | instskip(NEXT) | instid1(VALU_DEP_1)
	v_min_u32_e32 v5, 32, v5
	v_lshlrev_b64_e32 v[12:13], v5, v[12:13]
	v_sub_nc_u32_e32 v5, 32, v5
	s_delay_alu instid0(VALU_DEP_2) | instskip(NEXT) | instid1(VALU_DEP_1)
	v_min_u32_e32 v7, 1, v12
	v_or_b32_e32 v7, v13, v7
	s_delay_alu instid0(VALU_DEP_1) | instskip(NEXT) | instid1(VALU_DEP_1)
	v_cvt_f32_u32_e32 v7, v7
	v_ldexp_f32 v5, v7, v5
	s_delay_alu instid0(VALU_DEP_1)
	v_cvt_f16_f32_e32 v12, v5
	s_branch .LBB23_1435
.LBB23_1433:
	s_mov_b32 s10, -1
                                        ; implicit-def: $vgpr12
.LBB23_1434:
	s_mov_b32 s13, 0
.LBB23_1435:
	s_delay_alu instid0(SALU_CYCLE_1)
	s_and_b32 vcc_lo, exec_lo, s13
	s_cbranch_vccz .LBB23_1453
; %bb.1436:
	s_cmp_lt_i32 s0, 27
	s_cbranch_scc1 .LBB23_1439
; %bb.1437:
	s_cmp_gt_i32 s0, 27
	s_cbranch_scc0 .LBB23_1440
; %bb.1438:
	global_load_b32 v5, v[10:11], off
	s_mov_b32 s12, 0
	s_wait_loadcnt 0x0
	v_cvt_f32_u32_e32 v5, v5
	s_wait_xcnt 0x1
	s_delay_alu instid0(VALU_DEP_1)
	v_cvt_f16_f32_e32 v12, v5
	s_branch .LBB23_1441
.LBB23_1439:
	s_mov_b32 s12, -1
                                        ; implicit-def: $vgpr12
	s_branch .LBB23_1444
.LBB23_1440:
	s_mov_b32 s12, -1
                                        ; implicit-def: $vgpr12
.LBB23_1441:
	s_delay_alu instid0(SALU_CYCLE_1)
	s_and_not1_b32 vcc_lo, exec_lo, s12
	s_cbranch_vccnz .LBB23_1443
; %bb.1442:
	global_load_u16 v5, v[10:11], off
	s_wait_loadcnt 0x0
	s_wait_xcnt 0x1
	v_cvt_f16_u16_e32 v12, v5
.LBB23_1443:
	s_mov_b32 s12, 0
.LBB23_1444:
	s_delay_alu instid0(SALU_CYCLE_1)
	s_and_not1_b32 vcc_lo, exec_lo, s12
	s_cbranch_vccnz .LBB23_1452
; %bb.1445:
	global_load_u8 v5, v[10:11], off
	s_mov_b32 s12, 0
	s_mov_b32 s13, exec_lo
	s_wait_loadcnt 0x0
	v_cmpx_lt_i16_e32 0x7f, v5
	s_xor_b32 s13, exec_lo, s13
	s_cbranch_execz .LBB23_1466
; %bb.1446:
	s_mov_b32 s12, -1
	s_mov_b32 s14, exec_lo
	v_cmpx_eq_u16_e32 0x80, v5
; %bb.1447:
	s_xor_b32 s12, exec_lo, -1
; %bb.1448:
	s_or_b32 exec_lo, exec_lo, s14
	s_delay_alu instid0(SALU_CYCLE_1)
	s_and_b32 s12, s12, exec_lo
	s_or_saveexec_b32 s13, s13
	v_mov_b32_e32 v12, 0x7e00
	s_xor_b32 exec_lo, exec_lo, s13
	s_cbranch_execnz .LBB23_1467
.LBB23_1449:
	s_or_b32 exec_lo, exec_lo, s13
	s_and_saveexec_b32 s13, s12
	s_cbranch_execz .LBB23_1451
.LBB23_1450:
	v_and_b32_e32 v7, 0xffff, v5
	s_delay_alu instid0(VALU_DEP_1) | instskip(SKIP_1) | instid1(VALU_DEP_2)
	v_and_b32_e32 v9, 7, v7
	v_bfe_u32 v14, v7, 3, 4
	v_clz_i32_u32_e32 v12, v9
	s_delay_alu instid0(VALU_DEP_2) | instskip(NEXT) | instid1(VALU_DEP_2)
	v_cmp_eq_u32_e32 vcc_lo, 0, v14
	v_min_u32_e32 v12, 32, v12
	s_delay_alu instid0(VALU_DEP_1) | instskip(NEXT) | instid1(VALU_DEP_1)
	v_subrev_nc_u32_e32 v13, 28, v12
	v_dual_lshlrev_b32 v7, v13, v7 :: v_dual_sub_nc_u32 v12, 29, v12
	s_delay_alu instid0(VALU_DEP_1) | instskip(NEXT) | instid1(VALU_DEP_1)
	v_dual_lshlrev_b32 v5, 24, v5 :: v_dual_bitop2_b32 v7, 7, v7 bitop3:0x40
	v_dual_cndmask_b32 v12, v14, v12 :: v_dual_cndmask_b32 v7, v9, v7
	s_delay_alu instid0(VALU_DEP_2) | instskip(NEXT) | instid1(VALU_DEP_2)
	v_and_b32_e32 v5, 0x80000000, v5
	v_lshl_add_u32 v9, v12, 23, 0x3b800000
	s_delay_alu instid0(VALU_DEP_3) | instskip(NEXT) | instid1(VALU_DEP_1)
	v_lshlrev_b32_e32 v7, 20, v7
	v_or3_b32 v5, v5, v9, v7
	s_delay_alu instid0(VALU_DEP_1)
	v_cvt_f16_f32_e32 v12, v5
.LBB23_1451:
	s_or_b32 exec_lo, exec_lo, s13
.LBB23_1452:
	s_mov_b32 s12, -1
.LBB23_1453:
	s_mov_b32 s13, 0
.LBB23_1454:
	s_delay_alu instid0(SALU_CYCLE_1)
	s_and_b32 vcc_lo, exec_lo, s13
	s_cbranch_vccz .LBB23_1487
; %bb.1455:
	s_cmp_gt_i32 s0, 22
	s_cbranch_scc0 .LBB23_1465
; %bb.1456:
	s_cmp_lt_i32 s0, 24
	s_cbranch_scc1 .LBB23_1468
; %bb.1457:
	s_cmp_gt_i32 s0, 24
	s_cbranch_scc0 .LBB23_1469
; %bb.1458:
	global_load_u8 v5, v[10:11], off
	s_mov_b32 s12, exec_lo
	s_wait_loadcnt 0x0
	v_cmpx_lt_i16_e32 0x7f, v5
	s_xor_b32 s12, exec_lo, s12
	s_cbranch_execz .LBB23_1481
; %bb.1459:
	s_mov_b32 s11, -1
	s_mov_b32 s13, exec_lo
	v_cmpx_eq_u16_e32 0x80, v5
; %bb.1460:
	s_xor_b32 s11, exec_lo, -1
; %bb.1461:
	s_or_b32 exec_lo, exec_lo, s13
	s_delay_alu instid0(SALU_CYCLE_1)
	s_and_b32 s11, s11, exec_lo
	s_or_saveexec_b32 s12, s12
	v_mov_b32_e32 v12, 0x7e00
	s_xor_b32 exec_lo, exec_lo, s12
	s_cbranch_execnz .LBB23_1482
.LBB23_1462:
	s_or_b32 exec_lo, exec_lo, s12
	s_and_saveexec_b32 s12, s11
	s_cbranch_execz .LBB23_1464
.LBB23_1463:
	v_and_b32_e32 v7, 0xffff, v5
	s_delay_alu instid0(VALU_DEP_1) | instskip(SKIP_1) | instid1(VALU_DEP_2)
	v_and_b32_e32 v9, 3, v7
	v_bfe_u32 v14, v7, 2, 5
	v_clz_i32_u32_e32 v12, v9
	s_delay_alu instid0(VALU_DEP_2) | instskip(NEXT) | instid1(VALU_DEP_2)
	v_cmp_eq_u32_e32 vcc_lo, 0, v14
	v_min_u32_e32 v12, 32, v12
	s_delay_alu instid0(VALU_DEP_1) | instskip(NEXT) | instid1(VALU_DEP_1)
	v_subrev_nc_u32_e32 v13, 29, v12
	v_dual_lshlrev_b32 v7, v13, v7 :: v_dual_sub_nc_u32 v12, 30, v12
	s_delay_alu instid0(VALU_DEP_1) | instskip(NEXT) | instid1(VALU_DEP_1)
	v_dual_lshlrev_b32 v5, 24, v5 :: v_dual_bitop2_b32 v7, 3, v7 bitop3:0x40
	v_dual_cndmask_b32 v12, v14, v12 :: v_dual_cndmask_b32 v7, v9, v7
	s_delay_alu instid0(VALU_DEP_2) | instskip(NEXT) | instid1(VALU_DEP_2)
	v_and_b32_e32 v5, 0x80000000, v5
	v_lshl_add_u32 v9, v12, 23, 0x37800000
	s_delay_alu instid0(VALU_DEP_3) | instskip(NEXT) | instid1(VALU_DEP_1)
	v_lshlrev_b32_e32 v7, 21, v7
	v_or3_b32 v5, v5, v9, v7
	s_delay_alu instid0(VALU_DEP_1)
	v_cvt_f16_f32_e32 v12, v5
.LBB23_1464:
	s_or_b32 exec_lo, exec_lo, s12
	s_mov_b32 s11, 0
	s_branch .LBB23_1470
.LBB23_1465:
	s_mov_b32 s11, -1
                                        ; implicit-def: $vgpr12
	s_branch .LBB23_1476
.LBB23_1466:
	s_or_saveexec_b32 s13, s13
	v_mov_b32_e32 v12, 0x7e00
	s_xor_b32 exec_lo, exec_lo, s13
	s_cbranch_execz .LBB23_1449
.LBB23_1467:
	v_cmp_ne_u16_e32 vcc_lo, 0, v5
	v_mov_b32_e32 v12, v5
	s_and_not1_b32 s12, s12, exec_lo
	s_and_b32 s14, vcc_lo, exec_lo
	s_delay_alu instid0(SALU_CYCLE_1)
	s_or_b32 s12, s12, s14
	s_or_b32 exec_lo, exec_lo, s13
	s_and_saveexec_b32 s13, s12
	s_cbranch_execnz .LBB23_1450
	s_branch .LBB23_1451
.LBB23_1468:
	s_mov_b32 s11, -1
                                        ; implicit-def: $vgpr12
	s_branch .LBB23_1473
.LBB23_1469:
	s_mov_b32 s11, -1
                                        ; implicit-def: $vgpr12
.LBB23_1470:
	s_delay_alu instid0(SALU_CYCLE_1)
	s_and_b32 vcc_lo, exec_lo, s11
	s_cbranch_vccz .LBB23_1472
; %bb.1471:
	global_load_u8 v5, v[10:11], off
	s_wait_loadcnt 0x0
	v_lshlrev_b32_e32 v5, 24, v5
	s_delay_alu instid0(VALU_DEP_1) | instskip(NEXT) | instid1(VALU_DEP_1)
	v_and_b32_e32 v7, 0x7f000000, v5
	v_clz_i32_u32_e32 v9, v7
	s_wait_xcnt 0x1
	v_add_nc_u32_e32 v13, 0x1000000, v7
	v_cmp_ne_u32_e32 vcc_lo, 0, v7
	s_delay_alu instid0(VALU_DEP_3) | instskip(NEXT) | instid1(VALU_DEP_1)
	v_min_u32_e32 v9, 32, v9
	v_sub_nc_u32_e64 v9, v9, 4 clamp
	s_delay_alu instid0(VALU_DEP_1) | instskip(NEXT) | instid1(VALU_DEP_1)
	v_dual_lshlrev_b32 v12, v9, v7 :: v_dual_lshlrev_b32 v9, 23, v9
	v_lshrrev_b32_e32 v12, 4, v12
	s_delay_alu instid0(VALU_DEP_1) | instskip(SKIP_1) | instid1(VALU_DEP_2)
	v_sub_nc_u32_e32 v9, v12, v9
	v_ashrrev_i32_e32 v12, 8, v13
	v_add_nc_u32_e32 v9, 0x3c000000, v9
	s_delay_alu instid0(VALU_DEP_1) | instskip(NEXT) | instid1(VALU_DEP_1)
	v_and_or_b32 v9, 0x7f800000, v12, v9
	v_cndmask_b32_e32 v7, 0, v9, vcc_lo
	s_delay_alu instid0(VALU_DEP_1) | instskip(NEXT) | instid1(VALU_DEP_1)
	v_and_or_b32 v5, 0x80000000, v5, v7
	v_cvt_f16_f32_e32 v12, v5
.LBB23_1472:
	s_mov_b32 s11, 0
.LBB23_1473:
	s_delay_alu instid0(SALU_CYCLE_1)
	s_and_not1_b32 vcc_lo, exec_lo, s11
	s_cbranch_vccnz .LBB23_1475
; %bb.1474:
	global_load_u8 v5, v[10:11], off
	s_wait_loadcnt 0x0
	v_lshlrev_b32_e32 v7, 25, v5
	v_lshlrev_b16 v5, 8, v5
	s_wait_xcnt 0x1
	s_delay_alu instid0(VALU_DEP_1) | instskip(SKIP_1) | instid1(VALU_DEP_2)
	v_and_or_b32 v12, 0x7f00, v5, 0.5
	v_bfe_i32 v5, v5, 0, 16
	v_dual_add_f32 v12, -0.5, v12 :: v_dual_lshrrev_b32 v9, 4, v7
	v_cmp_gt_u32_e32 vcc_lo, 0x8000000, v7
	s_delay_alu instid0(VALU_DEP_2) | instskip(NEXT) | instid1(VALU_DEP_1)
	v_or_b32_e32 v9, 0x70000000, v9
	v_mul_f32_e32 v9, 0x7800000, v9
	s_delay_alu instid0(VALU_DEP_1) | instskip(NEXT) | instid1(VALU_DEP_1)
	v_cndmask_b32_e32 v7, v9, v12, vcc_lo
	v_and_or_b32 v5, 0x80000000, v5, v7
	s_delay_alu instid0(VALU_DEP_1)
	v_cvt_f16_f32_e32 v12, v5
.LBB23_1475:
	s_mov_b32 s11, 0
	s_mov_b32 s12, -1
.LBB23_1476:
	s_and_not1_b32 vcc_lo, exec_lo, s11
	s_mov_b32 s11, 0
	s_cbranch_vccnz .LBB23_1487
; %bb.1477:
	s_cmp_gt_i32 s0, 14
	s_cbranch_scc0 .LBB23_1480
; %bb.1478:
	s_cmp_eq_u32 s0, 15
	s_cbranch_scc0 .LBB23_1483
; %bb.1479:
	global_load_u16 v5, v[10:11], off
	s_mov_b32 s10, 0
	s_mov_b32 s12, -1
	s_wait_loadcnt 0x0
	v_lshlrev_b32_e32 v5, 16, v5
	s_wait_xcnt 0x1
	s_delay_alu instid0(VALU_DEP_1)
	v_cvt_f16_f32_e32 v12, v5
	s_branch .LBB23_1485
.LBB23_1480:
	s_mov_b32 s11, -1
	s_branch .LBB23_1484
.LBB23_1481:
	s_or_saveexec_b32 s12, s12
	v_mov_b32_e32 v12, 0x7e00
	s_xor_b32 exec_lo, exec_lo, s12
	s_cbranch_execz .LBB23_1462
.LBB23_1482:
	v_cmp_ne_u16_e32 vcc_lo, 0, v5
	v_mov_b32_e32 v12, v5
	s_and_not1_b32 s11, s11, exec_lo
	s_and_b32 s13, vcc_lo, exec_lo
	s_delay_alu instid0(SALU_CYCLE_1)
	s_or_b32 s11, s11, s13
	s_or_b32 exec_lo, exec_lo, s12
	s_and_saveexec_b32 s12, s11
	s_cbranch_execnz .LBB23_1463
	s_branch .LBB23_1464
.LBB23_1483:
	s_mov_b32 s10, -1
.LBB23_1484:
                                        ; implicit-def: $vgpr12
.LBB23_1485:
	s_and_b32 vcc_lo, exec_lo, s11
	s_mov_b32 s11, 0
	s_cbranch_vccz .LBB23_1487
; %bb.1486:
	s_cmp_lg_u32 s0, 11
	s_mov_b32 s11, -1
	s_cselect_b32 s10, -1, 0
.LBB23_1487:
	s_delay_alu instid0(SALU_CYCLE_1)
	s_and_b32 vcc_lo, exec_lo, s10
	s_cbranch_vccnz .LBB23_1550
; %bb.1488:
	s_and_not1_b32 vcc_lo, exec_lo, s11
	s_cbranch_vccnz .LBB23_1490
.LBB23_1489:
	global_load_u8 v5, v[10:11], off
	s_mov_b32 s12, -1
	s_wait_loadcnt 0x0
	v_cmp_ne_u16_e32 vcc_lo, 0, v5
	s_wait_xcnt 0x1
	v_cndmask_b32_e64 v12, 0, 0x3c00, vcc_lo
.LBB23_1490:
	s_branch .LBB23_1417
.LBB23_1491:
	s_cmp_lt_i32 s0, 5
	s_cbranch_scc1 .LBB23_1496
; %bb.1492:
	s_cmp_lt_i32 s0, 8
	s_cbranch_scc1 .LBB23_1497
; %bb.1493:
	s_cmp_lt_i32 s0, 9
	s_cbranch_scc1 .LBB23_1498
; %bb.1494:
	s_cmp_gt_i32 s0, 9
	s_cbranch_scc0 .LBB23_1499
; %bb.1495:
	global_load_b64 v[12:13], v[10:11], off
	s_mov_b32 s10, 0
	s_wait_loadcnt 0x0
	v_and_or_b32 v5, 0x1ff, v13, v12
	v_lshrrev_b32_e32 v7, 8, v13
	v_bfe_u32 v9, v13, 20, 11
	s_delay_alu instid0(VALU_DEP_3) | instskip(NEXT) | instid1(VALU_DEP_2)
	v_cmp_ne_u32_e32 vcc_lo, 0, v5
	v_sub_nc_u32_e32 v12, 0x3f1, v9
	v_add_nc_u32_e32 v9, 0xfffffc10, v9
	v_cndmask_b32_e64 v5, 0, 1, vcc_lo
	s_delay_alu instid0(VALU_DEP_1) | instskip(NEXT) | instid1(VALU_DEP_4)
	v_and_or_b32 v5, 0xffe, v7, v5
	v_med3_i32 v7, v12, 0, 13
	s_delay_alu instid0(VALU_DEP_2) | instskip(NEXT) | instid1(VALU_DEP_1)
	v_or_b32_e32 v12, 0x1000, v5
	v_lshrrev_b32_e32 v14, v7, v12
	s_delay_alu instid0(VALU_DEP_1) | instskip(NEXT) | instid1(VALU_DEP_1)
	v_lshlrev_b32_e32 v7, v7, v14
	v_cmp_ne_u32_e32 vcc_lo, v7, v12
	v_lshl_or_b32 v12, v9, 12, v5
	v_cndmask_b32_e64 v7, 0, 1, vcc_lo
	v_cmp_gt_i32_e32 vcc_lo, 1, v9
	s_delay_alu instid0(VALU_DEP_2) | instskip(NEXT) | instid1(VALU_DEP_1)
	v_or_b32_e32 v7, v14, v7
	v_cndmask_b32_e32 v7, v12, v7, vcc_lo
	s_delay_alu instid0(VALU_DEP_1) | instskip(NEXT) | instid1(VALU_DEP_1)
	v_dual_lshrrev_b32 v7, 2, v7 :: v_dual_bitop2_b32 v12, 7, v7 bitop3:0x40
	v_cmp_lt_i32_e32 vcc_lo, 5, v12
	v_cndmask_b32_e64 v14, 0, 1, vcc_lo
	v_cmp_eq_u32_e32 vcc_lo, 3, v12
	v_cndmask_b32_e64 v12, 0, 1, vcc_lo
	v_cmp_ne_u32_e32 vcc_lo, 0, v5
	s_delay_alu instid0(VALU_DEP_2) | instskip(NEXT) | instid1(VALU_DEP_1)
	v_or_b32_e32 v12, v12, v14
	v_dual_mov_b32 v14, 0x7e00 :: v_dual_add_nc_u32 v7, v7, v12
	s_delay_alu instid0(VALU_DEP_1) | instskip(SKIP_1) | instid1(VALU_DEP_3)
	v_cndmask_b32_e32 v5, 0x7c00, v14, vcc_lo
	v_cmp_gt_i32_e32 vcc_lo, 31, v9
	v_cndmask_b32_e32 v7, 0x7c00, v7, vcc_lo
	v_cmp_eq_u32_e32 vcc_lo, 0x40f, v9
	s_delay_alu instid0(VALU_DEP_2) | instskip(SKIP_1) | instid1(VALU_DEP_1)
	v_cndmask_b32_e32 v5, v7, v5, vcc_lo
	v_lshrrev_b32_e32 v7, 16, v13
	v_and_or_b32 v12, 0x8000, v7, v5
	s_branch .LBB23_1500
.LBB23_1496:
	s_mov_b32 s10, -1
                                        ; implicit-def: $vgpr12
	s_branch .LBB23_1518
.LBB23_1497:
	s_mov_b32 s10, -1
                                        ; implicit-def: $vgpr12
	s_branch .LBB23_1506
.LBB23_1498:
	s_mov_b32 s10, -1
                                        ; implicit-def: $vgpr12
	s_branch .LBB23_1503
.LBB23_1499:
	s_mov_b32 s10, -1
                                        ; implicit-def: $vgpr12
.LBB23_1500:
	s_delay_alu instid0(SALU_CYCLE_1)
	s_and_not1_b32 vcc_lo, exec_lo, s10
	s_cbranch_vccnz .LBB23_1502
; %bb.1501:
	global_load_b32 v5, v[10:11], off
	s_wait_loadcnt 0x0
	s_wait_xcnt 0x1
	v_cvt_f16_f32_e32 v12, v5
.LBB23_1502:
	s_mov_b32 s10, 0
.LBB23_1503:
	s_delay_alu instid0(SALU_CYCLE_1)
	s_and_not1_b32 vcc_lo, exec_lo, s10
	s_cbranch_vccnz .LBB23_1505
; %bb.1504:
	global_load_b32 v12, v[10:11], off
.LBB23_1505:
	s_mov_b32 s10, 0
.LBB23_1506:
	s_delay_alu instid0(SALU_CYCLE_1)
	s_and_not1_b32 vcc_lo, exec_lo, s10
	s_cbranch_vccnz .LBB23_1517
; %bb.1507:
	s_cmp_lt_i32 s0, 6
	s_cbranch_scc1 .LBB23_1510
; %bb.1508:
	s_cmp_gt_i32 s0, 6
	s_cbranch_scc0 .LBB23_1511
; %bb.1509:
	s_wait_loadcnt 0x0
	global_load_b64 v[12:13], v[10:11], off
	s_mov_b32 s10, 0
	s_wait_loadcnt 0x0
	v_and_or_b32 v5, 0x1ff, v13, v12
	v_lshrrev_b32_e32 v7, 8, v13
	v_bfe_u32 v9, v13, 20, 11
	s_delay_alu instid0(VALU_DEP_3) | instskip(NEXT) | instid1(VALU_DEP_2)
	v_cmp_ne_u32_e32 vcc_lo, 0, v5
	v_sub_nc_u32_e32 v12, 0x3f1, v9
	v_add_nc_u32_e32 v9, 0xfffffc10, v9
	v_cndmask_b32_e64 v5, 0, 1, vcc_lo
	s_delay_alu instid0(VALU_DEP_1) | instskip(NEXT) | instid1(VALU_DEP_4)
	v_and_or_b32 v5, 0xffe, v7, v5
	v_med3_i32 v7, v12, 0, 13
	s_delay_alu instid0(VALU_DEP_2) | instskip(NEXT) | instid1(VALU_DEP_1)
	v_or_b32_e32 v12, 0x1000, v5
	v_lshrrev_b32_e32 v14, v7, v12
	s_delay_alu instid0(VALU_DEP_1) | instskip(NEXT) | instid1(VALU_DEP_1)
	v_lshlrev_b32_e32 v7, v7, v14
	v_cmp_ne_u32_e32 vcc_lo, v7, v12
	v_lshl_or_b32 v12, v9, 12, v5
	v_cndmask_b32_e64 v7, 0, 1, vcc_lo
	v_cmp_gt_i32_e32 vcc_lo, 1, v9
	s_delay_alu instid0(VALU_DEP_2) | instskip(NEXT) | instid1(VALU_DEP_1)
	v_or_b32_e32 v7, v14, v7
	v_cndmask_b32_e32 v7, v12, v7, vcc_lo
	s_delay_alu instid0(VALU_DEP_1) | instskip(NEXT) | instid1(VALU_DEP_1)
	v_dual_lshrrev_b32 v7, 2, v7 :: v_dual_bitop2_b32 v12, 7, v7 bitop3:0x40
	v_cmp_lt_i32_e32 vcc_lo, 5, v12
	v_cndmask_b32_e64 v14, 0, 1, vcc_lo
	v_cmp_eq_u32_e32 vcc_lo, 3, v12
	v_cndmask_b32_e64 v12, 0, 1, vcc_lo
	v_cmp_ne_u32_e32 vcc_lo, 0, v5
	s_delay_alu instid0(VALU_DEP_2) | instskip(NEXT) | instid1(VALU_DEP_1)
	v_or_b32_e32 v12, v12, v14
	v_dual_mov_b32 v14, 0x7e00 :: v_dual_add_nc_u32 v7, v7, v12
	s_delay_alu instid0(VALU_DEP_1) | instskip(SKIP_1) | instid1(VALU_DEP_3)
	v_cndmask_b32_e32 v5, 0x7c00, v14, vcc_lo
	v_cmp_gt_i32_e32 vcc_lo, 31, v9
	v_cndmask_b32_e32 v7, 0x7c00, v7, vcc_lo
	v_cmp_eq_u32_e32 vcc_lo, 0x40f, v9
	s_delay_alu instid0(VALU_DEP_2) | instskip(SKIP_1) | instid1(VALU_DEP_1)
	v_cndmask_b32_e32 v5, v7, v5, vcc_lo
	v_lshrrev_b32_e32 v7, 16, v13
	v_and_or_b32 v12, 0x8000, v7, v5
	s_branch .LBB23_1512
.LBB23_1510:
	s_mov_b32 s10, -1
                                        ; implicit-def: $vgpr12
	s_branch .LBB23_1515
.LBB23_1511:
	s_mov_b32 s10, -1
                                        ; implicit-def: $vgpr12
.LBB23_1512:
	s_delay_alu instid0(SALU_CYCLE_1)
	s_and_not1_b32 vcc_lo, exec_lo, s10
	s_cbranch_vccnz .LBB23_1514
; %bb.1513:
	global_load_b32 v5, v[10:11], off
	s_wait_loadcnt 0x0
	s_wait_xcnt 0x1
	v_cvt_f16_f32_e32 v12, v5
.LBB23_1514:
	s_mov_b32 s10, 0
.LBB23_1515:
	s_delay_alu instid0(SALU_CYCLE_1)
	s_and_not1_b32 vcc_lo, exec_lo, s10
	s_cbranch_vccnz .LBB23_1517
; %bb.1516:
	s_wait_loadcnt 0x0
	global_load_u16 v12, v[10:11], off
.LBB23_1517:
	s_mov_b32 s10, 0
.LBB23_1518:
	s_delay_alu instid0(SALU_CYCLE_1)
	s_and_not1_b32 vcc_lo, exec_lo, s10
	s_cbranch_vccnz .LBB23_1538
; %bb.1519:
	s_cmp_lt_i32 s0, 2
	s_cbranch_scc1 .LBB23_1523
; %bb.1520:
	s_cmp_lt_i32 s0, 3
	s_cbranch_scc1 .LBB23_1524
; %bb.1521:
	s_cmp_gt_i32 s0, 3
	s_cbranch_scc0 .LBB23_1525
; %bb.1522:
	s_wait_loadcnt 0x0
	global_load_b64 v[12:13], v[10:11], off
	s_mov_b32 s10, 0
	s_wait_loadcnt 0x0
	v_xor_b32_e32 v5, v12, v13
	v_cls_i32_e32 v7, v13
	s_delay_alu instid0(VALU_DEP_2) | instskip(NEXT) | instid1(VALU_DEP_1)
	v_ashrrev_i32_e32 v5, 31, v5
	v_add_nc_u32_e32 v5, 32, v5
	s_delay_alu instid0(VALU_DEP_1) | instskip(NEXT) | instid1(VALU_DEP_1)
	v_add_min_u32_e64 v5, v7, -1, v5
	v_lshlrev_b64_e32 v[12:13], v5, v[12:13]
	v_sub_nc_u32_e32 v5, 32, v5
	s_delay_alu instid0(VALU_DEP_2) | instskip(NEXT) | instid1(VALU_DEP_1)
	v_min_u32_e32 v7, 1, v12
	v_or_b32_e32 v7, v13, v7
	s_delay_alu instid0(VALU_DEP_1) | instskip(NEXT) | instid1(VALU_DEP_1)
	v_cvt_f32_i32_e32 v7, v7
	v_ldexp_f32 v5, v7, v5
	s_delay_alu instid0(VALU_DEP_1)
	v_cvt_f16_f32_e32 v12, v5
	s_branch .LBB23_1526
.LBB23_1523:
	s_mov_b32 s10, -1
                                        ; implicit-def: $vgpr12
	s_branch .LBB23_1532
.LBB23_1524:
	s_mov_b32 s10, -1
                                        ; implicit-def: $vgpr12
	s_branch .LBB23_1529
.LBB23_1525:
	s_mov_b32 s10, -1
                                        ; implicit-def: $vgpr12
.LBB23_1526:
	s_delay_alu instid0(SALU_CYCLE_1)
	s_and_not1_b32 vcc_lo, exec_lo, s10
	s_cbranch_vccnz .LBB23_1528
; %bb.1527:
	global_load_b32 v5, v[10:11], off
	s_wait_loadcnt 0x0
	v_cvt_f32_i32_e32 v5, v5
	s_wait_xcnt 0x1
	s_delay_alu instid0(VALU_DEP_1)
	v_cvt_f16_f32_e32 v12, v5
.LBB23_1528:
	s_mov_b32 s10, 0
.LBB23_1529:
	s_delay_alu instid0(SALU_CYCLE_1)
	s_and_not1_b32 vcc_lo, exec_lo, s10
	s_cbranch_vccnz .LBB23_1531
; %bb.1530:
	global_load_u16 v5, v[10:11], off
	s_wait_loadcnt 0x0
	s_wait_xcnt 0x1
	v_cvt_f16_i16_e32 v12, v5
.LBB23_1531:
	s_mov_b32 s10, 0
.LBB23_1532:
	s_delay_alu instid0(SALU_CYCLE_1)
	s_and_not1_b32 vcc_lo, exec_lo, s10
	s_cbranch_vccnz .LBB23_1538
; %bb.1533:
	s_cmp_gt_i32 s0, 0
	s_mov_b32 s10, 0
	s_cbranch_scc0 .LBB23_1535
; %bb.1534:
	global_load_i8 v5, v[10:11], off
	s_wait_loadcnt 0x0
	s_wait_xcnt 0x1
	v_cvt_f16_i16_e32 v12, v5
	s_branch .LBB23_1536
.LBB23_1535:
	s_mov_b32 s10, -1
                                        ; implicit-def: $vgpr12
.LBB23_1536:
	s_delay_alu instid0(SALU_CYCLE_1)
	s_and_not1_b32 vcc_lo, exec_lo, s10
	s_cbranch_vccnz .LBB23_1538
; %bb.1537:
	global_load_u8 v5, v[10:11], off
	s_wait_loadcnt 0x0
	s_wait_xcnt 0x1
	v_cvt_f16_u16_e32 v12, v5
.LBB23_1538:
.LBB23_1539:
	v_mov_b32_e32 v9, 0
	s_cmp_lt_i32 s0, 11
	s_delay_alu instid0(VALU_DEP_1)
	v_add_nc_u64_e32 v[8:9], s[6:7], v[8:9]
	s_cbranch_scc1 .LBB23_1546
; %bb.1540:
	s_cmp_gt_i32 s0, 25
	s_mov_b32 s7, 0
	s_cbranch_scc0 .LBB23_1547
; %bb.1541:
	s_cmp_gt_i32 s0, 28
	s_cbranch_scc0 .LBB23_1548
; %bb.1542:
	s_cmp_gt_i32 s0, 43
	;; [unrolled: 3-line block ×3, first 2 shown]
	s_cbranch_scc0 .LBB23_1551
; %bb.1544:
	s_cmp_eq_u32 s0, 46
	s_mov_b32 s11, 0
	s_cbranch_scc0 .LBB23_1552
; %bb.1545:
	global_load_b32 v5, v[8:9], off
	s_mov_b32 s6, 0
	s_mov_b32 s10, -1
	s_wait_loadcnt 0x0
	v_lshlrev_b32_e32 v5, 16, v5
	s_wait_xcnt 0x1
	s_delay_alu instid0(VALU_DEP_1)
	v_cvt_f16_f32_e32 v10, v5
	s_branch .LBB23_1554
.LBB23_1546:
	s_mov_b32 s6, -1
	s_mov_b32 s10, 0
                                        ; implicit-def: $vgpr10
	s_branch .LBB23_1620
.LBB23_1547:
	s_mov_b32 s11, -1
	s_mov_b32 s10, 0
	s_mov_b32 s6, 0
                                        ; implicit-def: $vgpr10
	s_branch .LBB23_1583
.LBB23_1548:
	s_mov_b32 s11, -1
	s_mov_b32 s10, 0
	s_mov_b32 s6, 0
                                        ; implicit-def: $vgpr10
	s_branch .LBB23_1564
.LBB23_1549:
	s_mov_b32 s11, -1
	s_mov_b32 s10, 0
	s_mov_b32 s6, 0
                                        ; implicit-def: $vgpr10
	s_branch .LBB23_1559
.LBB23_1550:
	s_or_b32 s1, s1, exec_lo
	s_trap 2
	s_cbranch_execz .LBB23_1489
	s_branch .LBB23_1490
.LBB23_1551:
	s_mov_b32 s11, -1
	s_mov_b32 s10, 0
	s_mov_b32 s6, 0
	s_branch .LBB23_1553
.LBB23_1552:
	s_mov_b32 s6, -1
	s_mov_b32 s10, 0
.LBB23_1553:
                                        ; implicit-def: $vgpr10
.LBB23_1554:
	s_and_b32 vcc_lo, exec_lo, s11
	s_cbranch_vccz .LBB23_1558
; %bb.1555:
	s_cmp_eq_u32 s0, 44
	s_cbranch_scc0 .LBB23_1557
; %bb.1556:
	global_load_u8 v5, v[8:9], off
	s_mov_b32 s6, 0
	s_mov_b32 s10, -1
	s_wait_loadcnt 0x0
	v_lshlrev_b32_e32 v7, 23, v5
	v_cmp_ne_u32_e32 vcc_lo, 0xff, v5
	s_delay_alu instid0(VALU_DEP_2) | instskip(NEXT) | instid1(VALU_DEP_1)
	v_cvt_f16_f32_e32 v7, v7
	v_cndmask_b32_e32 v7, 0x7e00, v7, vcc_lo
	v_cmp_ne_u32_e32 vcc_lo, 0, v5
	s_wait_xcnt 0x1
	s_delay_alu instid0(VALU_DEP_2)
	v_cndmask_b32_e32 v10, 0, v7, vcc_lo
	s_branch .LBB23_1558
.LBB23_1557:
	s_mov_b32 s6, -1
                                        ; implicit-def: $vgpr10
.LBB23_1558:
	s_mov_b32 s11, 0
.LBB23_1559:
	s_delay_alu instid0(SALU_CYCLE_1)
	s_and_b32 vcc_lo, exec_lo, s11
	s_cbranch_vccz .LBB23_1563
; %bb.1560:
	s_cmp_eq_u32 s0, 29
	s_cbranch_scc0 .LBB23_1562
; %bb.1561:
	global_load_b64 v[10:11], v[8:9], off
	s_mov_b32 s6, 0
	s_mov_b32 s10, -1
	s_mov_b32 s11, 0
	s_wait_loadcnt 0x0
	v_clz_i32_u32_e32 v5, v11
	s_delay_alu instid0(VALU_DEP_1) | instskip(NEXT) | instid1(VALU_DEP_1)
	v_min_u32_e32 v5, 32, v5
	v_lshlrev_b64_e32 v[10:11], v5, v[10:11]
	v_sub_nc_u32_e32 v5, 32, v5
	s_delay_alu instid0(VALU_DEP_2) | instskip(NEXT) | instid1(VALU_DEP_1)
	v_min_u32_e32 v7, 1, v10
	v_or_b32_e32 v7, v11, v7
	s_delay_alu instid0(VALU_DEP_1) | instskip(NEXT) | instid1(VALU_DEP_1)
	v_cvt_f32_u32_e32 v7, v7
	v_ldexp_f32 v5, v7, v5
	s_delay_alu instid0(VALU_DEP_1)
	v_cvt_f16_f32_e32 v10, v5
	s_branch .LBB23_1564
.LBB23_1562:
	s_mov_b32 s6, -1
                                        ; implicit-def: $vgpr10
.LBB23_1563:
	s_mov_b32 s11, 0
.LBB23_1564:
	s_delay_alu instid0(SALU_CYCLE_1)
	s_and_b32 vcc_lo, exec_lo, s11
	s_cbranch_vccz .LBB23_1582
; %bb.1565:
	s_cmp_lt_i32 s0, 27
	s_cbranch_scc1 .LBB23_1568
; %bb.1566:
	s_cmp_gt_i32 s0, 27
	s_cbranch_scc0 .LBB23_1569
; %bb.1567:
	global_load_b32 v5, v[8:9], off
	s_mov_b32 s10, 0
	s_wait_loadcnt 0x0
	v_cvt_f32_u32_e32 v5, v5
	s_wait_xcnt 0x1
	s_delay_alu instid0(VALU_DEP_1)
	v_cvt_f16_f32_e32 v10, v5
	s_branch .LBB23_1570
.LBB23_1568:
	s_mov_b32 s10, -1
                                        ; implicit-def: $vgpr10
	s_branch .LBB23_1573
.LBB23_1569:
	s_mov_b32 s10, -1
                                        ; implicit-def: $vgpr10
.LBB23_1570:
	s_delay_alu instid0(SALU_CYCLE_1)
	s_and_not1_b32 vcc_lo, exec_lo, s10
	s_cbranch_vccnz .LBB23_1572
; %bb.1571:
	global_load_u16 v5, v[8:9], off
	s_wait_loadcnt 0x0
	s_wait_xcnt 0x1
	v_cvt_f16_u16_e32 v10, v5
.LBB23_1572:
	s_mov_b32 s10, 0
.LBB23_1573:
	s_delay_alu instid0(SALU_CYCLE_1)
	s_and_not1_b32 vcc_lo, exec_lo, s10
	s_cbranch_vccnz .LBB23_1581
; %bb.1574:
	global_load_u8 v5, v[8:9], off
	s_mov_b32 s10, 0
	s_mov_b32 s11, exec_lo
	s_wait_loadcnt 0x0
	v_cmpx_lt_i16_e32 0x7f, v5
	s_xor_b32 s11, exec_lo, s11
	s_cbranch_execz .LBB23_1595
; %bb.1575:
	s_mov_b32 s10, -1
	s_mov_b32 s12, exec_lo
	v_cmpx_eq_u16_e32 0x80, v5
; %bb.1576:
	s_xor_b32 s10, exec_lo, -1
; %bb.1577:
	s_or_b32 exec_lo, exec_lo, s12
	s_delay_alu instid0(SALU_CYCLE_1)
	s_and_b32 s10, s10, exec_lo
	s_or_saveexec_b32 s11, s11
	v_mov_b32_e32 v10, 0x7e00
	s_xor_b32 exec_lo, exec_lo, s11
	s_cbranch_execnz .LBB23_1596
.LBB23_1578:
	s_or_b32 exec_lo, exec_lo, s11
	s_and_saveexec_b32 s11, s10
	s_cbranch_execz .LBB23_1580
.LBB23_1579:
	v_and_b32_e32 v7, 0xffff, v5
	s_delay_alu instid0(VALU_DEP_1) | instskip(SKIP_1) | instid1(VALU_DEP_2)
	v_dual_lshlrev_b32 v5, 24, v5 :: v_dual_bitop2_b32 v10, 7, v7 bitop3:0x40
	v_bfe_u32 v14, v7, 3, 4
	v_and_b32_e32 v5, 0x80000000, v5
	s_delay_alu instid0(VALU_DEP_3) | instskip(NEXT) | instid1(VALU_DEP_3)
	v_clz_i32_u32_e32 v11, v10
	v_cmp_eq_u32_e32 vcc_lo, 0, v14
	s_delay_alu instid0(VALU_DEP_2) | instskip(NEXT) | instid1(VALU_DEP_1)
	v_min_u32_e32 v11, 32, v11
	v_subrev_nc_u32_e32 v13, 28, v11
	v_sub_nc_u32_e32 v11, 29, v11
	s_delay_alu instid0(VALU_DEP_2) | instskip(NEXT) | instid1(VALU_DEP_2)
	v_lshlrev_b32_e32 v7, v13, v7
	v_cndmask_b32_e32 v11, v14, v11, vcc_lo
	s_delay_alu instid0(VALU_DEP_2) | instskip(NEXT) | instid1(VALU_DEP_1)
	v_and_b32_e32 v7, 7, v7
	v_cndmask_b32_e32 v7, v10, v7, vcc_lo
	s_delay_alu instid0(VALU_DEP_3) | instskip(NEXT) | instid1(VALU_DEP_2)
	v_lshl_add_u32 v10, v11, 23, 0x3b800000
	v_lshlrev_b32_e32 v7, 20, v7
	s_delay_alu instid0(VALU_DEP_1) | instskip(NEXT) | instid1(VALU_DEP_1)
	v_or3_b32 v5, v5, v10, v7
	v_cvt_f16_f32_e32 v10, v5
.LBB23_1580:
	s_or_b32 exec_lo, exec_lo, s11
.LBB23_1581:
	s_mov_b32 s10, -1
.LBB23_1582:
	s_mov_b32 s11, 0
.LBB23_1583:
	s_delay_alu instid0(SALU_CYCLE_1)
	s_and_b32 vcc_lo, exec_lo, s11
	s_cbranch_vccz .LBB23_1616
; %bb.1584:
	s_cmp_gt_i32 s0, 22
	s_cbranch_scc0 .LBB23_1594
; %bb.1585:
	s_cmp_lt_i32 s0, 24
	s_cbranch_scc1 .LBB23_1597
; %bb.1586:
	s_cmp_gt_i32 s0, 24
	s_cbranch_scc0 .LBB23_1598
; %bb.1587:
	global_load_u8 v5, v[8:9], off
	s_mov_b32 s10, exec_lo
	s_wait_loadcnt 0x0
	v_cmpx_lt_i16_e32 0x7f, v5
	s_xor_b32 s10, exec_lo, s10
	s_cbranch_execz .LBB23_1610
; %bb.1588:
	s_mov_b32 s7, -1
	s_mov_b32 s11, exec_lo
	v_cmpx_eq_u16_e32 0x80, v5
; %bb.1589:
	s_xor_b32 s7, exec_lo, -1
; %bb.1590:
	s_or_b32 exec_lo, exec_lo, s11
	s_delay_alu instid0(SALU_CYCLE_1)
	s_and_b32 s7, s7, exec_lo
	s_or_saveexec_b32 s10, s10
	v_mov_b32_e32 v10, 0x7e00
	s_xor_b32 exec_lo, exec_lo, s10
	s_cbranch_execnz .LBB23_1611
.LBB23_1591:
	s_or_b32 exec_lo, exec_lo, s10
	s_and_saveexec_b32 s10, s7
	s_cbranch_execz .LBB23_1593
.LBB23_1592:
	v_and_b32_e32 v7, 0xffff, v5
	s_delay_alu instid0(VALU_DEP_1) | instskip(SKIP_1) | instid1(VALU_DEP_2)
	v_dual_lshlrev_b32 v5, 24, v5 :: v_dual_bitop2_b32 v10, 3, v7 bitop3:0x40
	v_bfe_u32 v14, v7, 2, 5
	v_and_b32_e32 v5, 0x80000000, v5
	s_delay_alu instid0(VALU_DEP_3) | instskip(NEXT) | instid1(VALU_DEP_3)
	v_clz_i32_u32_e32 v11, v10
	v_cmp_eq_u32_e32 vcc_lo, 0, v14
	s_delay_alu instid0(VALU_DEP_2) | instskip(NEXT) | instid1(VALU_DEP_1)
	v_min_u32_e32 v11, 32, v11
	v_subrev_nc_u32_e32 v13, 29, v11
	v_sub_nc_u32_e32 v11, 30, v11
	s_delay_alu instid0(VALU_DEP_2) | instskip(NEXT) | instid1(VALU_DEP_2)
	v_lshlrev_b32_e32 v7, v13, v7
	v_cndmask_b32_e32 v11, v14, v11, vcc_lo
	s_delay_alu instid0(VALU_DEP_2) | instskip(NEXT) | instid1(VALU_DEP_1)
	v_and_b32_e32 v7, 3, v7
	v_cndmask_b32_e32 v7, v10, v7, vcc_lo
	s_delay_alu instid0(VALU_DEP_3) | instskip(NEXT) | instid1(VALU_DEP_2)
	v_lshl_add_u32 v10, v11, 23, 0x37800000
	v_lshlrev_b32_e32 v7, 21, v7
	s_delay_alu instid0(VALU_DEP_1) | instskip(NEXT) | instid1(VALU_DEP_1)
	v_or3_b32 v5, v5, v10, v7
	v_cvt_f16_f32_e32 v10, v5
.LBB23_1593:
	s_or_b32 exec_lo, exec_lo, s10
	s_mov_b32 s7, 0
	s_branch .LBB23_1599
.LBB23_1594:
	s_mov_b32 s7, -1
                                        ; implicit-def: $vgpr10
	s_branch .LBB23_1605
.LBB23_1595:
	s_or_saveexec_b32 s11, s11
	v_mov_b32_e32 v10, 0x7e00
	s_xor_b32 exec_lo, exec_lo, s11
	s_cbranch_execz .LBB23_1578
.LBB23_1596:
	v_cmp_ne_u16_e32 vcc_lo, 0, v5
	v_mov_b32_e32 v10, v5
	s_and_not1_b32 s10, s10, exec_lo
	s_and_b32 s12, vcc_lo, exec_lo
	s_delay_alu instid0(SALU_CYCLE_1)
	s_or_b32 s10, s10, s12
	s_or_b32 exec_lo, exec_lo, s11
	s_and_saveexec_b32 s11, s10
	s_cbranch_execnz .LBB23_1579
	s_branch .LBB23_1580
.LBB23_1597:
	s_mov_b32 s7, -1
                                        ; implicit-def: $vgpr10
	s_branch .LBB23_1602
.LBB23_1598:
	s_mov_b32 s7, -1
                                        ; implicit-def: $vgpr10
.LBB23_1599:
	s_delay_alu instid0(SALU_CYCLE_1)
	s_and_b32 vcc_lo, exec_lo, s7
	s_cbranch_vccz .LBB23_1601
; %bb.1600:
	global_load_u8 v5, v[8:9], off
	s_wait_loadcnt 0x0
	v_lshlrev_b32_e32 v5, 24, v5
	s_delay_alu instid0(VALU_DEP_1) | instskip(SKIP_1) | instid1(VALU_DEP_1)
	v_and_b32_e32 v7, 0x7f000000, v5
	s_wait_xcnt 0x1
	v_clz_i32_u32_e32 v10, v7
	v_add_nc_u32_e32 v13, 0x1000000, v7
	v_cmp_ne_u32_e32 vcc_lo, 0, v7
	s_delay_alu instid0(VALU_DEP_3) | instskip(NEXT) | instid1(VALU_DEP_1)
	v_min_u32_e32 v10, 32, v10
	v_sub_nc_u32_e64 v10, v10, 4 clamp
	s_delay_alu instid0(VALU_DEP_1) | instskip(NEXT) | instid1(VALU_DEP_1)
	v_dual_lshlrev_b32 v11, v10, v7 :: v_dual_lshlrev_b32 v10, 23, v10
	v_lshrrev_b32_e32 v11, 4, v11
	s_delay_alu instid0(VALU_DEP_1) | instskip(NEXT) | instid1(VALU_DEP_1)
	v_dual_sub_nc_u32 v10, v11, v10 :: v_dual_ashrrev_i32 v11, 8, v13
	v_add_nc_u32_e32 v10, 0x3c000000, v10
	s_delay_alu instid0(VALU_DEP_1) | instskip(NEXT) | instid1(VALU_DEP_1)
	v_and_or_b32 v10, 0x7f800000, v11, v10
	v_cndmask_b32_e32 v7, 0, v10, vcc_lo
	s_delay_alu instid0(VALU_DEP_1) | instskip(NEXT) | instid1(VALU_DEP_1)
	v_and_or_b32 v5, 0x80000000, v5, v7
	v_cvt_f16_f32_e32 v10, v5
.LBB23_1601:
	s_mov_b32 s7, 0
.LBB23_1602:
	s_delay_alu instid0(SALU_CYCLE_1)
	s_and_not1_b32 vcc_lo, exec_lo, s7
	s_cbranch_vccnz .LBB23_1604
; %bb.1603:
	global_load_u8 v5, v[8:9], off
	s_wait_loadcnt 0x0
	v_lshlrev_b32_e32 v7, 25, v5
	v_lshlrev_b16 v5, 8, v5
	s_wait_xcnt 0x1
	s_delay_alu instid0(VALU_DEP_1) | instskip(SKIP_1) | instid1(VALU_DEP_2)
	v_and_or_b32 v11, 0x7f00, v5, 0.5
	v_bfe_i32 v5, v5, 0, 16
	v_add_f32_e32 v11, -0.5, v11
	v_lshrrev_b32_e32 v10, 4, v7
	v_cmp_gt_u32_e32 vcc_lo, 0x8000000, v7
	s_delay_alu instid0(VALU_DEP_2) | instskip(NEXT) | instid1(VALU_DEP_1)
	v_or_b32_e32 v10, 0x70000000, v10
	v_mul_f32_e32 v10, 0x7800000, v10
	s_delay_alu instid0(VALU_DEP_1) | instskip(NEXT) | instid1(VALU_DEP_1)
	v_cndmask_b32_e32 v7, v10, v11, vcc_lo
	v_and_or_b32 v5, 0x80000000, v5, v7
	s_delay_alu instid0(VALU_DEP_1)
	v_cvt_f16_f32_e32 v10, v5
.LBB23_1604:
	s_mov_b32 s7, 0
	s_mov_b32 s10, -1
.LBB23_1605:
	s_and_not1_b32 vcc_lo, exec_lo, s7
	s_mov_b32 s7, 0
	s_cbranch_vccnz .LBB23_1616
; %bb.1606:
	s_cmp_gt_i32 s0, 14
	s_cbranch_scc0 .LBB23_1609
; %bb.1607:
	s_cmp_eq_u32 s0, 15
	s_cbranch_scc0 .LBB23_1612
; %bb.1608:
	global_load_u16 v5, v[8:9], off
	s_mov_b32 s6, 0
	s_mov_b32 s10, -1
	s_wait_loadcnt 0x0
	v_lshlrev_b32_e32 v5, 16, v5
	s_wait_xcnt 0x1
	s_delay_alu instid0(VALU_DEP_1)
	v_cvt_f16_f32_e32 v10, v5
	s_branch .LBB23_1614
.LBB23_1609:
	s_mov_b32 s7, -1
	s_branch .LBB23_1613
.LBB23_1610:
	s_or_saveexec_b32 s10, s10
	v_mov_b32_e32 v10, 0x7e00
	s_xor_b32 exec_lo, exec_lo, s10
	s_cbranch_execz .LBB23_1591
.LBB23_1611:
	v_cmp_ne_u16_e32 vcc_lo, 0, v5
	v_mov_b32_e32 v10, v5
	s_and_not1_b32 s7, s7, exec_lo
	s_and_b32 s11, vcc_lo, exec_lo
	s_delay_alu instid0(SALU_CYCLE_1)
	s_or_b32 s7, s7, s11
	s_or_b32 exec_lo, exec_lo, s10
	s_and_saveexec_b32 s10, s7
	s_cbranch_execnz .LBB23_1592
	s_branch .LBB23_1593
.LBB23_1612:
	s_mov_b32 s6, -1
.LBB23_1613:
                                        ; implicit-def: $vgpr10
.LBB23_1614:
	s_and_b32 vcc_lo, exec_lo, s7
	s_mov_b32 s7, 0
	s_cbranch_vccz .LBB23_1616
; %bb.1615:
	s_cmp_lg_u32 s0, 11
	s_mov_b32 s7, -1
	s_cselect_b32 s6, -1, 0
.LBB23_1616:
	s_delay_alu instid0(SALU_CYCLE_1)
	s_and_b32 vcc_lo, exec_lo, s6
	s_cbranch_vccnz .LBB23_2145
; %bb.1617:
	s_and_not1_b32 vcc_lo, exec_lo, s7
	s_cbranch_vccnz .LBB23_1619
.LBB23_1618:
	global_load_u8 v5, v[8:9], off
	s_mov_b32 s10, -1
	s_wait_loadcnt 0x0
	v_cmp_ne_u16_e32 vcc_lo, 0, v5
	s_wait_xcnt 0x1
	v_cndmask_b32_e64 v10, 0, 0x3c00, vcc_lo
.LBB23_1619:
	s_mov_b32 s6, 0
.LBB23_1620:
	s_delay_alu instid0(SALU_CYCLE_1)
	s_and_b32 vcc_lo, exec_lo, s6
	s_cbranch_vccz .LBB23_1669
; %bb.1621:
	s_cmp_lt_i32 s0, 5
	s_cbranch_scc1 .LBB23_1626
; %bb.1622:
	s_cmp_lt_i32 s0, 8
	s_cbranch_scc1 .LBB23_1627
	;; [unrolled: 3-line block ×3, first 2 shown]
; %bb.1624:
	s_cmp_gt_i32 s0, 9
	s_cbranch_scc0 .LBB23_1629
; %bb.1625:
	global_load_b64 v[10:11], v[8:9], off
	s_mov_b32 s6, 0
	s_wait_loadcnt 0x0
	v_and_or_b32 v5, 0x1ff, v11, v10
	v_lshrrev_b32_e32 v7, 8, v11
	v_bfe_u32 v10, v11, 20, 11
	s_delay_alu instid0(VALU_DEP_3) | instskip(NEXT) | instid1(VALU_DEP_2)
	v_cmp_ne_u32_e32 vcc_lo, 0, v5
	v_sub_nc_u32_e32 v13, 0x3f1, v10
	v_add_nc_u32_e32 v10, 0xfffffc10, v10
	v_cndmask_b32_e64 v5, 0, 1, vcc_lo
	s_delay_alu instid0(VALU_DEP_1) | instskip(NEXT) | instid1(VALU_DEP_4)
	v_and_or_b32 v5, 0xffe, v7, v5
	v_med3_i32 v7, v13, 0, 13
	s_delay_alu instid0(VALU_DEP_2) | instskip(NEXT) | instid1(VALU_DEP_1)
	v_or_b32_e32 v13, 0x1000, v5
	v_lshrrev_b32_e32 v14, v7, v13
	s_delay_alu instid0(VALU_DEP_1) | instskip(NEXT) | instid1(VALU_DEP_1)
	v_lshlrev_b32_e32 v7, v7, v14
	v_cmp_ne_u32_e32 vcc_lo, v7, v13
	v_lshl_or_b32 v13, v10, 12, v5
	v_cndmask_b32_e64 v7, 0, 1, vcc_lo
	v_cmp_gt_i32_e32 vcc_lo, 1, v10
	s_delay_alu instid0(VALU_DEP_2) | instskip(NEXT) | instid1(VALU_DEP_1)
	v_or_b32_e32 v7, v14, v7
	v_cndmask_b32_e32 v7, v13, v7, vcc_lo
	s_delay_alu instid0(VALU_DEP_1) | instskip(NEXT) | instid1(VALU_DEP_1)
	v_dual_lshrrev_b32 v7, 2, v7 :: v_dual_bitop2_b32 v13, 7, v7 bitop3:0x40
	v_cmp_lt_i32_e32 vcc_lo, 5, v13
	v_cndmask_b32_e64 v14, 0, 1, vcc_lo
	v_cmp_eq_u32_e32 vcc_lo, 3, v13
	v_cndmask_b32_e64 v13, 0, 1, vcc_lo
	v_cmp_ne_u32_e32 vcc_lo, 0, v5
	s_delay_alu instid0(VALU_DEP_2) | instskip(NEXT) | instid1(VALU_DEP_1)
	v_or_b32_e32 v13, v13, v14
	v_dual_mov_b32 v14, 0x7e00 :: v_dual_add_nc_u32 v7, v7, v13
	s_delay_alu instid0(VALU_DEP_1) | instskip(SKIP_1) | instid1(VALU_DEP_3)
	v_cndmask_b32_e32 v5, 0x7c00, v14, vcc_lo
	v_cmp_gt_i32_e32 vcc_lo, 31, v10
	v_cndmask_b32_e32 v7, 0x7c00, v7, vcc_lo
	v_cmp_eq_u32_e32 vcc_lo, 0x40f, v10
	s_delay_alu instid0(VALU_DEP_2) | instskip(NEXT) | instid1(VALU_DEP_1)
	v_dual_cndmask_b32 v5, v7, v5, vcc_lo :: v_dual_lshrrev_b32 v7, 16, v11
	v_and_or_b32 v10, 0x8000, v7, v5
	s_branch .LBB23_1630
.LBB23_1626:
	s_mov_b32 s6, -1
                                        ; implicit-def: $vgpr10
	s_branch .LBB23_1648
.LBB23_1627:
	s_mov_b32 s6, -1
                                        ; implicit-def: $vgpr10
	s_branch .LBB23_1636
.LBB23_1628:
	s_mov_b32 s6, -1
                                        ; implicit-def: $vgpr10
	s_branch .LBB23_1633
.LBB23_1629:
	s_mov_b32 s6, -1
                                        ; implicit-def: $vgpr10
.LBB23_1630:
	s_delay_alu instid0(SALU_CYCLE_1)
	s_and_not1_b32 vcc_lo, exec_lo, s6
	s_cbranch_vccnz .LBB23_1632
; %bb.1631:
	global_load_b32 v5, v[8:9], off
	s_wait_loadcnt 0x0
	s_wait_xcnt 0x1
	v_cvt_f16_f32_e32 v10, v5
.LBB23_1632:
	s_mov_b32 s6, 0
.LBB23_1633:
	s_delay_alu instid0(SALU_CYCLE_1)
	s_and_not1_b32 vcc_lo, exec_lo, s6
	s_cbranch_vccnz .LBB23_1635
; %bb.1634:
	global_load_b32 v10, v[8:9], off
.LBB23_1635:
	s_mov_b32 s6, 0
.LBB23_1636:
	s_delay_alu instid0(SALU_CYCLE_1)
	s_and_not1_b32 vcc_lo, exec_lo, s6
	s_cbranch_vccnz .LBB23_1647
; %bb.1637:
	s_cmp_lt_i32 s0, 6
	s_cbranch_scc1 .LBB23_1640
; %bb.1638:
	s_cmp_gt_i32 s0, 6
	s_cbranch_scc0 .LBB23_1641
; %bb.1639:
	s_wait_loadcnt 0x0
	global_load_b64 v[10:11], v[8:9], off
	s_mov_b32 s6, 0
	s_wait_loadcnt 0x0
	v_and_or_b32 v5, 0x1ff, v11, v10
	v_lshrrev_b32_e32 v7, 8, v11
	v_bfe_u32 v10, v11, 20, 11
	s_delay_alu instid0(VALU_DEP_3) | instskip(NEXT) | instid1(VALU_DEP_2)
	v_cmp_ne_u32_e32 vcc_lo, 0, v5
	v_sub_nc_u32_e32 v13, 0x3f1, v10
	v_add_nc_u32_e32 v10, 0xfffffc10, v10
	v_cndmask_b32_e64 v5, 0, 1, vcc_lo
	s_delay_alu instid0(VALU_DEP_1) | instskip(NEXT) | instid1(VALU_DEP_4)
	v_and_or_b32 v5, 0xffe, v7, v5
	v_med3_i32 v7, v13, 0, 13
	s_delay_alu instid0(VALU_DEP_2) | instskip(NEXT) | instid1(VALU_DEP_1)
	v_or_b32_e32 v13, 0x1000, v5
	v_lshrrev_b32_e32 v14, v7, v13
	s_delay_alu instid0(VALU_DEP_1) | instskip(NEXT) | instid1(VALU_DEP_1)
	v_lshlrev_b32_e32 v7, v7, v14
	v_cmp_ne_u32_e32 vcc_lo, v7, v13
	v_lshl_or_b32 v13, v10, 12, v5
	v_cndmask_b32_e64 v7, 0, 1, vcc_lo
	v_cmp_gt_i32_e32 vcc_lo, 1, v10
	s_delay_alu instid0(VALU_DEP_2) | instskip(NEXT) | instid1(VALU_DEP_1)
	v_or_b32_e32 v7, v14, v7
	v_cndmask_b32_e32 v7, v13, v7, vcc_lo
	s_delay_alu instid0(VALU_DEP_1) | instskip(NEXT) | instid1(VALU_DEP_1)
	v_dual_lshrrev_b32 v7, 2, v7 :: v_dual_bitop2_b32 v13, 7, v7 bitop3:0x40
	v_cmp_lt_i32_e32 vcc_lo, 5, v13
	v_cndmask_b32_e64 v14, 0, 1, vcc_lo
	v_cmp_eq_u32_e32 vcc_lo, 3, v13
	v_cndmask_b32_e64 v13, 0, 1, vcc_lo
	v_cmp_ne_u32_e32 vcc_lo, 0, v5
	s_delay_alu instid0(VALU_DEP_2) | instskip(NEXT) | instid1(VALU_DEP_1)
	v_or_b32_e32 v13, v13, v14
	v_dual_mov_b32 v14, 0x7e00 :: v_dual_add_nc_u32 v7, v7, v13
	s_delay_alu instid0(VALU_DEP_1) | instskip(SKIP_1) | instid1(VALU_DEP_3)
	v_cndmask_b32_e32 v5, 0x7c00, v14, vcc_lo
	v_cmp_gt_i32_e32 vcc_lo, 31, v10
	v_cndmask_b32_e32 v7, 0x7c00, v7, vcc_lo
	v_cmp_eq_u32_e32 vcc_lo, 0x40f, v10
	s_delay_alu instid0(VALU_DEP_2) | instskip(NEXT) | instid1(VALU_DEP_1)
	v_dual_cndmask_b32 v5, v7, v5, vcc_lo :: v_dual_lshrrev_b32 v7, 16, v11
	v_and_or_b32 v10, 0x8000, v7, v5
	s_branch .LBB23_1642
.LBB23_1640:
	s_mov_b32 s6, -1
                                        ; implicit-def: $vgpr10
	s_branch .LBB23_1645
.LBB23_1641:
	s_mov_b32 s6, -1
                                        ; implicit-def: $vgpr10
.LBB23_1642:
	s_delay_alu instid0(SALU_CYCLE_1)
	s_and_not1_b32 vcc_lo, exec_lo, s6
	s_cbranch_vccnz .LBB23_1644
; %bb.1643:
	global_load_b32 v5, v[8:9], off
	s_wait_loadcnt 0x0
	s_wait_xcnt 0x1
	v_cvt_f16_f32_e32 v10, v5
.LBB23_1644:
	s_mov_b32 s6, 0
.LBB23_1645:
	s_delay_alu instid0(SALU_CYCLE_1)
	s_and_not1_b32 vcc_lo, exec_lo, s6
	s_cbranch_vccnz .LBB23_1647
; %bb.1646:
	s_wait_loadcnt 0x0
	global_load_u16 v10, v[8:9], off
.LBB23_1647:
	s_mov_b32 s6, 0
.LBB23_1648:
	s_delay_alu instid0(SALU_CYCLE_1)
	s_and_not1_b32 vcc_lo, exec_lo, s6
	s_cbranch_vccnz .LBB23_1668
; %bb.1649:
	s_cmp_lt_i32 s0, 2
	s_cbranch_scc1 .LBB23_1653
; %bb.1650:
	s_cmp_lt_i32 s0, 3
	s_cbranch_scc1 .LBB23_1654
; %bb.1651:
	s_cmp_gt_i32 s0, 3
	s_cbranch_scc0 .LBB23_1655
; %bb.1652:
	s_wait_loadcnt 0x0
	global_load_b64 v[10:11], v[8:9], off
	s_mov_b32 s6, 0
	s_wait_loadcnt 0x0
	v_xor_b32_e32 v5, v10, v11
	v_cls_i32_e32 v7, v11
	s_delay_alu instid0(VALU_DEP_2) | instskip(NEXT) | instid1(VALU_DEP_1)
	v_ashrrev_i32_e32 v5, 31, v5
	v_add_nc_u32_e32 v5, 32, v5
	s_delay_alu instid0(VALU_DEP_1) | instskip(NEXT) | instid1(VALU_DEP_1)
	v_add_min_u32_e64 v5, v7, -1, v5
	v_lshlrev_b64_e32 v[10:11], v5, v[10:11]
	v_sub_nc_u32_e32 v5, 32, v5
	s_delay_alu instid0(VALU_DEP_2) | instskip(NEXT) | instid1(VALU_DEP_1)
	v_min_u32_e32 v7, 1, v10
	v_or_b32_e32 v7, v11, v7
	s_delay_alu instid0(VALU_DEP_1) | instskip(NEXT) | instid1(VALU_DEP_1)
	v_cvt_f32_i32_e32 v7, v7
	v_ldexp_f32 v5, v7, v5
	s_delay_alu instid0(VALU_DEP_1)
	v_cvt_f16_f32_e32 v10, v5
	s_branch .LBB23_1656
.LBB23_1653:
	s_mov_b32 s6, -1
                                        ; implicit-def: $vgpr10
	s_branch .LBB23_1662
.LBB23_1654:
	s_mov_b32 s6, -1
                                        ; implicit-def: $vgpr10
	s_branch .LBB23_1659
.LBB23_1655:
	s_mov_b32 s6, -1
                                        ; implicit-def: $vgpr10
.LBB23_1656:
	s_delay_alu instid0(SALU_CYCLE_1)
	s_and_not1_b32 vcc_lo, exec_lo, s6
	s_cbranch_vccnz .LBB23_1658
; %bb.1657:
	global_load_b32 v5, v[8:9], off
	s_wait_loadcnt 0x0
	v_cvt_f32_i32_e32 v5, v5
	s_wait_xcnt 0x1
	s_delay_alu instid0(VALU_DEP_1)
	v_cvt_f16_f32_e32 v10, v5
.LBB23_1658:
	s_mov_b32 s6, 0
.LBB23_1659:
	s_delay_alu instid0(SALU_CYCLE_1)
	s_and_not1_b32 vcc_lo, exec_lo, s6
	s_cbranch_vccnz .LBB23_1661
; %bb.1660:
	global_load_u16 v5, v[8:9], off
	s_wait_loadcnt 0x0
	s_wait_xcnt 0x1
	v_cvt_f16_i16_e32 v10, v5
.LBB23_1661:
	s_mov_b32 s6, 0
.LBB23_1662:
	s_delay_alu instid0(SALU_CYCLE_1)
	s_and_not1_b32 vcc_lo, exec_lo, s6
	s_cbranch_vccnz .LBB23_1668
; %bb.1663:
	s_cmp_gt_i32 s0, 0
	s_mov_b32 s0, 0
	s_cbranch_scc0 .LBB23_1665
; %bb.1664:
	global_load_i8 v5, v[8:9], off
	s_wait_loadcnt 0x0
	s_wait_xcnt 0x1
	v_cvt_f16_i16_e32 v10, v5
	s_branch .LBB23_1666
.LBB23_1665:
	s_mov_b32 s0, -1
                                        ; implicit-def: $vgpr10
.LBB23_1666:
	s_delay_alu instid0(SALU_CYCLE_1)
	s_and_not1_b32 vcc_lo, exec_lo, s0
	s_cbranch_vccnz .LBB23_1668
; %bb.1667:
	global_load_u8 v5, v[8:9], off
	s_wait_loadcnt 0x0
	s_wait_xcnt 0x1
	v_cvt_f16_u16_e32 v10, v5
.LBB23_1668:
	s_mov_b32 s10, -1
.LBB23_1669:
	s_delay_alu instid0(SALU_CYCLE_1)
	s_and_not1_b32 vcc_lo, exec_lo, s10
	s_cbranch_vccnz .LBB23_2100
; %bb.1670:
	v_mov_b32_e32 v7, 0
	s_mov_b32 s10, 0
	global_load_u8 v5, v7, s[2:3] offset:346
	s_wait_xcnt 0x0
	s_load_b32 s2, s[2:3], 0x158
	s_wait_loadcnt 0x1
	s_wait_kmcnt 0x0
	v_cmp_nge_f16_e64 s3, v1, -s2
	v_cmp_nge_f16_e32 vcc_lo, s2, v1
	s_or_b32 vcc_lo, s3, vcc_lo
	v_cndmask_b32_e32 v1, 0, v1, vcc_lo
	v_add_nc_u64_e32 v[6:7], s[4:5], v[6:7]
	s_wait_loadcnt 0x0
	v_and_b32_e32 v8, 0xffff, v5
	v_readfirstlane_b32 s6, v5
	s_delay_alu instid0(VALU_DEP_2)
	v_cmp_gt_i32_e64 s0, 11, v8
	s_and_b32 vcc_lo, exec_lo, s0
	s_mov_b32 s0, -1
	s_cbranch_vccnz .LBB23_1749
; %bb.1671:
	s_and_b32 s3, 0xffff, s6
	s_mov_b32 s11, -1
	s_mov_b32 s7, 0
	s_cmp_gt_i32 s3, 25
	s_mov_b32 s0, 0
	s_cbranch_scc0 .LBB23_1704
; %bb.1672:
	s_cmp_gt_i32 s3, 28
	s_cbranch_scc0 .LBB23_1687
; %bb.1673:
	s_cmp_gt_i32 s3, 43
	;; [unrolled: 3-line block ×3, first 2 shown]
	s_cbranch_scc0 .LBB23_1677
; %bb.1675:
	s_mov_b32 s0, -1
	s_mov_b32 s11, 0
	s_cmp_eq_u32 s3, 46
	s_cbranch_scc0 .LBB23_1677
; %bb.1676:
	v_cvt_f32_f16_e32 v5, v1
	v_cmp_o_f16_e32 vcc_lo, v1, v1
	s_mov_b32 s0, 0
	s_mov_b32 s10, -1
	s_delay_alu instid0(VALU_DEP_2) | instskip(NEXT) | instid1(VALU_DEP_1)
	v_bfe_u32 v8, v5, 16, 1
	v_add3_u32 v5, v5, v8, 0x7fff
	s_delay_alu instid0(VALU_DEP_1) | instskip(NEXT) | instid1(VALU_DEP_1)
	v_lshrrev_b32_e32 v5, 16, v5
	v_cndmask_b32_e32 v5, 0x7fc0, v5, vcc_lo
	global_store_b32 v[6:7], v5, off
.LBB23_1677:
	s_and_b32 vcc_lo, exec_lo, s11
	s_cbranch_vccz .LBB23_1682
; %bb.1678:
	s_cmp_eq_u32 s3, 44
	s_mov_b32 s0, -1
	s_cbranch_scc0 .LBB23_1682
; %bb.1679:
	s_wait_xcnt 0x0
	v_cvt_f32_f16_e32 v5, v1
	v_mov_b32_e32 v8, 0xff
	s_mov_b32 s10, exec_lo
	s_delay_alu instid0(VALU_DEP_2) | instskip(NEXT) | instid1(VALU_DEP_1)
	v_bfe_u32 v9, v5, 23, 8
	v_cmpx_ne_u32_e32 0xff, v9
	s_cbranch_execz .LBB23_1681
; %bb.1680:
	v_and_b32_e32 v8, 0x400000, v5
	v_and_or_b32 v9, 0x3fffff, v5, v9
	v_lshrrev_b32_e32 v5, 23, v5
	s_delay_alu instid0(VALU_DEP_3) | instskip(NEXT) | instid1(VALU_DEP_3)
	v_cmp_ne_u32_e32 vcc_lo, 0, v8
	v_cmp_ne_u32_e64 s0, 0, v9
	s_and_b32 s0, vcc_lo, s0
	s_delay_alu instid0(SALU_CYCLE_1) | instskip(NEXT) | instid1(VALU_DEP_1)
	v_cndmask_b32_e64 v8, 0, 1, s0
	v_add_nc_u32_e32 v8, v5, v8
.LBB23_1681:
	s_or_b32 exec_lo, exec_lo, s10
	s_mov_b32 s0, 0
	s_mov_b32 s10, -1
	global_store_b8 v[6:7], v8, off
.LBB23_1682:
	s_mov_b32 s11, 0
.LBB23_1683:
	s_delay_alu instid0(SALU_CYCLE_1)
	s_and_b32 vcc_lo, exec_lo, s11
	s_cbranch_vccz .LBB23_1686
; %bb.1684:
	s_cmp_eq_u32 s3, 29
	s_mov_b32 s0, -1
	s_cbranch_scc0 .LBB23_1686
; %bb.1685:
	s_wait_xcnt 0x0
	v_cvt_f32_f16_e32 v5, v1
	v_mov_b32_e32 v9, 0
	s_mov_b32 s0, 0
	s_mov_b32 s10, -1
	s_delay_alu instid0(VALU_DEP_2)
	v_cvt_u32_f32_e32 v8, v5
	global_store_b64 v[6:7], v[8:9], off
.LBB23_1686:
	s_mov_b32 s11, 0
.LBB23_1687:
	s_delay_alu instid0(SALU_CYCLE_1)
	s_and_b32 vcc_lo, exec_lo, s11
	s_cbranch_vccz .LBB23_1703
; %bb.1688:
	s_cmp_lt_i32 s3, 27
	s_mov_b32 s10, -1
	s_cbranch_scc1 .LBB23_1694
; %bb.1689:
	s_cmp_gt_i32 s3, 27
	s_cbranch_scc0 .LBB23_1691
; %bb.1690:
	s_wait_xcnt 0x0
	v_cvt_f32_f16_e32 v5, v1
	s_mov_b32 s10, 0
	s_delay_alu instid0(VALU_DEP_1)
	v_cvt_u32_f32_e32 v5, v5
	global_store_b32 v[6:7], v5, off
.LBB23_1691:
	s_and_not1_b32 vcc_lo, exec_lo, s10
	s_cbranch_vccnz .LBB23_1693
; %bb.1692:
	s_wait_xcnt 0x0
	v_cvt_u16_f16_e32 v5, v1
	global_store_b16 v[6:7], v5, off
.LBB23_1693:
	s_mov_b32 s10, 0
.LBB23_1694:
	s_delay_alu instid0(SALU_CYCLE_1)
	s_and_not1_b32 vcc_lo, exec_lo, s10
	s_cbranch_vccnz .LBB23_1702
; %bb.1695:
	s_wait_xcnt 0x0
	v_cvt_f32_f16_e32 v5, v1
	v_mov_b32_e32 v9, 0x80
	s_mov_b32 s10, exec_lo
	s_delay_alu instid0(VALU_DEP_2) | instskip(NEXT) | instid1(VALU_DEP_1)
	v_and_b32_e32 v8, 0x7fffffff, v5
	v_cmpx_gt_u32_e32 0x43800000, v8
	s_cbranch_execz .LBB23_1701
; %bb.1696:
	v_cmp_lt_u32_e32 vcc_lo, 0x3bffffff, v8
	s_mov_b32 s11, 0
                                        ; implicit-def: $vgpr8
	s_and_saveexec_b32 s12, vcc_lo
	s_delay_alu instid0(SALU_CYCLE_1)
	s_xor_b32 s12, exec_lo, s12
	s_cbranch_execz .LBB23_2146
; %bb.1697:
	v_bfe_u32 v8, v5, 20, 1
	s_mov_b32 s11, exec_lo
	s_delay_alu instid0(VALU_DEP_1) | instskip(NEXT) | instid1(VALU_DEP_1)
	v_add3_u32 v8, v5, v8, 0x487ffff
	v_lshrrev_b32_e32 v8, 20, v8
	s_and_not1_saveexec_b32 s12, s12
	s_cbranch_execnz .LBB23_2147
.LBB23_1698:
	s_or_b32 exec_lo, exec_lo, s12
	v_mov_b32_e32 v9, 0
	s_and_saveexec_b32 s12, s11
.LBB23_1699:
	v_lshrrev_b32_e32 v5, 24, v5
	s_delay_alu instid0(VALU_DEP_1)
	v_and_or_b32 v9, 0x80, v5, v8
.LBB23_1700:
	s_or_b32 exec_lo, exec_lo, s12
.LBB23_1701:
	s_delay_alu instid0(SALU_CYCLE_1)
	s_or_b32 exec_lo, exec_lo, s10
	global_store_b8 v[6:7], v9, off
.LBB23_1702:
	s_mov_b32 s10, -1
.LBB23_1703:
	s_mov_b32 s11, 0
.LBB23_1704:
	s_delay_alu instid0(SALU_CYCLE_1)
	s_and_b32 vcc_lo, exec_lo, s11
	s_cbranch_vccz .LBB23_1744
; %bb.1705:
	s_cmp_gt_i32 s3, 22
	s_mov_b32 s7, -1
	s_cbranch_scc0 .LBB23_1737
; %bb.1706:
	s_cmp_lt_i32 s3, 24
	s_cbranch_scc1 .LBB23_1726
; %bb.1707:
	s_cmp_gt_i32 s3, 24
	s_cbranch_scc0 .LBB23_1715
; %bb.1708:
	s_wait_xcnt 0x0
	v_cvt_f32_f16_e32 v5, v1
	v_mov_b32_e32 v9, 0x80
	s_mov_b32 s7, exec_lo
	s_delay_alu instid0(VALU_DEP_2) | instskip(NEXT) | instid1(VALU_DEP_1)
	v_and_b32_e32 v8, 0x7fffffff, v5
	v_cmpx_gt_u32_e32 0x47800000, v8
	s_cbranch_execz .LBB23_1714
; %bb.1709:
	v_cmp_lt_u32_e32 vcc_lo, 0x37ffffff, v8
	s_mov_b32 s10, 0
                                        ; implicit-def: $vgpr8
	s_and_saveexec_b32 s11, vcc_lo
	s_delay_alu instid0(SALU_CYCLE_1)
	s_xor_b32 s11, exec_lo, s11
	s_cbranch_execz .LBB23_2149
; %bb.1710:
	v_bfe_u32 v8, v5, 21, 1
	s_mov_b32 s10, exec_lo
	s_delay_alu instid0(VALU_DEP_1) | instskip(NEXT) | instid1(VALU_DEP_1)
	v_add3_u32 v8, v5, v8, 0x88fffff
	v_lshrrev_b32_e32 v8, 21, v8
	s_and_not1_saveexec_b32 s11, s11
	s_cbranch_execnz .LBB23_2150
.LBB23_1711:
	s_or_b32 exec_lo, exec_lo, s11
	v_mov_b32_e32 v9, 0
	s_and_saveexec_b32 s11, s10
.LBB23_1712:
	v_lshrrev_b32_e32 v5, 24, v5
	s_delay_alu instid0(VALU_DEP_1)
	v_and_or_b32 v9, 0x80, v5, v8
.LBB23_1713:
	s_or_b32 exec_lo, exec_lo, s11
.LBB23_1714:
	s_delay_alu instid0(SALU_CYCLE_1)
	s_or_b32 exec_lo, exec_lo, s7
	s_mov_b32 s7, 0
	global_store_b8 v[6:7], v9, off
.LBB23_1715:
	s_and_b32 vcc_lo, exec_lo, s7
	s_cbranch_vccz .LBB23_1725
; %bb.1716:
	s_wait_xcnt 0x0
	v_cvt_f32_f16_e32 v5, v1
	s_mov_b32 s7, exec_lo
                                        ; implicit-def: $vgpr8
	s_delay_alu instid0(VALU_DEP_1) | instskip(NEXT) | instid1(VALU_DEP_1)
	v_and_b32_e32 v9, 0x7fffffff, v5
	v_cmpx_gt_u32_e32 0x43f00000, v9
	s_xor_b32 s7, exec_lo, s7
	s_cbranch_execz .LBB23_1722
; %bb.1717:
	s_mov_b32 s10, exec_lo
                                        ; implicit-def: $vgpr8
	v_cmpx_lt_u32_e32 0x3c7fffff, v9
	s_xor_b32 s10, exec_lo, s10
; %bb.1718:
	v_bfe_u32 v8, v5, 20, 1
	s_delay_alu instid0(VALU_DEP_1) | instskip(NEXT) | instid1(VALU_DEP_1)
	v_add3_u32 v8, v5, v8, 0x407ffff
	v_and_b32_e32 v9, 0xff00000, v8
	v_lshrrev_b32_e32 v8, 20, v8
	s_delay_alu instid0(VALU_DEP_2) | instskip(NEXT) | instid1(VALU_DEP_2)
	v_cmp_ne_u32_e32 vcc_lo, 0x7f00000, v9
	v_cndmask_b32_e32 v8, 0x7e, v8, vcc_lo
; %bb.1719:
	s_and_not1_saveexec_b32 s10, s10
; %bb.1720:
	v_add_f32_e64 v8, 0x46800000, |v5|
; %bb.1721:
	s_or_b32 exec_lo, exec_lo, s10
                                        ; implicit-def: $vgpr9
.LBB23_1722:
	s_and_not1_saveexec_b32 s7, s7
; %bb.1723:
	v_mov_b32_e32 v8, 0x7f
	v_cmp_lt_u32_e32 vcc_lo, 0x7f800000, v9
	s_delay_alu instid0(VALU_DEP_2)
	v_cndmask_b32_e32 v8, 0x7e, v8, vcc_lo
; %bb.1724:
	s_or_b32 exec_lo, exec_lo, s7
	v_lshrrev_b32_e32 v5, 24, v5
	s_delay_alu instid0(VALU_DEP_1)
	v_and_or_b32 v5, 0x80, v5, v8
	global_store_b8 v[6:7], v5, off
.LBB23_1725:
	s_mov_b32 s7, 0
.LBB23_1726:
	s_delay_alu instid0(SALU_CYCLE_1)
	s_and_not1_b32 vcc_lo, exec_lo, s7
	s_cbranch_vccnz .LBB23_1736
; %bb.1727:
	s_wait_xcnt 0x0
	v_cvt_f32_f16_e32 v5, v1
	s_mov_b32 s7, exec_lo
                                        ; implicit-def: $vgpr8
	s_delay_alu instid0(VALU_DEP_1) | instskip(NEXT) | instid1(VALU_DEP_1)
	v_and_b32_e32 v9, 0x7fffffff, v5
	v_cmpx_gt_u32_e32 0x47800000, v9
	s_xor_b32 s7, exec_lo, s7
	s_cbranch_execz .LBB23_1733
; %bb.1728:
	s_mov_b32 s10, exec_lo
                                        ; implicit-def: $vgpr8
	v_cmpx_lt_u32_e32 0x387fffff, v9
	s_xor_b32 s10, exec_lo, s10
; %bb.1729:
	v_bfe_u32 v8, v5, 21, 1
	s_delay_alu instid0(VALU_DEP_1) | instskip(NEXT) | instid1(VALU_DEP_1)
	v_add3_u32 v8, v5, v8, 0x80fffff
	v_lshrrev_b32_e32 v8, 21, v8
; %bb.1730:
	s_and_not1_saveexec_b32 s10, s10
; %bb.1731:
	v_add_f32_e64 v8, 0x43000000, |v5|
; %bb.1732:
	s_or_b32 exec_lo, exec_lo, s10
                                        ; implicit-def: $vgpr9
.LBB23_1733:
	s_and_not1_saveexec_b32 s7, s7
; %bb.1734:
	v_mov_b32_e32 v8, 0x7f
	v_cmp_lt_u32_e32 vcc_lo, 0x7f800000, v9
	s_delay_alu instid0(VALU_DEP_2)
	v_cndmask_b32_e32 v8, 0x7c, v8, vcc_lo
; %bb.1735:
	s_or_b32 exec_lo, exec_lo, s7
	v_lshrrev_b32_e32 v5, 24, v5
	s_delay_alu instid0(VALU_DEP_1)
	v_and_or_b32 v5, 0x80, v5, v8
	global_store_b8 v[6:7], v5, off
.LBB23_1736:
	s_mov_b32 s7, 0
	s_mov_b32 s10, -1
.LBB23_1737:
	s_and_not1_b32 vcc_lo, exec_lo, s7
	s_mov_b32 s7, 0
	s_cbranch_vccnz .LBB23_1744
; %bb.1738:
	s_cmp_gt_i32 s3, 14
	s_mov_b32 s7, -1
	s_cbranch_scc0 .LBB23_1742
; %bb.1739:
	s_cmp_eq_u32 s3, 15
	s_mov_b32 s0, -1
	s_cbranch_scc0 .LBB23_1741
; %bb.1740:
	s_wait_xcnt 0x0
	v_cvt_f32_f16_e32 v5, v1
	v_cmp_o_f16_e32 vcc_lo, v1, v1
	s_mov_b32 s0, 0
	s_mov_b32 s10, -1
	s_delay_alu instid0(VALU_DEP_2) | instskip(NEXT) | instid1(VALU_DEP_1)
	v_bfe_u32 v8, v5, 16, 1
	v_add3_u32 v5, v5, v8, 0x7fff
	s_delay_alu instid0(VALU_DEP_1) | instskip(NEXT) | instid1(VALU_DEP_1)
	v_lshrrev_b32_e32 v5, 16, v5
	v_cndmask_b32_e32 v5, 0x7fc0, v5, vcc_lo
	global_store_b16 v[6:7], v5, off
.LBB23_1741:
	s_mov_b32 s7, 0
.LBB23_1742:
	s_delay_alu instid0(SALU_CYCLE_1)
	s_and_b32 vcc_lo, exec_lo, s7
	s_mov_b32 s7, 0
	s_cbranch_vccz .LBB23_1744
; %bb.1743:
	s_cmp_lg_u32 s3, 11
	s_mov_b32 s7, -1
	s_cselect_b32 s0, -1, 0
.LBB23_1744:
	s_delay_alu instid0(SALU_CYCLE_1)
	s_and_b32 vcc_lo, exec_lo, s0
	s_cbranch_vccnz .LBB23_2148
; %bb.1745:
	s_and_not1_b32 vcc_lo, exec_lo, s7
	s_cbranch_vccnz .LBB23_1747
.LBB23_1746:
	s_wait_xcnt 0x0
	v_and_b32_e32 v5, 0x7fff, v1
	s_mov_b32 s10, -1
	s_delay_alu instid0(VALU_DEP_1)
	v_cmp_ne_u16_e32 vcc_lo, 0, v5
	v_cndmask_b32_e64 v5, 0, 1, vcc_lo
	global_store_b8 v[6:7], v5, off
.LBB23_1747:
.LBB23_1748:
	s_and_not1_b32 vcc_lo, exec_lo, s10
	s_cbranch_vccz .LBB23_1788
	s_branch .LBB23_2100
.LBB23_1749:
	s_and_b32 vcc_lo, exec_lo, s0
	s_cbranch_vccz .LBB23_1748
; %bb.1750:
	s_and_b32 s0, 0xffff, s6
	s_mov_b32 s3, -1
	s_cmp_lt_i32 s0, 5
	s_cbranch_scc1 .LBB23_1771
; %bb.1751:
	s_cmp_lt_i32 s0, 8
	s_cbranch_scc1 .LBB23_1761
; %bb.1752:
	;; [unrolled: 3-line block ×3, first 2 shown]
	s_cmp_gt_i32 s0, 9
	s_cbranch_scc0 .LBB23_1755
; %bb.1754:
	s_wait_xcnt 0x0
	v_cvt_f32_f16_e32 v5, v1
	v_mov_b32_e32 v16, 0
	s_mov_b32 s3, 0
	s_delay_alu instid0(VALU_DEP_2) | instskip(NEXT) | instid1(VALU_DEP_2)
	v_cvt_f64_f32_e32 v[14:15], v5
	v_mov_b32_e32 v17, v16
	global_store_b128 v[6:7], v[14:17], off
.LBB23_1755:
	s_and_not1_b32 vcc_lo, exec_lo, s3
	s_cbranch_vccnz .LBB23_1757
; %bb.1756:
	s_wait_xcnt 0x0
	v_cvt_f32_f16_e32 v8, v1
	v_mov_b32_e32 v9, 0
	global_store_b64 v[6:7], v[8:9], off
.LBB23_1757:
	s_mov_b32 s3, 0
.LBB23_1758:
	s_delay_alu instid0(SALU_CYCLE_1)
	s_and_not1_b32 vcc_lo, exec_lo, s3
	s_cbranch_vccnz .LBB23_1760
; %bb.1759:
	s_wait_xcnt 0x0
	v_and_b32_e32 v5, 0xffff, v1
	global_store_b32 v[6:7], v5, off
.LBB23_1760:
	s_mov_b32 s3, 0
.LBB23_1761:
	s_delay_alu instid0(SALU_CYCLE_1)
	s_and_not1_b32 vcc_lo, exec_lo, s3
	s_cbranch_vccnz .LBB23_1770
; %bb.1762:
	s_cmp_lt_i32 s0, 6
	s_mov_b32 s3, -1
	s_cbranch_scc1 .LBB23_1768
; %bb.1763:
	s_cmp_gt_i32 s0, 6
	s_cbranch_scc0 .LBB23_1765
; %bb.1764:
	s_wait_xcnt 0x0
	v_cvt_f32_f16_e32 v5, v1
	s_mov_b32 s3, 0
	s_delay_alu instid0(VALU_DEP_1)
	v_cvt_f64_f32_e32 v[8:9], v5
	global_store_b64 v[6:7], v[8:9], off
.LBB23_1765:
	s_and_not1_b32 vcc_lo, exec_lo, s3
	s_cbranch_vccnz .LBB23_1767
; %bb.1766:
	s_wait_xcnt 0x0
	v_cvt_f32_f16_e32 v5, v1
	global_store_b32 v[6:7], v5, off
.LBB23_1767:
	s_mov_b32 s3, 0
.LBB23_1768:
	s_delay_alu instid0(SALU_CYCLE_1)
	s_and_not1_b32 vcc_lo, exec_lo, s3
	s_cbranch_vccnz .LBB23_1770
; %bb.1769:
	global_store_b16 v[6:7], v1, off
.LBB23_1770:
	s_mov_b32 s3, 0
.LBB23_1771:
	s_delay_alu instid0(SALU_CYCLE_1)
	s_and_not1_b32 vcc_lo, exec_lo, s3
	s_cbranch_vccnz .LBB23_1787
; %bb.1772:
	s_cmp_lt_i32 s0, 2
	s_mov_b32 s3, -1
	s_cbranch_scc1 .LBB23_1782
; %bb.1773:
	s_cmp_lt_i32 s0, 3
	s_cbranch_scc1 .LBB23_1779
; %bb.1774:
	s_cmp_gt_i32 s0, 3
	s_cbranch_scc0 .LBB23_1776
; %bb.1775:
	s_wait_xcnt 0x0
	v_cvt_f32_f16_e32 v5, v1
	s_mov_b32 s3, 0
	s_delay_alu instid0(VALU_DEP_1) | instskip(NEXT) | instid1(VALU_DEP_1)
	v_cvt_i32_f32_e32 v8, v5
	v_ashrrev_i32_e32 v9, 31, v8
	global_store_b64 v[6:7], v[8:9], off
.LBB23_1776:
	s_and_not1_b32 vcc_lo, exec_lo, s3
	s_cbranch_vccnz .LBB23_1778
; %bb.1777:
	s_wait_xcnt 0x0
	v_cvt_f32_f16_e32 v5, v1
	s_delay_alu instid0(VALU_DEP_1)
	v_cvt_i32_f32_e32 v5, v5
	global_store_b32 v[6:7], v5, off
.LBB23_1778:
	s_mov_b32 s3, 0
.LBB23_1779:
	s_delay_alu instid0(SALU_CYCLE_1)
	s_and_not1_b32 vcc_lo, exec_lo, s3
	s_cbranch_vccnz .LBB23_1781
; %bb.1780:
	s_wait_xcnt 0x0
	v_cvt_i16_f16_e32 v5, v1
	global_store_b16 v[6:7], v5, off
.LBB23_1781:
	s_mov_b32 s3, 0
.LBB23_1782:
	s_delay_alu instid0(SALU_CYCLE_1)
	s_and_not1_b32 vcc_lo, exec_lo, s3
	s_cbranch_vccnz .LBB23_1787
; %bb.1783:
	s_cmp_gt_i32 s0, 0
	s_mov_b32 s0, -1
	s_cbranch_scc0 .LBB23_1785
; %bb.1784:
	s_wait_xcnt 0x0
	v_cvt_i16_f16_e32 v5, v1
	s_mov_b32 s0, 0
	global_store_b8 v[6:7], v5, off
.LBB23_1785:
	s_and_not1_b32 vcc_lo, exec_lo, s0
	s_cbranch_vccnz .LBB23_1787
; %bb.1786:
	s_wait_xcnt 0x0
	v_cvt_f32_f16_e32 v1, v1
	s_delay_alu instid0(VALU_DEP_1)
	v_cvt_i32_f32_e32 v1, v1
	global_store_b8 v[6:7], v1, off
.LBB23_1787:
.LBB23_1788:
	v_cmp_nge_f16_e64 s0, v3, -s2
	v_cmp_nge_f16_e32 vcc_lo, s2, v3
	s_and_b32 s3, 0xffff, s6
	s_mov_b32 s10, 0
	s_or_b32 vcc_lo, s0, vcc_lo
	s_wait_xcnt 0x0
	v_dual_mov_b32 v5, 0 :: v_dual_cndmask_b32 v1, 0, v3, vcc_lo
	s_cmp_lt_i32 s3, 11
	s_mov_b32 s0, -1
	s_delay_alu instid0(VALU_DEP_1)
	v_add_nc_u64_e32 v[4:5], s[4:5], v[4:5]
	s_cbranch_scc1 .LBB23_1867
; %bb.1789:
	s_mov_b32 s11, -1
	s_mov_b32 s7, 0
	s_cmp_gt_i32 s3, 25
	s_mov_b32 s0, 0
	s_cbranch_scc0 .LBB23_1822
; %bb.1790:
	s_cmp_gt_i32 s3, 28
	s_cbranch_scc0 .LBB23_1805
; %bb.1791:
	s_cmp_gt_i32 s3, 43
	;; [unrolled: 3-line block ×3, first 2 shown]
	s_cbranch_scc0 .LBB23_1795
; %bb.1793:
	s_mov_b32 s0, -1
	s_mov_b32 s11, 0
	s_cmp_eq_u32 s3, 46
	s_cbranch_scc0 .LBB23_1795
; %bb.1794:
	v_cvt_f32_f16_e32 v3, v1
	v_cmp_o_f16_e32 vcc_lo, v1, v1
	s_mov_b32 s0, 0
	s_mov_b32 s10, -1
	s_delay_alu instid0(VALU_DEP_2) | instskip(NEXT) | instid1(VALU_DEP_1)
	v_bfe_u32 v6, v3, 16, 1
	v_add3_u32 v3, v3, v6, 0x7fff
	s_delay_alu instid0(VALU_DEP_1) | instskip(NEXT) | instid1(VALU_DEP_1)
	v_lshrrev_b32_e32 v3, 16, v3
	v_cndmask_b32_e32 v3, 0x7fc0, v3, vcc_lo
	global_store_b32 v[4:5], v3, off
.LBB23_1795:
	s_and_b32 vcc_lo, exec_lo, s11
	s_cbranch_vccz .LBB23_1800
; %bb.1796:
	s_cmp_eq_u32 s3, 44
	s_mov_b32 s0, -1
	s_cbranch_scc0 .LBB23_1800
; %bb.1797:
	s_wait_xcnt 0x0
	v_cvt_f32_f16_e32 v3, v1
	v_mov_b32_e32 v6, 0xff
	s_mov_b32 s10, exec_lo
	s_delay_alu instid0(VALU_DEP_2) | instskip(NEXT) | instid1(VALU_DEP_1)
	v_bfe_u32 v7, v3, 23, 8
	v_cmpx_ne_u32_e32 0xff, v7
	s_cbranch_execz .LBB23_1799
; %bb.1798:
	v_and_b32_e32 v6, 0x400000, v3
	v_and_or_b32 v7, 0x3fffff, v3, v7
	v_lshrrev_b32_e32 v3, 23, v3
	s_delay_alu instid0(VALU_DEP_3) | instskip(NEXT) | instid1(VALU_DEP_3)
	v_cmp_ne_u32_e32 vcc_lo, 0, v6
	v_cmp_ne_u32_e64 s0, 0, v7
	s_and_b32 s0, vcc_lo, s0
	s_delay_alu instid0(SALU_CYCLE_1) | instskip(NEXT) | instid1(VALU_DEP_1)
	v_cndmask_b32_e64 v6, 0, 1, s0
	v_add_nc_u32_e32 v6, v3, v6
.LBB23_1799:
	s_or_b32 exec_lo, exec_lo, s10
	s_mov_b32 s0, 0
	s_mov_b32 s10, -1
	global_store_b8 v[4:5], v6, off
.LBB23_1800:
	s_mov_b32 s11, 0
.LBB23_1801:
	s_delay_alu instid0(SALU_CYCLE_1)
	s_and_b32 vcc_lo, exec_lo, s11
	s_cbranch_vccz .LBB23_1804
; %bb.1802:
	s_cmp_eq_u32 s3, 29
	s_mov_b32 s0, -1
	s_cbranch_scc0 .LBB23_1804
; %bb.1803:
	s_wait_xcnt 0x0
	v_cvt_f32_f16_e32 v3, v1
	v_mov_b32_e32 v7, 0
	s_mov_b32 s0, 0
	s_mov_b32 s10, -1
	s_delay_alu instid0(VALU_DEP_2)
	v_cvt_u32_f32_e32 v6, v3
	global_store_b64 v[4:5], v[6:7], off
.LBB23_1804:
	s_mov_b32 s11, 0
.LBB23_1805:
	s_delay_alu instid0(SALU_CYCLE_1)
	s_and_b32 vcc_lo, exec_lo, s11
	s_cbranch_vccz .LBB23_1821
; %bb.1806:
	s_cmp_lt_i32 s3, 27
	s_mov_b32 s10, -1
	s_cbranch_scc1 .LBB23_1812
; %bb.1807:
	s_cmp_gt_i32 s3, 27
	s_cbranch_scc0 .LBB23_1809
; %bb.1808:
	s_wait_xcnt 0x0
	v_cvt_f32_f16_e32 v3, v1
	s_mov_b32 s10, 0
	s_delay_alu instid0(VALU_DEP_1)
	v_cvt_u32_f32_e32 v3, v3
	global_store_b32 v[4:5], v3, off
.LBB23_1809:
	s_and_not1_b32 vcc_lo, exec_lo, s10
	s_cbranch_vccnz .LBB23_1811
; %bb.1810:
	s_wait_xcnt 0x0
	v_cvt_u16_f16_e32 v3, v1
	global_store_b16 v[4:5], v3, off
.LBB23_1811:
	s_mov_b32 s10, 0
.LBB23_1812:
	s_delay_alu instid0(SALU_CYCLE_1)
	s_and_not1_b32 vcc_lo, exec_lo, s10
	s_cbranch_vccnz .LBB23_1820
; %bb.1813:
	s_wait_xcnt 0x0
	v_cvt_f32_f16_e32 v3, v1
	v_mov_b32_e32 v7, 0x80
	s_mov_b32 s10, exec_lo
	s_delay_alu instid0(VALU_DEP_2) | instskip(NEXT) | instid1(VALU_DEP_1)
	v_and_b32_e32 v6, 0x7fffffff, v3
	v_cmpx_gt_u32_e32 0x43800000, v6
	s_cbranch_execz .LBB23_1819
; %bb.1814:
	v_cmp_lt_u32_e32 vcc_lo, 0x3bffffff, v6
	s_mov_b32 s11, 0
                                        ; implicit-def: $vgpr6
	s_and_saveexec_b32 s12, vcc_lo
	s_delay_alu instid0(SALU_CYCLE_1)
	s_xor_b32 s12, exec_lo, s12
	s_cbranch_execz .LBB23_2151
; %bb.1815:
	v_bfe_u32 v6, v3, 20, 1
	s_mov_b32 s11, exec_lo
	s_delay_alu instid0(VALU_DEP_1) | instskip(NEXT) | instid1(VALU_DEP_1)
	v_add3_u32 v6, v3, v6, 0x487ffff
	v_lshrrev_b32_e32 v6, 20, v6
	s_and_not1_saveexec_b32 s12, s12
	s_cbranch_execnz .LBB23_2152
.LBB23_1816:
	s_or_b32 exec_lo, exec_lo, s12
	v_mov_b32_e32 v7, 0
	s_and_saveexec_b32 s12, s11
.LBB23_1817:
	v_lshrrev_b32_e32 v3, 24, v3
	s_delay_alu instid0(VALU_DEP_1)
	v_and_or_b32 v7, 0x80, v3, v6
.LBB23_1818:
	s_or_b32 exec_lo, exec_lo, s12
.LBB23_1819:
	s_delay_alu instid0(SALU_CYCLE_1)
	s_or_b32 exec_lo, exec_lo, s10
	global_store_b8 v[4:5], v7, off
.LBB23_1820:
	s_mov_b32 s10, -1
.LBB23_1821:
	s_mov_b32 s11, 0
.LBB23_1822:
	s_delay_alu instid0(SALU_CYCLE_1)
	s_and_b32 vcc_lo, exec_lo, s11
	s_cbranch_vccz .LBB23_1862
; %bb.1823:
	s_cmp_gt_i32 s3, 22
	s_mov_b32 s7, -1
	s_cbranch_scc0 .LBB23_1855
; %bb.1824:
	s_cmp_lt_i32 s3, 24
	s_cbranch_scc1 .LBB23_1844
; %bb.1825:
	s_cmp_gt_i32 s3, 24
	s_cbranch_scc0 .LBB23_1833
; %bb.1826:
	s_wait_xcnt 0x0
	v_cvt_f32_f16_e32 v3, v1
	v_mov_b32_e32 v7, 0x80
	s_mov_b32 s7, exec_lo
	s_delay_alu instid0(VALU_DEP_2) | instskip(NEXT) | instid1(VALU_DEP_1)
	v_and_b32_e32 v6, 0x7fffffff, v3
	v_cmpx_gt_u32_e32 0x47800000, v6
	s_cbranch_execz .LBB23_1832
; %bb.1827:
	v_cmp_lt_u32_e32 vcc_lo, 0x37ffffff, v6
	s_mov_b32 s10, 0
                                        ; implicit-def: $vgpr6
	s_and_saveexec_b32 s11, vcc_lo
	s_delay_alu instid0(SALU_CYCLE_1)
	s_xor_b32 s11, exec_lo, s11
	s_cbranch_execz .LBB23_2154
; %bb.1828:
	v_bfe_u32 v6, v3, 21, 1
	s_mov_b32 s10, exec_lo
	s_delay_alu instid0(VALU_DEP_1) | instskip(NEXT) | instid1(VALU_DEP_1)
	v_add3_u32 v6, v3, v6, 0x88fffff
	v_lshrrev_b32_e32 v6, 21, v6
	s_and_not1_saveexec_b32 s11, s11
	s_cbranch_execnz .LBB23_2155
.LBB23_1829:
	s_or_b32 exec_lo, exec_lo, s11
	v_mov_b32_e32 v7, 0
	s_and_saveexec_b32 s11, s10
.LBB23_1830:
	v_lshrrev_b32_e32 v3, 24, v3
	s_delay_alu instid0(VALU_DEP_1)
	v_and_or_b32 v7, 0x80, v3, v6
.LBB23_1831:
	s_or_b32 exec_lo, exec_lo, s11
.LBB23_1832:
	s_delay_alu instid0(SALU_CYCLE_1)
	s_or_b32 exec_lo, exec_lo, s7
	s_mov_b32 s7, 0
	global_store_b8 v[4:5], v7, off
.LBB23_1833:
	s_and_b32 vcc_lo, exec_lo, s7
	s_cbranch_vccz .LBB23_1843
; %bb.1834:
	s_wait_xcnt 0x0
	v_cvt_f32_f16_e32 v3, v1
	s_mov_b32 s7, exec_lo
                                        ; implicit-def: $vgpr6
	s_delay_alu instid0(VALU_DEP_1) | instskip(NEXT) | instid1(VALU_DEP_1)
	v_and_b32_e32 v7, 0x7fffffff, v3
	v_cmpx_gt_u32_e32 0x43f00000, v7
	s_xor_b32 s7, exec_lo, s7
	s_cbranch_execz .LBB23_1840
; %bb.1835:
	s_mov_b32 s10, exec_lo
                                        ; implicit-def: $vgpr6
	v_cmpx_lt_u32_e32 0x3c7fffff, v7
	s_xor_b32 s10, exec_lo, s10
; %bb.1836:
	v_bfe_u32 v6, v3, 20, 1
	s_delay_alu instid0(VALU_DEP_1) | instskip(NEXT) | instid1(VALU_DEP_1)
	v_add3_u32 v6, v3, v6, 0x407ffff
	v_and_b32_e32 v7, 0xff00000, v6
	v_lshrrev_b32_e32 v6, 20, v6
	s_delay_alu instid0(VALU_DEP_2) | instskip(NEXT) | instid1(VALU_DEP_2)
	v_cmp_ne_u32_e32 vcc_lo, 0x7f00000, v7
	v_cndmask_b32_e32 v6, 0x7e, v6, vcc_lo
; %bb.1837:
	s_and_not1_saveexec_b32 s10, s10
; %bb.1838:
	v_add_f32_e64 v6, 0x46800000, |v3|
; %bb.1839:
	s_or_b32 exec_lo, exec_lo, s10
                                        ; implicit-def: $vgpr7
.LBB23_1840:
	s_and_not1_saveexec_b32 s7, s7
; %bb.1841:
	v_mov_b32_e32 v6, 0x7f
	v_cmp_lt_u32_e32 vcc_lo, 0x7f800000, v7
	s_delay_alu instid0(VALU_DEP_2)
	v_cndmask_b32_e32 v6, 0x7e, v6, vcc_lo
; %bb.1842:
	s_or_b32 exec_lo, exec_lo, s7
	v_lshrrev_b32_e32 v3, 24, v3
	s_delay_alu instid0(VALU_DEP_1)
	v_and_or_b32 v3, 0x80, v3, v6
	global_store_b8 v[4:5], v3, off
.LBB23_1843:
	s_mov_b32 s7, 0
.LBB23_1844:
	s_delay_alu instid0(SALU_CYCLE_1)
	s_and_not1_b32 vcc_lo, exec_lo, s7
	s_cbranch_vccnz .LBB23_1854
; %bb.1845:
	s_wait_xcnt 0x0
	v_cvt_f32_f16_e32 v3, v1
	s_mov_b32 s7, exec_lo
                                        ; implicit-def: $vgpr6
	s_delay_alu instid0(VALU_DEP_1) | instskip(NEXT) | instid1(VALU_DEP_1)
	v_and_b32_e32 v7, 0x7fffffff, v3
	v_cmpx_gt_u32_e32 0x47800000, v7
	s_xor_b32 s7, exec_lo, s7
	s_cbranch_execz .LBB23_1851
; %bb.1846:
	s_mov_b32 s10, exec_lo
                                        ; implicit-def: $vgpr6
	v_cmpx_lt_u32_e32 0x387fffff, v7
	s_xor_b32 s10, exec_lo, s10
; %bb.1847:
	v_bfe_u32 v6, v3, 21, 1
	s_delay_alu instid0(VALU_DEP_1) | instskip(NEXT) | instid1(VALU_DEP_1)
	v_add3_u32 v6, v3, v6, 0x80fffff
	v_lshrrev_b32_e32 v6, 21, v6
; %bb.1848:
	s_and_not1_saveexec_b32 s10, s10
; %bb.1849:
	v_add_f32_e64 v6, 0x43000000, |v3|
; %bb.1850:
	s_or_b32 exec_lo, exec_lo, s10
                                        ; implicit-def: $vgpr7
.LBB23_1851:
	s_and_not1_saveexec_b32 s7, s7
; %bb.1852:
	v_mov_b32_e32 v6, 0x7f
	v_cmp_lt_u32_e32 vcc_lo, 0x7f800000, v7
	s_delay_alu instid0(VALU_DEP_2)
	v_cndmask_b32_e32 v6, 0x7c, v6, vcc_lo
; %bb.1853:
	s_or_b32 exec_lo, exec_lo, s7
	v_lshrrev_b32_e32 v3, 24, v3
	s_delay_alu instid0(VALU_DEP_1)
	v_and_or_b32 v3, 0x80, v3, v6
	global_store_b8 v[4:5], v3, off
.LBB23_1854:
	s_mov_b32 s7, 0
	s_mov_b32 s10, -1
.LBB23_1855:
	s_and_not1_b32 vcc_lo, exec_lo, s7
	s_mov_b32 s7, 0
	s_cbranch_vccnz .LBB23_1862
; %bb.1856:
	s_cmp_gt_i32 s3, 14
	s_mov_b32 s7, -1
	s_cbranch_scc0 .LBB23_1860
; %bb.1857:
	s_cmp_eq_u32 s3, 15
	s_mov_b32 s0, -1
	s_cbranch_scc0 .LBB23_1859
; %bb.1858:
	s_wait_xcnt 0x0
	v_cvt_f32_f16_e32 v3, v1
	v_cmp_o_f16_e32 vcc_lo, v1, v1
	s_mov_b32 s0, 0
	s_mov_b32 s10, -1
	s_delay_alu instid0(VALU_DEP_2) | instskip(NEXT) | instid1(VALU_DEP_1)
	v_bfe_u32 v6, v3, 16, 1
	v_add3_u32 v3, v3, v6, 0x7fff
	s_delay_alu instid0(VALU_DEP_1) | instskip(NEXT) | instid1(VALU_DEP_1)
	v_lshrrev_b32_e32 v3, 16, v3
	v_cndmask_b32_e32 v3, 0x7fc0, v3, vcc_lo
	global_store_b16 v[4:5], v3, off
.LBB23_1859:
	s_mov_b32 s7, 0
.LBB23_1860:
	s_delay_alu instid0(SALU_CYCLE_1)
	s_and_b32 vcc_lo, exec_lo, s7
	s_mov_b32 s7, 0
	s_cbranch_vccz .LBB23_1862
; %bb.1861:
	s_cmp_lg_u32 s3, 11
	s_mov_b32 s7, -1
	s_cselect_b32 s0, -1, 0
.LBB23_1862:
	s_delay_alu instid0(SALU_CYCLE_1)
	s_and_b32 vcc_lo, exec_lo, s0
	s_cbranch_vccnz .LBB23_2153
; %bb.1863:
	s_and_not1_b32 vcc_lo, exec_lo, s7
	s_cbranch_vccnz .LBB23_1865
.LBB23_1864:
	s_wait_xcnt 0x0
	v_and_b32_e32 v3, 0x7fff, v1
	s_mov_b32 s10, -1
	s_delay_alu instid0(VALU_DEP_1)
	v_cmp_ne_u16_e32 vcc_lo, 0, v3
	v_cndmask_b32_e64 v3, 0, 1, vcc_lo
	global_store_b8 v[4:5], v3, off
.LBB23_1865:
.LBB23_1866:
	s_and_not1_b32 vcc_lo, exec_lo, s10
	s_cbranch_vccz .LBB23_1906
	s_branch .LBB23_2100
.LBB23_1867:
	s_and_b32 vcc_lo, exec_lo, s0
	s_cbranch_vccz .LBB23_1866
; %bb.1868:
	s_cmp_lt_i32 s3, 5
	s_mov_b32 s0, -1
	s_cbranch_scc1 .LBB23_1889
; %bb.1869:
	s_cmp_lt_i32 s3, 8
	s_cbranch_scc1 .LBB23_1879
; %bb.1870:
	s_cmp_lt_i32 s3, 9
	s_cbranch_scc1 .LBB23_1876
; %bb.1871:
	s_cmp_gt_i32 s3, 9
	s_cbranch_scc0 .LBB23_1873
; %bb.1872:
	s_wait_xcnt 0x0
	v_cvt_f32_f16_e32 v3, v1
	v_mov_b32_e32 v8, 0
	s_mov_b32 s0, 0
	s_delay_alu instid0(VALU_DEP_2) | instskip(NEXT) | instid1(VALU_DEP_2)
	v_cvt_f64_f32_e32 v[6:7], v3
	v_mov_b32_e32 v9, v8
	global_store_b128 v[4:5], v[6:9], off
.LBB23_1873:
	s_and_not1_b32 vcc_lo, exec_lo, s0
	s_cbranch_vccnz .LBB23_1875
; %bb.1874:
	s_wait_xcnt 0x0
	v_cvt_f32_f16_e32 v6, v1
	v_mov_b32_e32 v7, 0
	global_store_b64 v[4:5], v[6:7], off
.LBB23_1875:
	s_mov_b32 s0, 0
.LBB23_1876:
	s_delay_alu instid0(SALU_CYCLE_1)
	s_and_not1_b32 vcc_lo, exec_lo, s0
	s_cbranch_vccnz .LBB23_1878
; %bb.1877:
	s_wait_xcnt 0x0
	v_and_b32_e32 v3, 0xffff, v1
	global_store_b32 v[4:5], v3, off
.LBB23_1878:
	s_mov_b32 s0, 0
.LBB23_1879:
	s_delay_alu instid0(SALU_CYCLE_1)
	s_and_not1_b32 vcc_lo, exec_lo, s0
	s_cbranch_vccnz .LBB23_1888
; %bb.1880:
	s_cmp_lt_i32 s3, 6
	s_mov_b32 s0, -1
	s_cbranch_scc1 .LBB23_1886
; %bb.1881:
	s_cmp_gt_i32 s3, 6
	s_cbranch_scc0 .LBB23_1883
; %bb.1882:
	s_wait_xcnt 0x0
	v_cvt_f32_f16_e32 v3, v1
	s_mov_b32 s0, 0
	s_delay_alu instid0(VALU_DEP_1)
	v_cvt_f64_f32_e32 v[6:7], v3
	global_store_b64 v[4:5], v[6:7], off
.LBB23_1883:
	s_and_not1_b32 vcc_lo, exec_lo, s0
	s_cbranch_vccnz .LBB23_1885
; %bb.1884:
	s_wait_xcnt 0x0
	v_cvt_f32_f16_e32 v3, v1
	global_store_b32 v[4:5], v3, off
.LBB23_1885:
	s_mov_b32 s0, 0
.LBB23_1886:
	s_delay_alu instid0(SALU_CYCLE_1)
	s_and_not1_b32 vcc_lo, exec_lo, s0
	s_cbranch_vccnz .LBB23_1888
; %bb.1887:
	global_store_b16 v[4:5], v1, off
.LBB23_1888:
	s_mov_b32 s0, 0
.LBB23_1889:
	s_delay_alu instid0(SALU_CYCLE_1)
	s_and_not1_b32 vcc_lo, exec_lo, s0
	s_cbranch_vccnz .LBB23_1905
; %bb.1890:
	s_cmp_lt_i32 s3, 2
	s_mov_b32 s0, -1
	s_cbranch_scc1 .LBB23_1900
; %bb.1891:
	s_cmp_lt_i32 s3, 3
	s_cbranch_scc1 .LBB23_1897
; %bb.1892:
	s_cmp_gt_i32 s3, 3
	s_cbranch_scc0 .LBB23_1894
; %bb.1893:
	s_wait_xcnt 0x0
	v_cvt_f32_f16_e32 v3, v1
	s_mov_b32 s0, 0
	s_delay_alu instid0(VALU_DEP_1) | instskip(NEXT) | instid1(VALU_DEP_1)
	v_cvt_i32_f32_e32 v6, v3
	v_ashrrev_i32_e32 v7, 31, v6
	global_store_b64 v[4:5], v[6:7], off
.LBB23_1894:
	s_and_not1_b32 vcc_lo, exec_lo, s0
	s_cbranch_vccnz .LBB23_1896
; %bb.1895:
	s_wait_xcnt 0x0
	v_cvt_f32_f16_e32 v3, v1
	s_delay_alu instid0(VALU_DEP_1)
	v_cvt_i32_f32_e32 v3, v3
	global_store_b32 v[4:5], v3, off
.LBB23_1896:
	s_mov_b32 s0, 0
.LBB23_1897:
	s_delay_alu instid0(SALU_CYCLE_1)
	s_and_not1_b32 vcc_lo, exec_lo, s0
	s_cbranch_vccnz .LBB23_1899
; %bb.1898:
	s_wait_xcnt 0x0
	v_cvt_i16_f16_e32 v3, v1
	global_store_b16 v[4:5], v3, off
.LBB23_1899:
	s_mov_b32 s0, 0
.LBB23_1900:
	s_delay_alu instid0(SALU_CYCLE_1)
	s_and_not1_b32 vcc_lo, exec_lo, s0
	s_cbranch_vccnz .LBB23_1905
; %bb.1901:
	s_cmp_gt_i32 s3, 0
	s_mov_b32 s0, -1
	s_cbranch_scc0 .LBB23_1903
; %bb.1902:
	s_wait_xcnt 0x0
	v_cvt_i16_f16_e32 v3, v1
	s_mov_b32 s0, 0
	global_store_b8 v[4:5], v3, off
.LBB23_1903:
	s_and_not1_b32 vcc_lo, exec_lo, s0
	s_cbranch_vccnz .LBB23_1905
; %bb.1904:
	s_wait_xcnt 0x0
	v_cvt_f32_f16_e32 v1, v1
	s_delay_alu instid0(VALU_DEP_1)
	v_cvt_i32_f32_e32 v1, v1
	global_store_b8 v[4:5], v1, off
.LBB23_1905:
.LBB23_1906:
	v_cmp_nge_f16_e64 s0, v12, -s2
	v_cmp_nge_f16_e32 vcc_lo, s2, v12
	s_mov_b32 s10, 0
	s_or_b32 vcc_lo, s0, vcc_lo
	s_wait_xcnt 0x0
	v_dual_mov_b32 v3, 0 :: v_dual_cndmask_b32 v1, 0, v12, vcc_lo
	s_cmp_lt_i32 s3, 11
	s_mov_b32 s0, -1
	s_delay_alu instid0(VALU_DEP_1)
	v_add_nc_u64_e32 v[2:3], s[4:5], v[2:3]
	s_cbranch_scc1 .LBB23_2061
; %bb.1907:
	s_mov_b32 s11, -1
	s_mov_b32 s7, 0
	s_cmp_gt_i32 s3, 25
	s_mov_b32 s0, 0
	s_cbranch_scc0 .LBB23_1940
; %bb.1908:
	s_cmp_gt_i32 s3, 28
	s_cbranch_scc0 .LBB23_1923
; %bb.1909:
	s_cmp_gt_i32 s3, 43
	;; [unrolled: 3-line block ×3, first 2 shown]
	s_cbranch_scc0 .LBB23_1913
; %bb.1911:
	s_mov_b32 s0, -1
	s_mov_b32 s11, 0
	s_cmp_eq_u32 s3, 46
	s_cbranch_scc0 .LBB23_1913
; %bb.1912:
	v_cvt_f32_f16_e32 v4, v1
	v_cmp_o_f16_e32 vcc_lo, v1, v1
	s_mov_b32 s0, 0
	s_mov_b32 s10, -1
	s_delay_alu instid0(VALU_DEP_2) | instskip(NEXT) | instid1(VALU_DEP_1)
	v_bfe_u32 v5, v4, 16, 1
	v_add3_u32 v4, v4, v5, 0x7fff
	s_delay_alu instid0(VALU_DEP_1) | instskip(NEXT) | instid1(VALU_DEP_1)
	v_lshrrev_b32_e32 v4, 16, v4
	v_cndmask_b32_e32 v4, 0x7fc0, v4, vcc_lo
	global_store_b32 v[2:3], v4, off
.LBB23_1913:
	s_and_b32 vcc_lo, exec_lo, s11
	s_cbranch_vccz .LBB23_1918
; %bb.1914:
	s_cmp_eq_u32 s3, 44
	s_mov_b32 s0, -1
	s_cbranch_scc0 .LBB23_1918
; %bb.1915:
	s_wait_xcnt 0x0
	v_cvt_f32_f16_e32 v4, v1
	v_mov_b32_e32 v5, 0xff
	s_mov_b32 s10, exec_lo
	s_delay_alu instid0(VALU_DEP_2) | instskip(NEXT) | instid1(VALU_DEP_1)
	v_bfe_u32 v6, v4, 23, 8
	v_cmpx_ne_u32_e32 0xff, v6
	s_cbranch_execz .LBB23_1917
; %bb.1916:
	v_and_b32_e32 v5, 0x400000, v4
	v_and_or_b32 v6, 0x3fffff, v4, v6
	v_lshrrev_b32_e32 v4, 23, v4
	s_delay_alu instid0(VALU_DEP_3) | instskip(NEXT) | instid1(VALU_DEP_3)
	v_cmp_ne_u32_e32 vcc_lo, 0, v5
	v_cmp_ne_u32_e64 s0, 0, v6
	s_and_b32 s0, vcc_lo, s0
	s_delay_alu instid0(SALU_CYCLE_1) | instskip(NEXT) | instid1(VALU_DEP_1)
	v_cndmask_b32_e64 v5, 0, 1, s0
	v_add_nc_u32_e32 v5, v4, v5
.LBB23_1917:
	s_or_b32 exec_lo, exec_lo, s10
	s_mov_b32 s0, 0
	s_mov_b32 s10, -1
	global_store_b8 v[2:3], v5, off
.LBB23_1918:
	s_mov_b32 s11, 0
.LBB23_1919:
	s_delay_alu instid0(SALU_CYCLE_1)
	s_and_b32 vcc_lo, exec_lo, s11
	s_cbranch_vccz .LBB23_1922
; %bb.1920:
	s_cmp_eq_u32 s3, 29
	s_mov_b32 s0, -1
	s_cbranch_scc0 .LBB23_1922
; %bb.1921:
	s_wait_xcnt 0x0
	v_cvt_f32_f16_e32 v4, v1
	v_mov_b32_e32 v5, 0
	s_mov_b32 s0, 0
	s_mov_b32 s10, -1
	s_delay_alu instid0(VALU_DEP_2)
	v_cvt_u32_f32_e32 v4, v4
	global_store_b64 v[2:3], v[4:5], off
.LBB23_1922:
	s_mov_b32 s11, 0
.LBB23_1923:
	s_delay_alu instid0(SALU_CYCLE_1)
	s_and_b32 vcc_lo, exec_lo, s11
	s_cbranch_vccz .LBB23_1939
; %bb.1924:
	s_cmp_lt_i32 s3, 27
	s_mov_b32 s10, -1
	s_cbranch_scc1 .LBB23_1930
; %bb.1925:
	s_cmp_gt_i32 s3, 27
	s_cbranch_scc0 .LBB23_1927
; %bb.1926:
	s_wait_xcnt 0x0
	v_cvt_f32_f16_e32 v4, v1
	s_mov_b32 s10, 0
	s_delay_alu instid0(VALU_DEP_1)
	v_cvt_u32_f32_e32 v4, v4
	global_store_b32 v[2:3], v4, off
.LBB23_1927:
	s_and_not1_b32 vcc_lo, exec_lo, s10
	s_cbranch_vccnz .LBB23_1929
; %bb.1928:
	s_wait_xcnt 0x0
	v_cvt_u16_f16_e32 v4, v1
	global_store_b16 v[2:3], v4, off
.LBB23_1929:
	s_mov_b32 s10, 0
.LBB23_1930:
	s_delay_alu instid0(SALU_CYCLE_1)
	s_and_not1_b32 vcc_lo, exec_lo, s10
	s_cbranch_vccnz .LBB23_1938
; %bb.1931:
	s_wait_xcnt 0x0
	v_cvt_f32_f16_e32 v4, v1
	v_mov_b32_e32 v6, 0x80
	s_mov_b32 s10, exec_lo
	s_delay_alu instid0(VALU_DEP_2) | instskip(NEXT) | instid1(VALU_DEP_1)
	v_and_b32_e32 v5, 0x7fffffff, v4
	v_cmpx_gt_u32_e32 0x43800000, v5
	s_cbranch_execz .LBB23_1937
; %bb.1932:
	v_cmp_lt_u32_e32 vcc_lo, 0x3bffffff, v5
	s_mov_b32 s11, 0
                                        ; implicit-def: $vgpr5
	s_and_saveexec_b32 s12, vcc_lo
	s_delay_alu instid0(SALU_CYCLE_1)
	s_xor_b32 s12, exec_lo, s12
	s_cbranch_execz .LBB23_2156
; %bb.1933:
	v_bfe_u32 v5, v4, 20, 1
	s_mov_b32 s11, exec_lo
	s_delay_alu instid0(VALU_DEP_1) | instskip(NEXT) | instid1(VALU_DEP_1)
	v_add3_u32 v5, v4, v5, 0x487ffff
	v_lshrrev_b32_e32 v5, 20, v5
	s_and_not1_saveexec_b32 s12, s12
	s_cbranch_execnz .LBB23_2157
.LBB23_1934:
	s_or_b32 exec_lo, exec_lo, s12
	v_mov_b32_e32 v6, 0
	s_and_saveexec_b32 s12, s11
.LBB23_1935:
	v_lshrrev_b32_e32 v4, 24, v4
	s_delay_alu instid0(VALU_DEP_1)
	v_and_or_b32 v6, 0x80, v4, v5
.LBB23_1936:
	s_or_b32 exec_lo, exec_lo, s12
.LBB23_1937:
	s_delay_alu instid0(SALU_CYCLE_1)
	s_or_b32 exec_lo, exec_lo, s10
	global_store_b8 v[2:3], v6, off
.LBB23_1938:
	s_mov_b32 s10, -1
.LBB23_1939:
	s_mov_b32 s11, 0
.LBB23_1940:
	s_delay_alu instid0(SALU_CYCLE_1)
	s_and_b32 vcc_lo, exec_lo, s11
	s_cbranch_vccz .LBB23_1980
; %bb.1941:
	s_cmp_gt_i32 s3, 22
	s_mov_b32 s7, -1
	s_cbranch_scc0 .LBB23_1973
; %bb.1942:
	s_cmp_lt_i32 s3, 24
	s_cbranch_scc1 .LBB23_1962
; %bb.1943:
	s_cmp_gt_i32 s3, 24
	s_cbranch_scc0 .LBB23_1951
; %bb.1944:
	s_wait_xcnt 0x0
	v_cvt_f32_f16_e32 v4, v1
	v_mov_b32_e32 v6, 0x80
	s_mov_b32 s7, exec_lo
	s_delay_alu instid0(VALU_DEP_2) | instskip(NEXT) | instid1(VALU_DEP_1)
	v_and_b32_e32 v5, 0x7fffffff, v4
	v_cmpx_gt_u32_e32 0x47800000, v5
	s_cbranch_execz .LBB23_1950
; %bb.1945:
	v_cmp_lt_u32_e32 vcc_lo, 0x37ffffff, v5
	s_mov_b32 s10, 0
                                        ; implicit-def: $vgpr5
	s_and_saveexec_b32 s11, vcc_lo
	s_delay_alu instid0(SALU_CYCLE_1)
	s_xor_b32 s11, exec_lo, s11
	s_cbranch_execz .LBB23_2159
; %bb.1946:
	v_bfe_u32 v5, v4, 21, 1
	s_mov_b32 s10, exec_lo
	s_delay_alu instid0(VALU_DEP_1) | instskip(NEXT) | instid1(VALU_DEP_1)
	v_add3_u32 v5, v4, v5, 0x88fffff
	v_lshrrev_b32_e32 v5, 21, v5
	s_and_not1_saveexec_b32 s11, s11
	s_cbranch_execnz .LBB23_2160
.LBB23_1947:
	s_or_b32 exec_lo, exec_lo, s11
	v_mov_b32_e32 v6, 0
	s_and_saveexec_b32 s11, s10
.LBB23_1948:
	v_lshrrev_b32_e32 v4, 24, v4
	s_delay_alu instid0(VALU_DEP_1)
	v_and_or_b32 v6, 0x80, v4, v5
.LBB23_1949:
	s_or_b32 exec_lo, exec_lo, s11
.LBB23_1950:
	s_delay_alu instid0(SALU_CYCLE_1)
	s_or_b32 exec_lo, exec_lo, s7
	s_mov_b32 s7, 0
	global_store_b8 v[2:3], v6, off
.LBB23_1951:
	s_and_b32 vcc_lo, exec_lo, s7
	s_cbranch_vccz .LBB23_1961
; %bb.1952:
	s_wait_xcnt 0x0
	v_cvt_f32_f16_e32 v4, v1
	s_mov_b32 s7, exec_lo
                                        ; implicit-def: $vgpr5
	s_delay_alu instid0(VALU_DEP_1) | instskip(NEXT) | instid1(VALU_DEP_1)
	v_and_b32_e32 v6, 0x7fffffff, v4
	v_cmpx_gt_u32_e32 0x43f00000, v6
	s_xor_b32 s7, exec_lo, s7
	s_cbranch_execz .LBB23_1958
; %bb.1953:
	s_mov_b32 s10, exec_lo
                                        ; implicit-def: $vgpr5
	v_cmpx_lt_u32_e32 0x3c7fffff, v6
	s_xor_b32 s10, exec_lo, s10
; %bb.1954:
	v_bfe_u32 v5, v4, 20, 1
	s_delay_alu instid0(VALU_DEP_1) | instskip(NEXT) | instid1(VALU_DEP_1)
	v_add3_u32 v5, v4, v5, 0x407ffff
	v_and_b32_e32 v6, 0xff00000, v5
	v_lshrrev_b32_e32 v5, 20, v5
	s_delay_alu instid0(VALU_DEP_2) | instskip(NEXT) | instid1(VALU_DEP_2)
	v_cmp_ne_u32_e32 vcc_lo, 0x7f00000, v6
	v_cndmask_b32_e32 v5, 0x7e, v5, vcc_lo
; %bb.1955:
	s_and_not1_saveexec_b32 s10, s10
; %bb.1956:
	v_add_f32_e64 v5, 0x46800000, |v4|
; %bb.1957:
	s_or_b32 exec_lo, exec_lo, s10
                                        ; implicit-def: $vgpr6
.LBB23_1958:
	s_and_not1_saveexec_b32 s7, s7
; %bb.1959:
	v_mov_b32_e32 v5, 0x7f
	v_cmp_lt_u32_e32 vcc_lo, 0x7f800000, v6
	s_delay_alu instid0(VALU_DEP_2)
	v_cndmask_b32_e32 v5, 0x7e, v5, vcc_lo
; %bb.1960:
	s_or_b32 exec_lo, exec_lo, s7
	v_lshrrev_b32_e32 v4, 24, v4
	s_delay_alu instid0(VALU_DEP_1)
	v_and_or_b32 v4, 0x80, v4, v5
	global_store_b8 v[2:3], v4, off
.LBB23_1961:
	s_mov_b32 s7, 0
.LBB23_1962:
	s_delay_alu instid0(SALU_CYCLE_1)
	s_and_not1_b32 vcc_lo, exec_lo, s7
	s_cbranch_vccnz .LBB23_1972
; %bb.1963:
	s_wait_xcnt 0x0
	v_cvt_f32_f16_e32 v4, v1
	s_mov_b32 s7, exec_lo
                                        ; implicit-def: $vgpr5
	s_delay_alu instid0(VALU_DEP_1) | instskip(NEXT) | instid1(VALU_DEP_1)
	v_and_b32_e32 v6, 0x7fffffff, v4
	v_cmpx_gt_u32_e32 0x47800000, v6
	s_xor_b32 s7, exec_lo, s7
	s_cbranch_execz .LBB23_1969
; %bb.1964:
	s_mov_b32 s10, exec_lo
                                        ; implicit-def: $vgpr5
	v_cmpx_lt_u32_e32 0x387fffff, v6
	s_xor_b32 s10, exec_lo, s10
; %bb.1965:
	v_bfe_u32 v5, v4, 21, 1
	s_delay_alu instid0(VALU_DEP_1) | instskip(NEXT) | instid1(VALU_DEP_1)
	v_add3_u32 v5, v4, v5, 0x80fffff
	v_lshrrev_b32_e32 v5, 21, v5
; %bb.1966:
	s_and_not1_saveexec_b32 s10, s10
; %bb.1967:
	v_add_f32_e64 v5, 0x43000000, |v4|
; %bb.1968:
	s_or_b32 exec_lo, exec_lo, s10
                                        ; implicit-def: $vgpr6
.LBB23_1969:
	s_and_not1_saveexec_b32 s7, s7
; %bb.1970:
	v_mov_b32_e32 v5, 0x7f
	v_cmp_lt_u32_e32 vcc_lo, 0x7f800000, v6
	s_delay_alu instid0(VALU_DEP_2)
	v_cndmask_b32_e32 v5, 0x7c, v5, vcc_lo
; %bb.1971:
	s_or_b32 exec_lo, exec_lo, s7
	v_lshrrev_b32_e32 v4, 24, v4
	s_delay_alu instid0(VALU_DEP_1)
	v_and_or_b32 v4, 0x80, v4, v5
	global_store_b8 v[2:3], v4, off
.LBB23_1972:
	s_mov_b32 s7, 0
	s_mov_b32 s10, -1
.LBB23_1973:
	s_and_not1_b32 vcc_lo, exec_lo, s7
	s_mov_b32 s7, 0
	s_cbranch_vccnz .LBB23_1980
; %bb.1974:
	s_cmp_gt_i32 s3, 14
	s_mov_b32 s7, -1
	s_cbranch_scc0 .LBB23_1978
; %bb.1975:
	s_cmp_eq_u32 s3, 15
	s_mov_b32 s0, -1
	s_cbranch_scc0 .LBB23_1977
; %bb.1976:
	s_wait_xcnt 0x0
	v_cvt_f32_f16_e32 v4, v1
	v_cmp_o_f16_e32 vcc_lo, v1, v1
	s_mov_b32 s0, 0
	s_mov_b32 s10, -1
	s_delay_alu instid0(VALU_DEP_2) | instskip(NEXT) | instid1(VALU_DEP_1)
	v_bfe_u32 v5, v4, 16, 1
	v_add3_u32 v4, v4, v5, 0x7fff
	s_delay_alu instid0(VALU_DEP_1) | instskip(NEXT) | instid1(VALU_DEP_1)
	v_lshrrev_b32_e32 v4, 16, v4
	v_cndmask_b32_e32 v4, 0x7fc0, v4, vcc_lo
	global_store_b16 v[2:3], v4, off
.LBB23_1977:
	s_mov_b32 s7, 0
.LBB23_1978:
	s_delay_alu instid0(SALU_CYCLE_1)
	s_and_b32 vcc_lo, exec_lo, s7
	s_mov_b32 s7, 0
	s_cbranch_vccz .LBB23_1980
; %bb.1979:
	s_cmp_lg_u32 s3, 11
	s_mov_b32 s7, -1
	s_cselect_b32 s0, -1, 0
.LBB23_1980:
	s_delay_alu instid0(SALU_CYCLE_1)
	s_and_b32 vcc_lo, exec_lo, s0
	s_cbranch_vccnz .LBB23_2158
; %bb.1981:
	s_and_not1_b32 vcc_lo, exec_lo, s7
	s_cbranch_vccnz .LBB23_1983
.LBB23_1982:
	s_wait_xcnt 0x0
	v_and_b32_e32 v4, 0x7fff, v1
	s_mov_b32 s10, -1
	s_delay_alu instid0(VALU_DEP_1)
	v_cmp_ne_u16_e32 vcc_lo, 0, v4
	v_cndmask_b32_e64 v4, 0, 1, vcc_lo
	global_store_b8 v[2:3], v4, off
.LBB23_1983:
.LBB23_1984:
	s_and_not1_b32 vcc_lo, exec_lo, s10
	s_cbranch_vccnz .LBB23_2100
.LBB23_1985:
	v_cmp_nge_f16_e64 s0, v10, -s2
	s_wait_xcnt 0x0
	v_mov_b32_e32 v1, 0
	v_cmp_nge_f16_e32 vcc_lo, s2, v10
	s_mov_b32 s2, 0
	s_delay_alu instid0(VALU_DEP_2)
	v_add_nc_u64_e32 v[2:3], s[4:5], v[0:1]
	s_or_b32 vcc_lo, s0, vcc_lo
	s_cmp_lt_i32 s3, 11
	v_cndmask_b32_e32 v1, 0, v10, vcc_lo
	s_mov_b32 s0, -1
	s_cbranch_scc1 .LBB23_2101
; %bb.1986:
	s_mov_b32 s4, -1
	s_cmp_gt_i32 s3, 25
	s_mov_b32 s0, 0
	s_cbranch_scc0 .LBB23_2019
; %bb.1987:
	s_cmp_gt_i32 s3, 28
	s_cbranch_scc0 .LBB23_2003
; %bb.1988:
	s_cmp_gt_i32 s3, 43
	s_cbranch_scc0 .LBB23_1999
; %bb.1989:
	s_cmp_gt_i32 s3, 45
	s_cbranch_scc0 .LBB23_1993
; %bb.1990:
	s_cmp_eq_u32 s3, 46
	s_mov_b32 s0, -1
	s_cbranch_scc0 .LBB23_1992
; %bb.1991:
	v_cvt_f32_f16_e32 v0, v1
	v_cmp_o_f16_e32 vcc_lo, v1, v1
	s_mov_b32 s0, 0
	s_delay_alu instid0(VALU_DEP_2) | instskip(NEXT) | instid1(VALU_DEP_1)
	v_bfe_u32 v4, v0, 16, 1
	v_add3_u32 v0, v0, v4, 0x7fff
	s_delay_alu instid0(VALU_DEP_1) | instskip(NEXT) | instid1(VALU_DEP_1)
	v_lshrrev_b32_e32 v0, 16, v0
	v_cndmask_b32_e32 v0, 0x7fc0, v0, vcc_lo
	global_store_b32 v[2:3], v0, off
.LBB23_1992:
	s_mov_b32 s4, 0
.LBB23_1993:
	s_delay_alu instid0(SALU_CYCLE_1)
	s_and_b32 vcc_lo, exec_lo, s4
	s_cbranch_vccz .LBB23_1998
; %bb.1994:
	s_cmp_eq_u32 s3, 44
	s_mov_b32 s0, -1
	s_cbranch_scc0 .LBB23_1998
; %bb.1995:
	s_wait_xcnt 0x0
	v_cvt_f32_f16_e32 v0, v1
	v_mov_b32_e32 v4, 0xff
	s_mov_b32 s4, exec_lo
	s_delay_alu instid0(VALU_DEP_2) | instskip(NEXT) | instid1(VALU_DEP_1)
	v_bfe_u32 v5, v0, 23, 8
	v_cmpx_ne_u32_e32 0xff, v5
	s_cbranch_execz .LBB23_1997
; %bb.1996:
	v_and_b32_e32 v4, 0x400000, v0
	v_and_or_b32 v5, 0x3fffff, v0, v5
	v_lshrrev_b32_e32 v0, 23, v0
	s_delay_alu instid0(VALU_DEP_3) | instskip(NEXT) | instid1(VALU_DEP_3)
	v_cmp_ne_u32_e32 vcc_lo, 0, v4
	v_cmp_ne_u32_e64 s0, 0, v5
	s_and_b32 s0, vcc_lo, s0
	s_delay_alu instid0(SALU_CYCLE_1) | instskip(NEXT) | instid1(VALU_DEP_1)
	v_cndmask_b32_e64 v4, 0, 1, s0
	v_add_nc_u32_e32 v4, v0, v4
.LBB23_1997:
	s_or_b32 exec_lo, exec_lo, s4
	s_mov_b32 s0, 0
	global_store_b8 v[2:3], v4, off
.LBB23_1998:
	s_mov_b32 s4, 0
.LBB23_1999:
	s_delay_alu instid0(SALU_CYCLE_1)
	s_and_b32 vcc_lo, exec_lo, s4
	s_cbranch_vccz .LBB23_2002
; %bb.2000:
	s_cmp_eq_u32 s3, 29
	s_mov_b32 s0, -1
	s_cbranch_scc0 .LBB23_2002
; %bb.2001:
	s_wait_xcnt 0x0
	v_cvt_f32_f16_e32 v0, v1
	v_mov_b32_e32 v5, 0
	s_mov_b32 s0, 0
	s_delay_alu instid0(VALU_DEP_2)
	v_cvt_u32_f32_e32 v4, v0
	global_store_b64 v[2:3], v[4:5], off
.LBB23_2002:
	s_mov_b32 s4, 0
.LBB23_2003:
	s_delay_alu instid0(SALU_CYCLE_1)
	s_and_b32 vcc_lo, exec_lo, s4
	s_cbranch_vccz .LBB23_2018
; %bb.2004:
	s_cmp_lt_i32 s3, 27
	s_mov_b32 s4, -1
	s_cbranch_scc1 .LBB23_2010
; %bb.2005:
	s_cmp_gt_i32 s3, 27
	s_cbranch_scc0 .LBB23_2007
; %bb.2006:
	s_wait_xcnt 0x0
	v_cvt_f32_f16_e32 v0, v1
	s_mov_b32 s4, 0
	s_delay_alu instid0(VALU_DEP_1)
	v_cvt_u32_f32_e32 v0, v0
	global_store_b32 v[2:3], v0, off
.LBB23_2007:
	s_and_not1_b32 vcc_lo, exec_lo, s4
	s_cbranch_vccnz .LBB23_2009
; %bb.2008:
	s_wait_xcnt 0x0
	v_cvt_u16_f16_e32 v0, v1
	global_store_b16 v[2:3], v0, off
.LBB23_2009:
	s_mov_b32 s4, 0
.LBB23_2010:
	s_delay_alu instid0(SALU_CYCLE_1)
	s_and_not1_b32 vcc_lo, exec_lo, s4
	s_cbranch_vccnz .LBB23_2018
; %bb.2011:
	s_wait_xcnt 0x0
	v_cvt_f32_f16_e32 v0, v1
	v_mov_b32_e32 v5, 0x80
	s_mov_b32 s4, exec_lo
	s_delay_alu instid0(VALU_DEP_2) | instskip(NEXT) | instid1(VALU_DEP_1)
	v_and_b32_e32 v4, 0x7fffffff, v0
	v_cmpx_gt_u32_e32 0x43800000, v4
	s_cbranch_execz .LBB23_2017
; %bb.2012:
	v_cmp_lt_u32_e32 vcc_lo, 0x3bffffff, v4
	s_mov_b32 s5, 0
                                        ; implicit-def: $vgpr4
	s_and_saveexec_b32 s7, vcc_lo
	s_delay_alu instid0(SALU_CYCLE_1)
	s_xor_b32 s7, exec_lo, s7
	s_cbranch_execz .LBB23_2161
; %bb.2013:
	v_bfe_u32 v4, v0, 20, 1
	s_mov_b32 s5, exec_lo
	s_delay_alu instid0(VALU_DEP_1) | instskip(NEXT) | instid1(VALU_DEP_1)
	v_add3_u32 v4, v0, v4, 0x487ffff
	v_lshrrev_b32_e32 v4, 20, v4
	s_and_not1_saveexec_b32 s7, s7
	s_cbranch_execnz .LBB23_2162
.LBB23_2014:
	s_or_b32 exec_lo, exec_lo, s7
	v_mov_b32_e32 v5, 0
	s_and_saveexec_b32 s7, s5
.LBB23_2015:
	v_lshrrev_b32_e32 v0, 24, v0
	s_delay_alu instid0(VALU_DEP_1)
	v_and_or_b32 v5, 0x80, v0, v4
.LBB23_2016:
	s_or_b32 exec_lo, exec_lo, s7
.LBB23_2017:
	s_delay_alu instid0(SALU_CYCLE_1)
	s_or_b32 exec_lo, exec_lo, s4
	global_store_b8 v[2:3], v5, off
.LBB23_2018:
	s_mov_b32 s4, 0
.LBB23_2019:
	s_delay_alu instid0(SALU_CYCLE_1)
	s_and_b32 vcc_lo, exec_lo, s4
	s_cbranch_vccz .LBB23_2059
; %bb.2020:
	s_cmp_gt_i32 s3, 22
	s_mov_b32 s2, -1
	s_cbranch_scc0 .LBB23_2052
; %bb.2021:
	s_cmp_lt_i32 s3, 24
	s_cbranch_scc1 .LBB23_2041
; %bb.2022:
	s_cmp_gt_i32 s3, 24
	s_cbranch_scc0 .LBB23_2030
; %bb.2023:
	s_wait_xcnt 0x0
	v_cvt_f32_f16_e32 v0, v1
	v_mov_b32_e32 v5, 0x80
	s_mov_b32 s2, exec_lo
	s_delay_alu instid0(VALU_DEP_2) | instskip(NEXT) | instid1(VALU_DEP_1)
	v_and_b32_e32 v4, 0x7fffffff, v0
	v_cmpx_gt_u32_e32 0x47800000, v4
	s_cbranch_execz .LBB23_2029
; %bb.2024:
	v_cmp_lt_u32_e32 vcc_lo, 0x37ffffff, v4
	s_mov_b32 s4, 0
                                        ; implicit-def: $vgpr4
	s_and_saveexec_b32 s5, vcc_lo
	s_delay_alu instid0(SALU_CYCLE_1)
	s_xor_b32 s5, exec_lo, s5
	s_cbranch_execz .LBB23_2164
; %bb.2025:
	v_bfe_u32 v4, v0, 21, 1
	s_mov_b32 s4, exec_lo
	s_delay_alu instid0(VALU_DEP_1) | instskip(NEXT) | instid1(VALU_DEP_1)
	v_add3_u32 v4, v0, v4, 0x88fffff
	v_lshrrev_b32_e32 v4, 21, v4
	s_and_not1_saveexec_b32 s5, s5
	s_cbranch_execnz .LBB23_2165
.LBB23_2026:
	s_or_b32 exec_lo, exec_lo, s5
	v_mov_b32_e32 v5, 0
	s_and_saveexec_b32 s5, s4
.LBB23_2027:
	v_lshrrev_b32_e32 v0, 24, v0
	s_delay_alu instid0(VALU_DEP_1)
	v_and_or_b32 v5, 0x80, v0, v4
.LBB23_2028:
	s_or_b32 exec_lo, exec_lo, s5
.LBB23_2029:
	s_delay_alu instid0(SALU_CYCLE_1)
	s_or_b32 exec_lo, exec_lo, s2
	s_mov_b32 s2, 0
	global_store_b8 v[2:3], v5, off
.LBB23_2030:
	s_and_b32 vcc_lo, exec_lo, s2
	s_cbranch_vccz .LBB23_2040
; %bb.2031:
	s_wait_xcnt 0x0
	v_cvt_f32_f16_e32 v0, v1
	s_mov_b32 s2, exec_lo
                                        ; implicit-def: $vgpr4
	s_delay_alu instid0(VALU_DEP_1) | instskip(NEXT) | instid1(VALU_DEP_1)
	v_and_b32_e32 v5, 0x7fffffff, v0
	v_cmpx_gt_u32_e32 0x43f00000, v5
	s_xor_b32 s2, exec_lo, s2
	s_cbranch_execz .LBB23_2037
; %bb.2032:
	s_mov_b32 s4, exec_lo
                                        ; implicit-def: $vgpr4
	v_cmpx_lt_u32_e32 0x3c7fffff, v5
	s_xor_b32 s4, exec_lo, s4
; %bb.2033:
	v_bfe_u32 v4, v0, 20, 1
	s_delay_alu instid0(VALU_DEP_1) | instskip(NEXT) | instid1(VALU_DEP_1)
	v_add3_u32 v4, v0, v4, 0x407ffff
	v_and_b32_e32 v5, 0xff00000, v4
	v_lshrrev_b32_e32 v4, 20, v4
	s_delay_alu instid0(VALU_DEP_2) | instskip(NEXT) | instid1(VALU_DEP_2)
	v_cmp_ne_u32_e32 vcc_lo, 0x7f00000, v5
	v_cndmask_b32_e32 v4, 0x7e, v4, vcc_lo
; %bb.2034:
	s_and_not1_saveexec_b32 s4, s4
; %bb.2035:
	v_add_f32_e64 v4, 0x46800000, |v0|
; %bb.2036:
	s_or_b32 exec_lo, exec_lo, s4
                                        ; implicit-def: $vgpr5
.LBB23_2037:
	s_and_not1_saveexec_b32 s2, s2
; %bb.2038:
	v_mov_b32_e32 v4, 0x7f
	v_cmp_lt_u32_e32 vcc_lo, 0x7f800000, v5
	s_delay_alu instid0(VALU_DEP_2)
	v_cndmask_b32_e32 v4, 0x7e, v4, vcc_lo
; %bb.2039:
	s_or_b32 exec_lo, exec_lo, s2
	v_lshrrev_b32_e32 v0, 24, v0
	s_delay_alu instid0(VALU_DEP_1)
	v_and_or_b32 v0, 0x80, v0, v4
	global_store_b8 v[2:3], v0, off
.LBB23_2040:
	s_mov_b32 s2, 0
.LBB23_2041:
	s_delay_alu instid0(SALU_CYCLE_1)
	s_and_not1_b32 vcc_lo, exec_lo, s2
	s_cbranch_vccnz .LBB23_2051
; %bb.2042:
	s_wait_xcnt 0x0
	v_cvt_f32_f16_e32 v0, v1
	s_mov_b32 s2, exec_lo
                                        ; implicit-def: $vgpr4
	s_delay_alu instid0(VALU_DEP_1) | instskip(NEXT) | instid1(VALU_DEP_1)
	v_and_b32_e32 v5, 0x7fffffff, v0
	v_cmpx_gt_u32_e32 0x47800000, v5
	s_xor_b32 s2, exec_lo, s2
	s_cbranch_execz .LBB23_2048
; %bb.2043:
	s_mov_b32 s4, exec_lo
                                        ; implicit-def: $vgpr4
	v_cmpx_lt_u32_e32 0x387fffff, v5
	s_xor_b32 s4, exec_lo, s4
; %bb.2044:
	v_bfe_u32 v4, v0, 21, 1
	s_delay_alu instid0(VALU_DEP_1) | instskip(NEXT) | instid1(VALU_DEP_1)
	v_add3_u32 v4, v0, v4, 0x80fffff
	v_lshrrev_b32_e32 v4, 21, v4
; %bb.2045:
	s_and_not1_saveexec_b32 s4, s4
; %bb.2046:
	v_add_f32_e64 v4, 0x43000000, |v0|
; %bb.2047:
	s_or_b32 exec_lo, exec_lo, s4
                                        ; implicit-def: $vgpr5
.LBB23_2048:
	s_and_not1_saveexec_b32 s2, s2
; %bb.2049:
	v_mov_b32_e32 v4, 0x7f
	v_cmp_lt_u32_e32 vcc_lo, 0x7f800000, v5
	s_delay_alu instid0(VALU_DEP_2)
	v_cndmask_b32_e32 v4, 0x7c, v4, vcc_lo
; %bb.2050:
	s_or_b32 exec_lo, exec_lo, s2
	v_lshrrev_b32_e32 v0, 24, v0
	s_delay_alu instid0(VALU_DEP_1)
	v_and_or_b32 v0, 0x80, v0, v4
	global_store_b8 v[2:3], v0, off
.LBB23_2051:
	s_mov_b32 s2, 0
.LBB23_2052:
	s_delay_alu instid0(SALU_CYCLE_1)
	s_and_not1_b32 vcc_lo, exec_lo, s2
	s_mov_b32 s2, 0
	s_cbranch_vccnz .LBB23_2059
; %bb.2053:
	s_cmp_gt_i32 s3, 14
	s_mov_b32 s2, -1
	s_cbranch_scc0 .LBB23_2057
; %bb.2054:
	s_cmp_eq_u32 s3, 15
	s_mov_b32 s0, -1
	s_cbranch_scc0 .LBB23_2056
; %bb.2055:
	s_wait_xcnt 0x0
	v_cvt_f32_f16_e32 v0, v1
	v_cmp_o_f16_e32 vcc_lo, v1, v1
	s_mov_b32 s0, 0
	s_delay_alu instid0(VALU_DEP_2) | instskip(NEXT) | instid1(VALU_DEP_1)
	v_bfe_u32 v4, v0, 16, 1
	v_add3_u32 v0, v0, v4, 0x7fff
	s_delay_alu instid0(VALU_DEP_1) | instskip(NEXT) | instid1(VALU_DEP_1)
	v_lshrrev_b32_e32 v0, 16, v0
	v_cndmask_b32_e32 v0, 0x7fc0, v0, vcc_lo
	global_store_b16 v[2:3], v0, off
.LBB23_2056:
	s_mov_b32 s2, 0
.LBB23_2057:
	s_delay_alu instid0(SALU_CYCLE_1)
	s_and_b32 vcc_lo, exec_lo, s2
	s_mov_b32 s2, 0
	s_cbranch_vccz .LBB23_2059
; %bb.2058:
	s_cmp_lg_u32 s3, 11
	s_mov_b32 s2, -1
	s_cselect_b32 s0, -1, 0
.LBB23_2059:
	s_delay_alu instid0(SALU_CYCLE_1)
	s_and_b32 vcc_lo, exec_lo, s0
	s_cbranch_vccnz .LBB23_2163
.LBB23_2060:
	s_mov_b32 s0, 0
	s_branch .LBB23_2101
.LBB23_2061:
	s_and_b32 vcc_lo, exec_lo, s0
	s_cbranch_vccz .LBB23_1984
; %bb.2062:
	s_cmp_lt_i32 s3, 5
	s_mov_b32 s0, -1
	s_cbranch_scc1 .LBB23_2083
; %bb.2063:
	s_cmp_lt_i32 s3, 8
	s_cbranch_scc1 .LBB23_2073
; %bb.2064:
	s_cmp_lt_i32 s3, 9
	s_cbranch_scc1 .LBB23_2070
; %bb.2065:
	s_cmp_gt_i32 s3, 9
	s_cbranch_scc0 .LBB23_2067
; %bb.2066:
	s_wait_xcnt 0x0
	v_cvt_f32_f16_e32 v4, v1
	v_mov_b32_e32 v6, 0
	s_mov_b32 s0, 0
	s_delay_alu instid0(VALU_DEP_2) | instskip(NEXT) | instid1(VALU_DEP_2)
	v_cvt_f64_f32_e32 v[4:5], v4
	v_mov_b32_e32 v7, v6
	global_store_b128 v[2:3], v[4:7], off
.LBB23_2067:
	s_and_not1_b32 vcc_lo, exec_lo, s0
	s_cbranch_vccnz .LBB23_2069
; %bb.2068:
	s_wait_xcnt 0x0
	v_cvt_f32_f16_e32 v4, v1
	v_mov_b32_e32 v5, 0
	global_store_b64 v[2:3], v[4:5], off
.LBB23_2069:
	s_mov_b32 s0, 0
.LBB23_2070:
	s_delay_alu instid0(SALU_CYCLE_1)
	s_and_not1_b32 vcc_lo, exec_lo, s0
	s_cbranch_vccnz .LBB23_2072
; %bb.2071:
	s_wait_xcnt 0x0
	v_and_b32_e32 v4, 0xffff, v1
	global_store_b32 v[2:3], v4, off
.LBB23_2072:
	s_mov_b32 s0, 0
.LBB23_2073:
	s_delay_alu instid0(SALU_CYCLE_1)
	s_and_not1_b32 vcc_lo, exec_lo, s0
	s_cbranch_vccnz .LBB23_2082
; %bb.2074:
	s_cmp_lt_i32 s3, 6
	s_mov_b32 s0, -1
	s_cbranch_scc1 .LBB23_2080
; %bb.2075:
	s_cmp_gt_i32 s3, 6
	s_cbranch_scc0 .LBB23_2077
; %bb.2076:
	s_wait_xcnt 0x0
	v_cvt_f32_f16_e32 v4, v1
	s_mov_b32 s0, 0
	s_delay_alu instid0(VALU_DEP_1)
	v_cvt_f64_f32_e32 v[4:5], v4
	global_store_b64 v[2:3], v[4:5], off
.LBB23_2077:
	s_and_not1_b32 vcc_lo, exec_lo, s0
	s_cbranch_vccnz .LBB23_2079
; %bb.2078:
	s_wait_xcnt 0x0
	v_cvt_f32_f16_e32 v4, v1
	global_store_b32 v[2:3], v4, off
.LBB23_2079:
	s_mov_b32 s0, 0
.LBB23_2080:
	s_delay_alu instid0(SALU_CYCLE_1)
	s_and_not1_b32 vcc_lo, exec_lo, s0
	s_cbranch_vccnz .LBB23_2082
; %bb.2081:
	global_store_b16 v[2:3], v1, off
.LBB23_2082:
	s_mov_b32 s0, 0
.LBB23_2083:
	s_delay_alu instid0(SALU_CYCLE_1)
	s_and_not1_b32 vcc_lo, exec_lo, s0
	s_cbranch_vccnz .LBB23_2099
; %bb.2084:
	s_cmp_lt_i32 s3, 2
	s_mov_b32 s0, -1
	s_cbranch_scc1 .LBB23_2094
; %bb.2085:
	s_cmp_lt_i32 s3, 3
	s_cbranch_scc1 .LBB23_2091
; %bb.2086:
	s_cmp_gt_i32 s3, 3
	s_cbranch_scc0 .LBB23_2088
; %bb.2087:
	s_wait_xcnt 0x0
	v_cvt_f32_f16_e32 v4, v1
	s_mov_b32 s0, 0
	s_delay_alu instid0(VALU_DEP_1) | instskip(NEXT) | instid1(VALU_DEP_1)
	v_cvt_i32_f32_e32 v4, v4
	v_ashrrev_i32_e32 v5, 31, v4
	global_store_b64 v[2:3], v[4:5], off
.LBB23_2088:
	s_and_not1_b32 vcc_lo, exec_lo, s0
	s_cbranch_vccnz .LBB23_2090
; %bb.2089:
	s_wait_xcnt 0x0
	v_cvt_f32_f16_e32 v4, v1
	s_delay_alu instid0(VALU_DEP_1)
	v_cvt_i32_f32_e32 v4, v4
	global_store_b32 v[2:3], v4, off
.LBB23_2090:
	s_mov_b32 s0, 0
.LBB23_2091:
	s_delay_alu instid0(SALU_CYCLE_1)
	s_and_not1_b32 vcc_lo, exec_lo, s0
	s_cbranch_vccnz .LBB23_2093
; %bb.2092:
	s_wait_xcnt 0x0
	v_cvt_i16_f16_e32 v4, v1
	global_store_b16 v[2:3], v4, off
.LBB23_2093:
	s_mov_b32 s0, 0
.LBB23_2094:
	s_delay_alu instid0(SALU_CYCLE_1)
	s_and_not1_b32 vcc_lo, exec_lo, s0
	s_cbranch_vccnz .LBB23_2099
; %bb.2095:
	s_cmp_gt_i32 s3, 0
	s_mov_b32 s0, -1
	s_cbranch_scc0 .LBB23_2097
; %bb.2096:
	s_wait_xcnt 0x0
	v_cvt_i16_f16_e32 v4, v1
	s_mov_b32 s0, 0
	global_store_b8 v[2:3], v4, off
.LBB23_2097:
	s_and_not1_b32 vcc_lo, exec_lo, s0
	s_cbranch_vccnz .LBB23_2099
; %bb.2098:
	s_wait_xcnt 0x0
	v_cvt_f32_f16_e32 v1, v1
	s_delay_alu instid0(VALU_DEP_1)
	v_cvt_i32_f32_e32 v1, v1
	global_store_b8 v[2:3], v1, off
.LBB23_2099:
	s_branch .LBB23_1985
.LBB23_2100:
	s_mov_b32 s0, 0
	s_mov_b32 s2, 0
                                        ; implicit-def: $vgpr2_vgpr3
                                        ; implicit-def: $sgpr6
                                        ; implicit-def: $vgpr1
.LBB23_2101:
	s_and_not1_b32 s3, s8, exec_lo
	s_and_b32 s1, s1, exec_lo
	s_and_b32 s0, s0, exec_lo
	;; [unrolled: 1-line block ×3, first 2 shown]
	s_or_b32 s8, s3, s1
.LBB23_2102:
	s_wait_xcnt 0x0
	s_or_b32 exec_lo, exec_lo, s9
	s_and_saveexec_b32 s1, s8
	s_cbranch_execz .LBB23_2105
; %bb.2103:
	; divergent unreachable
	s_or_b32 exec_lo, exec_lo, s1
	s_and_saveexec_b32 s1, s30
	s_delay_alu instid0(SALU_CYCLE_1)
	s_xor_b32 s1, exec_lo, s1
	s_cbranch_execnz .LBB23_2106
.LBB23_2104:
	s_or_b32 exec_lo, exec_lo, s1
	s_and_saveexec_b32 s1, s0
	s_cbranch_execnz .LBB23_2107
	s_branch .LBB23_2144
.LBB23_2105:
	s_or_b32 exec_lo, exec_lo, s1
	s_and_saveexec_b32 s1, s30
	s_delay_alu instid0(SALU_CYCLE_1)
	s_xor_b32 s1, exec_lo, s1
	s_cbranch_execz .LBB23_2104
.LBB23_2106:
	s_wait_loadcnt 0x0
	v_and_b32_e32 v0, 0x7fff, v1
	s_delay_alu instid0(VALU_DEP_1)
	v_cmp_ne_u16_e32 vcc_lo, 0, v0
	v_cndmask_b32_e64 v0, 0, 1, vcc_lo
	global_store_b8 v[2:3], v0, off
	s_wait_xcnt 0x0
	s_or_b32 exec_lo, exec_lo, s1
	s_and_saveexec_b32 s1, s0
	s_cbranch_execz .LBB23_2144
.LBB23_2107:
	s_sext_i32_i16 s1, s6
	s_mov_b32 s0, -1
	s_cmp_lt_i32 s1, 5
	s_cbranch_scc1 .LBB23_2128
; %bb.2108:
	s_cmp_lt_i32 s1, 8
	s_cbranch_scc1 .LBB23_2118
; %bb.2109:
	s_cmp_lt_i32 s1, 9
	s_cbranch_scc1 .LBB23_2115
; %bb.2110:
	s_cmp_gt_i32 s1, 9
	s_cbranch_scc0 .LBB23_2112
; %bb.2111:
	s_wait_loadcnt 0x0
	v_cvt_f32_f16_e32 v0, v1
	v_mov_b32_e32 v6, 0
	s_mov_b32 s0, 0
	s_delay_alu instid0(VALU_DEP_2) | instskip(NEXT) | instid1(VALU_DEP_2)
	v_cvt_f64_f32_e32 v[4:5], v0
	v_mov_b32_e32 v7, v6
	global_store_b128 v[2:3], v[4:7], off
.LBB23_2112:
	s_and_not1_b32 vcc_lo, exec_lo, s0
	s_cbranch_vccnz .LBB23_2114
; %bb.2113:
	s_wait_loadcnt 0x0
	v_cvt_f32_f16_e32 v4, v1
	v_mov_b32_e32 v5, 0
	global_store_b64 v[2:3], v[4:5], off
.LBB23_2114:
	s_mov_b32 s0, 0
.LBB23_2115:
	s_delay_alu instid0(SALU_CYCLE_1)
	s_and_not1_b32 vcc_lo, exec_lo, s0
	s_cbranch_vccnz .LBB23_2117
; %bb.2116:
	s_wait_loadcnt 0x0
	v_and_b32_e32 v0, 0xffff, v1
	global_store_b32 v[2:3], v0, off
.LBB23_2117:
	s_mov_b32 s0, 0
.LBB23_2118:
	s_delay_alu instid0(SALU_CYCLE_1)
	s_and_not1_b32 vcc_lo, exec_lo, s0
	s_cbranch_vccnz .LBB23_2127
; %bb.2119:
	s_sext_i32_i16 s1, s6
	s_mov_b32 s0, -1
	s_cmp_lt_i32 s1, 6
	s_cbranch_scc1 .LBB23_2125
; %bb.2120:
	s_cmp_gt_i32 s1, 6
	s_cbranch_scc0 .LBB23_2122
; %bb.2121:
	s_wait_loadcnt 0x0
	v_cvt_f32_f16_e32 v0, v1
	s_mov_b32 s0, 0
	s_delay_alu instid0(VALU_DEP_1)
	v_cvt_f64_f32_e32 v[4:5], v0
	global_store_b64 v[2:3], v[4:5], off
.LBB23_2122:
	s_and_not1_b32 vcc_lo, exec_lo, s0
	s_cbranch_vccnz .LBB23_2124
; %bb.2123:
	s_wait_loadcnt 0x0
	v_cvt_f32_f16_e32 v0, v1
	global_store_b32 v[2:3], v0, off
.LBB23_2124:
	s_mov_b32 s0, 0
.LBB23_2125:
	s_delay_alu instid0(SALU_CYCLE_1)
	s_and_not1_b32 vcc_lo, exec_lo, s0
	s_cbranch_vccnz .LBB23_2127
; %bb.2126:
	s_wait_loadcnt 0x0
	global_store_b16 v[2:3], v1, off
.LBB23_2127:
	s_mov_b32 s0, 0
.LBB23_2128:
	s_delay_alu instid0(SALU_CYCLE_1)
	s_and_not1_b32 vcc_lo, exec_lo, s0
	s_cbranch_vccnz .LBB23_2144
; %bb.2129:
	s_sext_i32_i16 s1, s6
	s_mov_b32 s0, -1
	s_cmp_lt_i32 s1, 2
	s_cbranch_scc1 .LBB23_2139
; %bb.2130:
	s_cmp_lt_i32 s1, 3
	s_cbranch_scc1 .LBB23_2136
; %bb.2131:
	s_cmp_gt_i32 s1, 3
	s_cbranch_scc0 .LBB23_2133
; %bb.2132:
	s_wait_loadcnt 0x0
	v_cvt_f32_f16_e32 v0, v1
	s_mov_b32 s0, 0
	s_delay_alu instid0(VALU_DEP_1) | instskip(NEXT) | instid1(VALU_DEP_1)
	v_cvt_i32_f32_e32 v4, v0
	v_ashrrev_i32_e32 v5, 31, v4
	global_store_b64 v[2:3], v[4:5], off
.LBB23_2133:
	s_and_not1_b32 vcc_lo, exec_lo, s0
	s_cbranch_vccnz .LBB23_2135
; %bb.2134:
	s_wait_loadcnt 0x0
	v_cvt_f32_f16_e32 v0, v1
	s_delay_alu instid0(VALU_DEP_1)
	v_cvt_i32_f32_e32 v0, v0
	global_store_b32 v[2:3], v0, off
.LBB23_2135:
	s_mov_b32 s0, 0
.LBB23_2136:
	s_delay_alu instid0(SALU_CYCLE_1)
	s_and_not1_b32 vcc_lo, exec_lo, s0
	s_cbranch_vccnz .LBB23_2138
; %bb.2137:
	s_wait_loadcnt 0x0
	v_cvt_i16_f16_e32 v0, v1
	global_store_b16 v[2:3], v0, off
.LBB23_2138:
	s_mov_b32 s0, 0
.LBB23_2139:
	s_delay_alu instid0(SALU_CYCLE_1)
	s_and_not1_b32 vcc_lo, exec_lo, s0
	s_cbranch_vccnz .LBB23_2144
; %bb.2140:
	s_sext_i32_i16 s0, s6
	s_delay_alu instid0(SALU_CYCLE_1)
	s_cmp_gt_i32 s0, 0
	s_mov_b32 s0, -1
	s_cbranch_scc0 .LBB23_2142
; %bb.2141:
	s_wait_loadcnt 0x0
	v_cvt_i16_f16_e32 v0, v1
	s_mov_b32 s0, 0
	global_store_b8 v[2:3], v0, off
.LBB23_2142:
	s_and_not1_b32 vcc_lo, exec_lo, s0
	s_cbranch_vccnz .LBB23_2144
; %bb.2143:
	s_wait_loadcnt 0x0
	v_cvt_f32_f16_e32 v0, v1
	s_delay_alu instid0(VALU_DEP_1)
	v_cvt_i32_f32_e32 v0, v0
	global_store_b8 v[2:3], v0, off
	s_endpgm
.LBB23_2144:
	s_endpgm
.LBB23_2145:
	s_or_b32 s1, s1, exec_lo
	s_trap 2
	s_cbranch_execz .LBB23_1618
	s_branch .LBB23_1619
.LBB23_2146:
	s_and_not1_saveexec_b32 s12, s12
	s_cbranch_execz .LBB23_1698
.LBB23_2147:
	v_add_f32_e64 v8, 0x46000000, |v5|
	s_and_not1_b32 s11, s11, exec_lo
	s_delay_alu instid0(VALU_DEP_1) | instskip(NEXT) | instid1(VALU_DEP_1)
	v_and_b32_e32 v8, 0xff, v8
	v_cmp_ne_u32_e32 vcc_lo, 0, v8
	s_and_b32 s13, vcc_lo, exec_lo
	s_delay_alu instid0(SALU_CYCLE_1)
	s_or_b32 s11, s11, s13
	s_or_b32 exec_lo, exec_lo, s12
	v_mov_b32_e32 v9, 0
	s_and_saveexec_b32 s12, s11
	s_cbranch_execnz .LBB23_1699
	s_branch .LBB23_1700
.LBB23_2148:
	s_or_b32 s1, s1, exec_lo
	s_trap 2
	s_cbranch_execz .LBB23_1746
	s_branch .LBB23_1747
.LBB23_2149:
	s_and_not1_saveexec_b32 s11, s11
	s_cbranch_execz .LBB23_1711
.LBB23_2150:
	v_add_f32_e64 v8, 0x42800000, |v5|
	s_and_not1_b32 s10, s10, exec_lo
	s_delay_alu instid0(VALU_DEP_1) | instskip(NEXT) | instid1(VALU_DEP_1)
	v_and_b32_e32 v8, 0xff, v8
	v_cmp_ne_u32_e32 vcc_lo, 0, v8
	s_and_b32 s12, vcc_lo, exec_lo
	s_delay_alu instid0(SALU_CYCLE_1)
	s_or_b32 s10, s10, s12
	s_or_b32 exec_lo, exec_lo, s11
	v_mov_b32_e32 v9, 0
	s_and_saveexec_b32 s11, s10
	s_cbranch_execnz .LBB23_1712
	s_branch .LBB23_1713
.LBB23_2151:
	s_and_not1_saveexec_b32 s12, s12
	s_cbranch_execz .LBB23_1816
.LBB23_2152:
	v_add_f32_e64 v6, 0x46000000, |v3|
	s_and_not1_b32 s11, s11, exec_lo
	s_delay_alu instid0(VALU_DEP_1) | instskip(NEXT) | instid1(VALU_DEP_1)
	v_and_b32_e32 v6, 0xff, v6
	v_cmp_ne_u32_e32 vcc_lo, 0, v6
	s_and_b32 s13, vcc_lo, exec_lo
	s_delay_alu instid0(SALU_CYCLE_1)
	s_or_b32 s11, s11, s13
	s_or_b32 exec_lo, exec_lo, s12
	v_mov_b32_e32 v7, 0
	s_and_saveexec_b32 s12, s11
	s_cbranch_execnz .LBB23_1817
	s_branch .LBB23_1818
.LBB23_2153:
	s_or_b32 s1, s1, exec_lo
	s_trap 2
	s_cbranch_execz .LBB23_1864
	s_branch .LBB23_1865
.LBB23_2154:
	s_and_not1_saveexec_b32 s11, s11
	s_cbranch_execz .LBB23_1829
.LBB23_2155:
	v_add_f32_e64 v6, 0x42800000, |v3|
	s_and_not1_b32 s10, s10, exec_lo
	s_delay_alu instid0(VALU_DEP_1) | instskip(NEXT) | instid1(VALU_DEP_1)
	v_and_b32_e32 v6, 0xff, v6
	v_cmp_ne_u32_e32 vcc_lo, 0, v6
	s_and_b32 s12, vcc_lo, exec_lo
	s_delay_alu instid0(SALU_CYCLE_1)
	s_or_b32 s10, s10, s12
	s_or_b32 exec_lo, exec_lo, s11
	v_mov_b32_e32 v7, 0
	s_and_saveexec_b32 s11, s10
	s_cbranch_execnz .LBB23_1830
	s_branch .LBB23_1831
.LBB23_2156:
	s_and_not1_saveexec_b32 s12, s12
	s_cbranch_execz .LBB23_1934
.LBB23_2157:
	v_add_f32_e64 v5, 0x46000000, |v4|
	s_and_not1_b32 s11, s11, exec_lo
	s_delay_alu instid0(VALU_DEP_1) | instskip(NEXT) | instid1(VALU_DEP_1)
	v_and_b32_e32 v5, 0xff, v5
	v_cmp_ne_u32_e32 vcc_lo, 0, v5
	s_and_b32 s13, vcc_lo, exec_lo
	s_delay_alu instid0(SALU_CYCLE_1)
	s_or_b32 s11, s11, s13
	s_or_b32 exec_lo, exec_lo, s12
	v_mov_b32_e32 v6, 0
	s_and_saveexec_b32 s12, s11
	s_cbranch_execnz .LBB23_1935
	s_branch .LBB23_1936
.LBB23_2158:
	s_or_b32 s1, s1, exec_lo
	s_trap 2
	s_cbranch_execz .LBB23_1982
	s_branch .LBB23_1983
.LBB23_2159:
	s_and_not1_saveexec_b32 s11, s11
	s_cbranch_execz .LBB23_1947
.LBB23_2160:
	v_add_f32_e64 v5, 0x42800000, |v4|
	s_and_not1_b32 s10, s10, exec_lo
	s_delay_alu instid0(VALU_DEP_1) | instskip(NEXT) | instid1(VALU_DEP_1)
	v_and_b32_e32 v5, 0xff, v5
	v_cmp_ne_u32_e32 vcc_lo, 0, v5
	s_and_b32 s12, vcc_lo, exec_lo
	s_delay_alu instid0(SALU_CYCLE_1)
	s_or_b32 s10, s10, s12
	s_or_b32 exec_lo, exec_lo, s11
	v_mov_b32_e32 v6, 0
	s_and_saveexec_b32 s11, s10
	s_cbranch_execnz .LBB23_1948
	s_branch .LBB23_1949
.LBB23_2161:
	s_and_not1_saveexec_b32 s7, s7
	s_cbranch_execz .LBB23_2014
.LBB23_2162:
	v_add_f32_e64 v4, 0x46000000, |v0|
	s_and_not1_b32 s5, s5, exec_lo
	s_delay_alu instid0(VALU_DEP_1) | instskip(NEXT) | instid1(VALU_DEP_1)
	v_and_b32_e32 v4, 0xff, v4
	v_cmp_ne_u32_e32 vcc_lo, 0, v4
	s_and_b32 s10, vcc_lo, exec_lo
	s_delay_alu instid0(SALU_CYCLE_1)
	s_or_b32 s5, s5, s10
	s_or_b32 exec_lo, exec_lo, s7
	v_mov_b32_e32 v5, 0
	s_and_saveexec_b32 s7, s5
	s_cbranch_execnz .LBB23_2015
	s_branch .LBB23_2016
.LBB23_2163:
	s_mov_b32 s2, 0
	s_or_b32 s1, s1, exec_lo
	s_trap 2
	s_branch .LBB23_2060
.LBB23_2164:
	s_and_not1_saveexec_b32 s5, s5
	s_cbranch_execz .LBB23_2026
.LBB23_2165:
	v_add_f32_e64 v4, 0x42800000, |v0|
	s_and_not1_b32 s4, s4, exec_lo
	s_delay_alu instid0(VALU_DEP_1) | instskip(NEXT) | instid1(VALU_DEP_1)
	v_and_b32_e32 v4, 0xff, v4
	v_cmp_ne_u32_e32 vcc_lo, 0, v4
	s_and_b32 s7, vcc_lo, exec_lo
	s_delay_alu instid0(SALU_CYCLE_1)
	s_or_b32 s4, s4, s7
	s_or_b32 exec_lo, exec_lo, s5
	v_mov_b32_e32 v5, 0
	s_and_saveexec_b32 s5, s4
	s_cbranch_execnz .LBB23_2027
	s_branch .LBB23_2028
	.section	.rodata,"a",@progbits
	.p2align	6, 0x0
	.amdhsa_kernel _ZN2at6native32elementwise_kernel_manual_unrollILi128ELi4EZNS0_15gpu_kernel_implIZZZNS0_12_GLOBAL__N_117hardshrink_kernelERNS_18TensorIteratorBaseERKN3c106ScalarEENKUlvE_clEvENKUlvE1_clEvEUlNS6_4HalfEE_EEvS5_RKT_EUlibE0_EEviT1_
		.amdhsa_group_segment_fixed_size 0
		.amdhsa_private_segment_fixed_size 0
		.amdhsa_kernarg_size 360
		.amdhsa_user_sgpr_count 2
		.amdhsa_user_sgpr_dispatch_ptr 0
		.amdhsa_user_sgpr_queue_ptr 0
		.amdhsa_user_sgpr_kernarg_segment_ptr 1
		.amdhsa_user_sgpr_dispatch_id 0
		.amdhsa_user_sgpr_kernarg_preload_length 0
		.amdhsa_user_sgpr_kernarg_preload_offset 0
		.amdhsa_user_sgpr_private_segment_size 0
		.amdhsa_wavefront_size32 1
		.amdhsa_uses_dynamic_stack 0
		.amdhsa_enable_private_segment 0
		.amdhsa_system_sgpr_workgroup_id_x 1
		.amdhsa_system_sgpr_workgroup_id_y 0
		.amdhsa_system_sgpr_workgroup_id_z 0
		.amdhsa_system_sgpr_workgroup_info 0
		.amdhsa_system_vgpr_workitem_id 0
		.amdhsa_next_free_vgpr 18
		.amdhsa_next_free_sgpr 68
		.amdhsa_named_barrier_count 0
		.amdhsa_reserve_vcc 1
		.amdhsa_float_round_mode_32 0
		.amdhsa_float_round_mode_16_64 0
		.amdhsa_float_denorm_mode_32 3
		.amdhsa_float_denorm_mode_16_64 3
		.amdhsa_fp16_overflow 0
		.amdhsa_memory_ordered 1
		.amdhsa_forward_progress 1
		.amdhsa_inst_pref_size 255
		.amdhsa_round_robin_scheduling 0
		.amdhsa_exception_fp_ieee_invalid_op 0
		.amdhsa_exception_fp_denorm_src 0
		.amdhsa_exception_fp_ieee_div_zero 0
		.amdhsa_exception_fp_ieee_overflow 0
		.amdhsa_exception_fp_ieee_underflow 0
		.amdhsa_exception_fp_ieee_inexact 0
		.amdhsa_exception_int_div_zero 0
	.end_amdhsa_kernel
	.section	.text._ZN2at6native32elementwise_kernel_manual_unrollILi128ELi4EZNS0_15gpu_kernel_implIZZZNS0_12_GLOBAL__N_117hardshrink_kernelERNS_18TensorIteratorBaseERKN3c106ScalarEENKUlvE_clEvENKUlvE1_clEvEUlNS6_4HalfEE_EEvS5_RKT_EUlibE0_EEviT1_,"axG",@progbits,_ZN2at6native32elementwise_kernel_manual_unrollILi128ELi4EZNS0_15gpu_kernel_implIZZZNS0_12_GLOBAL__N_117hardshrink_kernelERNS_18TensorIteratorBaseERKN3c106ScalarEENKUlvE_clEvENKUlvE1_clEvEUlNS6_4HalfEE_EEvS5_RKT_EUlibE0_EEviT1_,comdat
.Lfunc_end23:
	.size	_ZN2at6native32elementwise_kernel_manual_unrollILi128ELi4EZNS0_15gpu_kernel_implIZZZNS0_12_GLOBAL__N_117hardshrink_kernelERNS_18TensorIteratorBaseERKN3c106ScalarEENKUlvE_clEvENKUlvE1_clEvEUlNS6_4HalfEE_EEvS5_RKT_EUlibE0_EEviT1_, .Lfunc_end23-_ZN2at6native32elementwise_kernel_manual_unrollILi128ELi4EZNS0_15gpu_kernel_implIZZZNS0_12_GLOBAL__N_117hardshrink_kernelERNS_18TensorIteratorBaseERKN3c106ScalarEENKUlvE_clEvENKUlvE1_clEvEUlNS6_4HalfEE_EEvS5_RKT_EUlibE0_EEviT1_
                                        ; -- End function
	.set _ZN2at6native32elementwise_kernel_manual_unrollILi128ELi4EZNS0_15gpu_kernel_implIZZZNS0_12_GLOBAL__N_117hardshrink_kernelERNS_18TensorIteratorBaseERKN3c106ScalarEENKUlvE_clEvENKUlvE1_clEvEUlNS6_4HalfEE_EEvS5_RKT_EUlibE0_EEviT1_.num_vgpr, 18
	.set _ZN2at6native32elementwise_kernel_manual_unrollILi128ELi4EZNS0_15gpu_kernel_implIZZZNS0_12_GLOBAL__N_117hardshrink_kernelERNS_18TensorIteratorBaseERKN3c106ScalarEENKUlvE_clEvENKUlvE1_clEvEUlNS6_4HalfEE_EEvS5_RKT_EUlibE0_EEviT1_.num_agpr, 0
	.set _ZN2at6native32elementwise_kernel_manual_unrollILi128ELi4EZNS0_15gpu_kernel_implIZZZNS0_12_GLOBAL__N_117hardshrink_kernelERNS_18TensorIteratorBaseERKN3c106ScalarEENKUlvE_clEvENKUlvE1_clEvEUlNS6_4HalfEE_EEvS5_RKT_EUlibE0_EEviT1_.numbered_sgpr, 68
	.set _ZN2at6native32elementwise_kernel_manual_unrollILi128ELi4EZNS0_15gpu_kernel_implIZZZNS0_12_GLOBAL__N_117hardshrink_kernelERNS_18TensorIteratorBaseERKN3c106ScalarEENKUlvE_clEvENKUlvE1_clEvEUlNS6_4HalfEE_EEvS5_RKT_EUlibE0_EEviT1_.num_named_barrier, 0
	.set _ZN2at6native32elementwise_kernel_manual_unrollILi128ELi4EZNS0_15gpu_kernel_implIZZZNS0_12_GLOBAL__N_117hardshrink_kernelERNS_18TensorIteratorBaseERKN3c106ScalarEENKUlvE_clEvENKUlvE1_clEvEUlNS6_4HalfEE_EEvS5_RKT_EUlibE0_EEviT1_.private_seg_size, 0
	.set _ZN2at6native32elementwise_kernel_manual_unrollILi128ELi4EZNS0_15gpu_kernel_implIZZZNS0_12_GLOBAL__N_117hardshrink_kernelERNS_18TensorIteratorBaseERKN3c106ScalarEENKUlvE_clEvENKUlvE1_clEvEUlNS6_4HalfEE_EEvS5_RKT_EUlibE0_EEviT1_.uses_vcc, 1
	.set _ZN2at6native32elementwise_kernel_manual_unrollILi128ELi4EZNS0_15gpu_kernel_implIZZZNS0_12_GLOBAL__N_117hardshrink_kernelERNS_18TensorIteratorBaseERKN3c106ScalarEENKUlvE_clEvENKUlvE1_clEvEUlNS6_4HalfEE_EEvS5_RKT_EUlibE0_EEviT1_.uses_flat_scratch, 0
	.set _ZN2at6native32elementwise_kernel_manual_unrollILi128ELi4EZNS0_15gpu_kernel_implIZZZNS0_12_GLOBAL__N_117hardshrink_kernelERNS_18TensorIteratorBaseERKN3c106ScalarEENKUlvE_clEvENKUlvE1_clEvEUlNS6_4HalfEE_EEvS5_RKT_EUlibE0_EEviT1_.has_dyn_sized_stack, 0
	.set _ZN2at6native32elementwise_kernel_manual_unrollILi128ELi4EZNS0_15gpu_kernel_implIZZZNS0_12_GLOBAL__N_117hardshrink_kernelERNS_18TensorIteratorBaseERKN3c106ScalarEENKUlvE_clEvENKUlvE1_clEvEUlNS6_4HalfEE_EEvS5_RKT_EUlibE0_EEviT1_.has_recursion, 0
	.set _ZN2at6native32elementwise_kernel_manual_unrollILi128ELi4EZNS0_15gpu_kernel_implIZZZNS0_12_GLOBAL__N_117hardshrink_kernelERNS_18TensorIteratorBaseERKN3c106ScalarEENKUlvE_clEvENKUlvE1_clEvEUlNS6_4HalfEE_EEvS5_RKT_EUlibE0_EEviT1_.has_indirect_call, 0
	.section	.AMDGPU.csdata,"",@progbits
; Kernel info:
; codeLenInByte = 47472
; TotalNumSgprs: 70
; NumVgprs: 18
; ScratchSize: 0
; MemoryBound: 0
; FloatMode: 240
; IeeeMode: 1
; LDSByteSize: 0 bytes/workgroup (compile time only)
; SGPRBlocks: 0
; VGPRBlocks: 1
; NumSGPRsForWavesPerEU: 70
; NumVGPRsForWavesPerEU: 18
; NamedBarCnt: 0
; Occupancy: 16
; WaveLimiterHint : 1
; COMPUTE_PGM_RSRC2:SCRATCH_EN: 0
; COMPUTE_PGM_RSRC2:USER_SGPR: 2
; COMPUTE_PGM_RSRC2:TRAP_HANDLER: 0
; COMPUTE_PGM_RSRC2:TGID_X_EN: 1
; COMPUTE_PGM_RSRC2:TGID_Y_EN: 0
; COMPUTE_PGM_RSRC2:TGID_Z_EN: 0
; COMPUTE_PGM_RSRC2:TIDIG_COMP_CNT: 0
	.section	.text._ZN2at6native29vectorized_elementwise_kernelILi16EZZZNS0_12_GLOBAL__N_117hardshrink_kernelERNS_18TensorIteratorBaseERKN3c106ScalarEENKUlvE_clEvENKUlvE2_clEvEUlNS5_8BFloat16EE_St5arrayIPcLm2EEEEviT0_T1_,"axG",@progbits,_ZN2at6native29vectorized_elementwise_kernelILi16EZZZNS0_12_GLOBAL__N_117hardshrink_kernelERNS_18TensorIteratorBaseERKN3c106ScalarEENKUlvE_clEvENKUlvE2_clEvEUlNS5_8BFloat16EE_St5arrayIPcLm2EEEEviT0_T1_,comdat
	.globl	_ZN2at6native29vectorized_elementwise_kernelILi16EZZZNS0_12_GLOBAL__N_117hardshrink_kernelERNS_18TensorIteratorBaseERKN3c106ScalarEENKUlvE_clEvENKUlvE2_clEvEUlNS5_8BFloat16EE_St5arrayIPcLm2EEEEviT0_T1_ ; -- Begin function _ZN2at6native29vectorized_elementwise_kernelILi16EZZZNS0_12_GLOBAL__N_117hardshrink_kernelERNS_18TensorIteratorBaseERKN3c106ScalarEENKUlvE_clEvENKUlvE2_clEvEUlNS5_8BFloat16EE_St5arrayIPcLm2EEEEviT0_T1_
	.p2align	8
	.type	_ZN2at6native29vectorized_elementwise_kernelILi16EZZZNS0_12_GLOBAL__N_117hardshrink_kernelERNS_18TensorIteratorBaseERKN3c106ScalarEENKUlvE_clEvENKUlvE2_clEvEUlNS5_8BFloat16EE_St5arrayIPcLm2EEEEviT0_T1_,@function
_ZN2at6native29vectorized_elementwise_kernelILi16EZZZNS0_12_GLOBAL__N_117hardshrink_kernelERNS_18TensorIteratorBaseERKN3c106ScalarEENKUlvE_clEvENKUlvE2_clEvEUlNS5_8BFloat16EE_St5arrayIPcLm2EEEEviT0_T1_: ; @_ZN2at6native29vectorized_elementwise_kernelILi16EZZZNS0_12_GLOBAL__N_117hardshrink_kernelERNS_18TensorIteratorBaseERKN3c106ScalarEENKUlvE_clEvENKUlvE2_clEvEUlNS5_8BFloat16EE_St5arrayIPcLm2EEEEviT0_T1_
; %bb.0:
	s_clause 0x1
	s_load_b64 s[14:15], s[0:1], 0x0
	s_load_b128 s[16:19], s[0:1], 0x8
	s_wait_xcnt 0x0
	s_bfe_u32 s0, ttmp6, 0x4000c
	s_and_b32 s1, ttmp6, 15
	s_add_co_i32 s0, s0, 1
	s_getreg_b32 s2, hwreg(HW_REG_IB_STS2, 6, 4)
	s_mul_i32 s0, ttmp9, s0
	s_delay_alu instid0(SALU_CYCLE_1) | instskip(SKIP_2) | instid1(SALU_CYCLE_1)
	s_add_co_i32 s1, s1, s0
	s_cmp_eq_u32 s2, 0
	s_cselect_b32 s0, ttmp9, s1
	s_lshl_b32 s20, s0, 11
	s_mov_b32 s0, -1
	s_wait_kmcnt 0x0
	s_sub_co_i32 s22, s14, s20
	s_delay_alu instid0(SALU_CYCLE_1)
	s_cmp_gt_i32 s22, 0x7ff
	s_cbranch_scc0 .LBB24_2
; %bb.1:
	s_ashr_i32 s21, s20, 31
	s_lshl_b32 s14, s15, 16
	s_lshl_b64 s[24:25], s[20:21], 1
	s_delay_alu instid0(SALU_CYCLE_1) | instskip(SKIP_3) | instid1(SALU_CYCLE_1)
	s_add_nc_u64 s[0:1], s[18:19], s[24:25]
	global_load_b128 v[2:5], v0, s[0:1] scale_offset
	s_wait_xcnt 0x0
	s_xor_b32 s0, s14, 0x80000000
	s_bfe_u32 s1, s0, 0x10010
	s_delay_alu instid0(SALU_CYCLE_1) | instskip(NEXT) | instid1(SALU_CYCLE_1)
	s_add_co_i32 s0, s0, s1
	s_addk_co_i32 s0, 0x7fff
	s_delay_alu instid0(SALU_CYCLE_1)
	s_and_b32 s0, s0, 0xffff0000
	s_cmp_o_f32 s14, s14
	s_cselect_b32 s10, s0, 0x7fc00000
	s_wait_loadcnt 0x0
	v_and_b32_e32 v10, 0xffff0000, v2
	v_and_b32_e32 v8, 0xffff0000, v3
	v_dual_lshlrev_b32 v7, 16, v3 :: v_dual_lshlrev_b32 v9, 16, v2
	v_and_b32_e32 v16, 0xffff0000, v4
	s_delay_alu instid0(VALU_DEP_4)
	v_cmp_nle_f32_e32 vcc_lo, s10, v10
	v_cmp_nge_f32_e64 s3, s14, v10
	v_dual_lshrrev_b32 v1, 16, v3 :: v_dual_lshrrev_b32 v6, 16, v2
	v_cmp_nle_f32_e64 s1, s10, v8
	v_cmp_nge_f32_e64 s5, s14, v8
	v_and_b32_e32 v14, 0xffff0000, v5
	v_cmp_nle_f32_e64 s2, s10, v7
	v_cmp_nge_f32_e64 s6, s14, v7
	v_dual_lshlrev_b32 v13, 16, v5 :: v_dual_lshlrev_b32 v15, 16, v4
	s_or_b32 vcc_lo, s3, vcc_lo
	v_cmp_nle_f32_e64 s7, s10, v16
	v_cmp_nge_f32_e64 s11, s14, v16
	v_cndmask_b32_e32 v6, 0, v6, vcc_lo
	s_or_b32 vcc_lo, s5, s1
	v_dual_lshrrev_b32 v11, 16, v5 :: v_dual_lshrrev_b32 v12, 16, v4
	v_cmp_nle_f32_e64 s9, s10, v14
	v_cmp_nge_f32_e64 s13, s14, v14
	v_cndmask_b32_e32 v1, 0, v1, vcc_lo
	s_or_b32 vcc_lo, s6, s2
	v_cmp_nle_f32_e64 s0, s10, v9
	v_cmp_nge_f32_e64 s4, s14, v9
	v_cmp_nle_f32_e64 s8, s10, v15
	v_cmp_nle_f32_e64 s10, s10, v13
	v_cmp_nge_f32_e64 s12, s14, v15
	v_cmp_nge_f32_e64 s14, s14, v13
	v_cndmask_b32_e32 v3, 0, v3, vcc_lo
	s_or_b32 vcc_lo, s11, s7
	s_add_nc_u64 s[2:3], s[16:17], s[24:25]
	v_cndmask_b32_e32 v7, 0, v12, vcc_lo
	s_or_b32 vcc_lo, s13, s9
	v_perm_b32 v3, v1, v3, 0x5040100
	v_cndmask_b32_e32 v8, 0, v11, vcc_lo
	s_or_b32 vcc_lo, s14, s10
	v_cndmask_b32_e32 v5, 0, v5, vcc_lo
	s_or_b32 vcc_lo, s12, s8
	;; [unrolled: 2-line block ×3, first 2 shown]
	s_delay_alu instid0(VALU_DEP_2) | instskip(SKIP_3) | instid1(VALU_DEP_2)
	v_perm_b32 v5, v8, v5, 0x5040100
	v_cndmask_b32_e32 v2, 0, v2, vcc_lo
	s_mov_b32 s0, 0
	v_perm_b32 v4, v7, v4, 0x5040100
	v_perm_b32 v2, v6, v2, 0x5040100
	global_store_b128 v0, v[2:5], s[2:3] scale_offset
.LBB24_2:
	s_and_not1_b32 vcc_lo, exec_lo, s0
	s_cbranch_vccnz .LBB24_28
; %bb.3:
	v_cmp_gt_i32_e32 vcc_lo, s22, v0
	s_wait_xcnt 0x0
	v_dual_mov_b32 v2, 0 :: v_dual_bitop2_b32 v5, s20, v0 bitop3:0x54
	v_or_b32_e32 v6, 0x100, v0
	v_dual_mov_b32 v8, 0 :: v_dual_mov_b32 v11, v0
	s_and_saveexec_b32 s0, vcc_lo
	s_cbranch_execz .LBB24_5
; %bb.4:
	global_load_u16 v8, v5, s[18:19] scale_offset
	v_or_b32_e32 v11, 0x100, v0
.LBB24_5:
	s_wait_xcnt 0x0
	s_or_b32 exec_lo, exec_lo, s0
	s_delay_alu instid0(SALU_CYCLE_1) | instskip(NEXT) | instid1(VALU_DEP_1)
	s_mov_b32 s1, exec_lo
	v_cmpx_gt_i32_e64 s22, v11
	s_cbranch_execz .LBB24_7
; %bb.6:
	v_add_nc_u32_e32 v1, s20, v11
	v_add_nc_u32_e32 v11, 0x100, v11
	global_load_u16 v2, v1, s[18:19] scale_offset
.LBB24_7:
	s_wait_xcnt 0x0
	s_or_b32 exec_lo, exec_lo, s1
	v_dual_mov_b32 v4, 0 :: v_dual_mov_b32 v10, 0
	s_mov_b32 s1, exec_lo
	v_cmpx_gt_i32_e64 s22, v11
	s_cbranch_execz .LBB24_9
; %bb.8:
	v_add_nc_u32_e32 v1, s20, v11
	v_add_nc_u32_e32 v11, 0x100, v11
	global_load_u16 v10, v1, s[18:19] scale_offset
.LBB24_9:
	s_wait_xcnt 0x0
	s_or_b32 exec_lo, exec_lo, s1
	s_delay_alu instid0(SALU_CYCLE_1)
	s_mov_b32 s1, exec_lo
	v_cmpx_gt_i32_e64 s22, v11
	s_cbranch_execz .LBB24_11
; %bb.10:
	v_add_nc_u32_e32 v1, s20, v11
	v_add_nc_u32_e32 v11, 0x100, v11
	global_load_u16 v4, v1, s[18:19] scale_offset
.LBB24_11:
	s_wait_xcnt 0x0
	s_or_b32 exec_lo, exec_lo, s1
	v_dual_mov_b32 v3, 0 :: v_dual_mov_b32 v9, 0
	s_mov_b32 s1, exec_lo
	v_cmpx_gt_i32_e64 s22, v11
	s_cbranch_execz .LBB24_13
; %bb.12:
	v_add_nc_u32_e32 v1, s20, v11
	v_add_nc_u32_e32 v11, 0x100, v11
	global_load_u16 v9, v1, s[18:19] scale_offset
.LBB24_13:
	s_wait_xcnt 0x0
	s_or_b32 exec_lo, exec_lo, s1
	s_delay_alu instid0(SALU_CYCLE_1)
	;; [unrolled: 22-line block ×3, first 2 shown]
	s_mov_b32 s1, exec_lo
	v_cmpx_gt_i32_e64 s22, v11
	s_cbranch_execz .LBB24_19
; %bb.18:
	v_add_nc_u32_e32 v1, s20, v11
	global_load_u16 v1, v1, s[18:19] scale_offset
.LBB24_19:
	s_wait_xcnt 0x0
	s_or_b32 exec_lo, exec_lo, s1
	s_lshl_b32 s0, s15, 16
	s_delay_alu instid0(SALU_CYCLE_1) | instskip(SKIP_2) | instid1(SALU_CYCLE_1)
	s_xor_b32 s1, s0, 0x80000000
	v_mov_b32_e32 v11, s0
	s_bfe_u32 s2, s1, 0x10010
	s_add_co_i32 s1, s1, s2
	s_delay_alu instid0(SALU_CYCLE_1) | instskip(NEXT) | instid1(SALU_CYCLE_1)
	s_addk_co_i32 s1, 0x7fff
	s_and_b32 s1, s1, 0xffff0000
	s_cmp_o_f32 s0, s0
	s_cselect_b32 s1, s1, 0x7fc00000
	s_and_saveexec_b32 s2, vcc_lo
	s_cbranch_execnz .LBB24_29
; %bb.20:
	s_or_b32 exec_lo, exec_lo, s2
	s_delay_alu instid0(SALU_CYCLE_1)
	s_mov_b32 s2, exec_lo
	v_cmpx_gt_i32_e64 s22, v0
	s_cbranch_execnz .LBB24_30
.LBB24_21:
	s_or_b32 exec_lo, exec_lo, s2
	s_delay_alu instid0(SALU_CYCLE_1)
	s_mov_b32 s2, exec_lo
	v_cmpx_gt_i32_e64 s22, v0
	s_cbranch_execnz .LBB24_31
.LBB24_22:
	s_or_b32 exec_lo, exec_lo, s2
	s_delay_alu instid0(SALU_CYCLE_1)
	s_mov_b32 s2, exec_lo
	v_cmpx_gt_i32_e64 s22, v0
	s_cbranch_execnz .LBB24_32
.LBB24_23:
	s_or_b32 exec_lo, exec_lo, s2
	s_delay_alu instid0(SALU_CYCLE_1)
	s_mov_b32 s2, exec_lo
	v_cmpx_gt_i32_e64 s22, v0
	s_cbranch_execnz .LBB24_33
.LBB24_24:
	s_or_b32 exec_lo, exec_lo, s2
	s_delay_alu instid0(SALU_CYCLE_1)
	s_mov_b32 s2, exec_lo
	v_cmpx_gt_i32_e64 s22, v0
	s_cbranch_execnz .LBB24_34
.LBB24_25:
	s_or_b32 exec_lo, exec_lo, s2
	s_delay_alu instid0(SALU_CYCLE_1)
	s_mov_b32 s2, exec_lo
	v_cmpx_gt_i32_e64 s22, v0
	s_cbranch_execnz .LBB24_35
.LBB24_26:
	s_or_b32 exec_lo, exec_lo, s2
	s_delay_alu instid0(SALU_CYCLE_1)
	s_mov_b32 s0, exec_lo
	v_cmpx_gt_i32_e64 s22, v0
	s_cbranch_execz .LBB24_28
.LBB24_27:
	s_wait_loadcnt 0x0
	v_dual_lshlrev_b32 v2, 16, v1 :: v_dual_add_nc_u32 v0, s20, v0
	s_delay_alu instid0(VALU_DEP_1)
	v_cmp_nle_f32_e32 vcc_lo, s1, v2
	v_cmp_nle_f32_e64 s0, v2, v11
	s_or_b32 vcc_lo, s0, vcc_lo
	v_cndmask_b32_e32 v1, 0, v1, vcc_lo
	global_store_b16 v0, v1, s[16:17] scale_offset
.LBB24_28:
	s_endpgm
.LBB24_29:
	s_wait_loadcnt 0x0
	v_lshlrev_b32_e32 v0, 16, v8
	s_delay_alu instid0(VALU_DEP_1)
	v_cmp_nge_f32_e32 vcc_lo, v11, v0
	v_cmp_nle_f32_e64 s0, s1, v0
	v_mov_b32_e32 v0, v6
	s_or_b32 vcc_lo, vcc_lo, s0
	v_cndmask_b32_e32 v8, 0, v8, vcc_lo
	global_store_b16 v5, v8, s[16:17] scale_offset
	s_wait_xcnt 0x0
	s_or_b32 exec_lo, exec_lo, s2
	s_delay_alu instid0(SALU_CYCLE_1)
	s_mov_b32 s2, exec_lo
	v_cmpx_gt_i32_e64 s22, v0
	s_cbranch_execz .LBB24_21
.LBB24_30:
	s_wait_loadcnt 0x0
	v_lshlrev_b32_e32 v5, 16, v2
	s_delay_alu instid0(VALU_DEP_1)
	v_cmp_nle_f32_e32 vcc_lo, s1, v5
	v_cmp_nge_f32_e64 s0, v11, v5
	v_add_nc_u32_e32 v5, s20, v0
	v_add_nc_u32_e32 v0, 0x100, v0
	s_or_b32 vcc_lo, s0, vcc_lo
	v_cndmask_b32_e32 v2, 0, v2, vcc_lo
	global_store_b16 v5, v2, s[16:17] scale_offset
	s_wait_xcnt 0x0
	s_or_b32 exec_lo, exec_lo, s2
	s_delay_alu instid0(SALU_CYCLE_1)
	s_mov_b32 s2, exec_lo
	v_cmpx_gt_i32_e64 s22, v0
	s_cbranch_execz .LBB24_22
.LBB24_31:
	s_wait_loadcnt 0x0
	v_dual_lshlrev_b32 v2, 16, v10 :: v_dual_add_nc_u32 v5, s20, v0
	v_add_nc_u32_e32 v0, 0x100, v0
	s_delay_alu instid0(VALU_DEP_2)
	v_cmp_nle_f32_e32 vcc_lo, s1, v2
	v_cmp_nge_f32_e64 s0, v11, v2
	s_or_b32 vcc_lo, s0, vcc_lo
	v_cndmask_b32_e32 v2, 0, v10, vcc_lo
	global_store_b16 v5, v2, s[16:17] scale_offset
	s_wait_xcnt 0x0
	s_or_b32 exec_lo, exec_lo, s2
	s_delay_alu instid0(SALU_CYCLE_1)
	s_mov_b32 s2, exec_lo
	v_cmpx_gt_i32_e64 s22, v0
	s_cbranch_execz .LBB24_23
.LBB24_32:
	s_wait_loadcnt 0x0
	v_lshlrev_b32_e32 v2, 16, v4
	s_delay_alu instid0(VALU_DEP_1)
	v_cmp_nle_f32_e32 vcc_lo, s1, v2
	v_cmp_nge_f32_e64 s0, v11, v2
	s_or_b32 vcc_lo, s0, vcc_lo
	v_cndmask_b32_e32 v2, 0, v4, vcc_lo
	v_add_nc_u32_e32 v4, s20, v0
	v_add_nc_u32_e32 v0, 0x100, v0
	global_store_b16 v4, v2, s[16:17] scale_offset
	s_wait_xcnt 0x0
	s_or_b32 exec_lo, exec_lo, s2
	s_delay_alu instid0(SALU_CYCLE_1)
	s_mov_b32 s2, exec_lo
	v_cmpx_gt_i32_e64 s22, v0
	s_cbranch_execz .LBB24_24
.LBB24_33:
	s_wait_loadcnt 0x0
	v_dual_lshlrev_b32 v2, 16, v9 :: v_dual_add_nc_u32 v4, s20, v0
	v_add_nc_u32_e32 v0, 0x100, v0
	s_delay_alu instid0(VALU_DEP_2)
	v_cmp_nle_f32_e32 vcc_lo, s1, v2
	v_cmp_nge_f32_e64 s0, v11, v2
	s_or_b32 vcc_lo, s0, vcc_lo
	v_cndmask_b32_e32 v2, 0, v9, vcc_lo
	global_store_b16 v4, v2, s[16:17] scale_offset
	s_wait_xcnt 0x0
	s_or_b32 exec_lo, exec_lo, s2
	s_delay_alu instid0(SALU_CYCLE_1)
	s_mov_b32 s2, exec_lo
	v_cmpx_gt_i32_e64 s22, v0
	s_cbranch_execz .LBB24_25
.LBB24_34:
	s_wait_loadcnt 0x0
	v_lshlrev_b32_e32 v2, 16, v3
	s_delay_alu instid0(VALU_DEP_1)
	v_cmp_nle_f32_e32 vcc_lo, s1, v2
	v_cmp_nge_f32_e64 s0, v11, v2
	s_or_b32 vcc_lo, s0, vcc_lo
	v_dual_cndmask_b32 v2, 0, v3 :: v_dual_add_nc_u32 v3, s20, v0
	v_add_nc_u32_e32 v0, 0x100, v0
	global_store_b16 v3, v2, s[16:17] scale_offset
	s_wait_xcnt 0x0
	s_or_b32 exec_lo, exec_lo, s2
	s_delay_alu instid0(SALU_CYCLE_1)
	s_mov_b32 s2, exec_lo
	v_cmpx_gt_i32_e64 s22, v0
	s_cbranch_execz .LBB24_26
.LBB24_35:
	s_wait_loadcnt 0x0
	v_dual_lshlrev_b32 v2, 16, v7 :: v_dual_add_nc_u32 v3, s20, v0
	v_add_nc_u32_e32 v0, 0x100, v0
	s_delay_alu instid0(VALU_DEP_2)
	v_cmp_nle_f32_e32 vcc_lo, s1, v2
	v_cmp_nge_f32_e64 s0, v11, v2
	s_or_b32 vcc_lo, s0, vcc_lo
	v_cndmask_b32_e32 v2, 0, v7, vcc_lo
	global_store_b16 v3, v2, s[16:17] scale_offset
	s_wait_xcnt 0x0
	s_or_b32 exec_lo, exec_lo, s2
	s_delay_alu instid0(SALU_CYCLE_1)
	s_mov_b32 s0, exec_lo
	v_cmpx_gt_i32_e64 s22, v0
	s_cbranch_execnz .LBB24_27
	s_branch .LBB24_28
	.section	.rodata,"a",@progbits
	.p2align	6, 0x0
	.amdhsa_kernel _ZN2at6native29vectorized_elementwise_kernelILi16EZZZNS0_12_GLOBAL__N_117hardshrink_kernelERNS_18TensorIteratorBaseERKN3c106ScalarEENKUlvE_clEvENKUlvE2_clEvEUlNS5_8BFloat16EE_St5arrayIPcLm2EEEEviT0_T1_
		.amdhsa_group_segment_fixed_size 0
		.amdhsa_private_segment_fixed_size 0
		.amdhsa_kernarg_size 24
		.amdhsa_user_sgpr_count 2
		.amdhsa_user_sgpr_dispatch_ptr 0
		.amdhsa_user_sgpr_queue_ptr 0
		.amdhsa_user_sgpr_kernarg_segment_ptr 1
		.amdhsa_user_sgpr_dispatch_id 0
		.amdhsa_user_sgpr_kernarg_preload_length 0
		.amdhsa_user_sgpr_kernarg_preload_offset 0
		.amdhsa_user_sgpr_private_segment_size 0
		.amdhsa_wavefront_size32 1
		.amdhsa_uses_dynamic_stack 0
		.amdhsa_enable_private_segment 0
		.amdhsa_system_sgpr_workgroup_id_x 1
		.amdhsa_system_sgpr_workgroup_id_y 0
		.amdhsa_system_sgpr_workgroup_id_z 0
		.amdhsa_system_sgpr_workgroup_info 0
		.amdhsa_system_vgpr_workitem_id 0
		.amdhsa_next_free_vgpr 17
		.amdhsa_next_free_sgpr 26
		.amdhsa_named_barrier_count 0
		.amdhsa_reserve_vcc 1
		.amdhsa_float_round_mode_32 0
		.amdhsa_float_round_mode_16_64 0
		.amdhsa_float_denorm_mode_32 3
		.amdhsa_float_denorm_mode_16_64 3
		.amdhsa_fp16_overflow 0
		.amdhsa_memory_ordered 1
		.amdhsa_forward_progress 1
		.amdhsa_inst_pref_size 15
		.amdhsa_round_robin_scheduling 0
		.amdhsa_exception_fp_ieee_invalid_op 0
		.amdhsa_exception_fp_denorm_src 0
		.amdhsa_exception_fp_ieee_div_zero 0
		.amdhsa_exception_fp_ieee_overflow 0
		.amdhsa_exception_fp_ieee_underflow 0
		.amdhsa_exception_fp_ieee_inexact 0
		.amdhsa_exception_int_div_zero 0
	.end_amdhsa_kernel
	.section	.text._ZN2at6native29vectorized_elementwise_kernelILi16EZZZNS0_12_GLOBAL__N_117hardshrink_kernelERNS_18TensorIteratorBaseERKN3c106ScalarEENKUlvE_clEvENKUlvE2_clEvEUlNS5_8BFloat16EE_St5arrayIPcLm2EEEEviT0_T1_,"axG",@progbits,_ZN2at6native29vectorized_elementwise_kernelILi16EZZZNS0_12_GLOBAL__N_117hardshrink_kernelERNS_18TensorIteratorBaseERKN3c106ScalarEENKUlvE_clEvENKUlvE2_clEvEUlNS5_8BFloat16EE_St5arrayIPcLm2EEEEviT0_T1_,comdat
.Lfunc_end24:
	.size	_ZN2at6native29vectorized_elementwise_kernelILi16EZZZNS0_12_GLOBAL__N_117hardshrink_kernelERNS_18TensorIteratorBaseERKN3c106ScalarEENKUlvE_clEvENKUlvE2_clEvEUlNS5_8BFloat16EE_St5arrayIPcLm2EEEEviT0_T1_, .Lfunc_end24-_ZN2at6native29vectorized_elementwise_kernelILi16EZZZNS0_12_GLOBAL__N_117hardshrink_kernelERNS_18TensorIteratorBaseERKN3c106ScalarEENKUlvE_clEvENKUlvE2_clEvEUlNS5_8BFloat16EE_St5arrayIPcLm2EEEEviT0_T1_
                                        ; -- End function
	.set _ZN2at6native29vectorized_elementwise_kernelILi16EZZZNS0_12_GLOBAL__N_117hardshrink_kernelERNS_18TensorIteratorBaseERKN3c106ScalarEENKUlvE_clEvENKUlvE2_clEvEUlNS5_8BFloat16EE_St5arrayIPcLm2EEEEviT0_T1_.num_vgpr, 17
	.set _ZN2at6native29vectorized_elementwise_kernelILi16EZZZNS0_12_GLOBAL__N_117hardshrink_kernelERNS_18TensorIteratorBaseERKN3c106ScalarEENKUlvE_clEvENKUlvE2_clEvEUlNS5_8BFloat16EE_St5arrayIPcLm2EEEEviT0_T1_.num_agpr, 0
	.set _ZN2at6native29vectorized_elementwise_kernelILi16EZZZNS0_12_GLOBAL__N_117hardshrink_kernelERNS_18TensorIteratorBaseERKN3c106ScalarEENKUlvE_clEvENKUlvE2_clEvEUlNS5_8BFloat16EE_St5arrayIPcLm2EEEEviT0_T1_.numbered_sgpr, 26
	.set _ZN2at6native29vectorized_elementwise_kernelILi16EZZZNS0_12_GLOBAL__N_117hardshrink_kernelERNS_18TensorIteratorBaseERKN3c106ScalarEENKUlvE_clEvENKUlvE2_clEvEUlNS5_8BFloat16EE_St5arrayIPcLm2EEEEviT0_T1_.num_named_barrier, 0
	.set _ZN2at6native29vectorized_elementwise_kernelILi16EZZZNS0_12_GLOBAL__N_117hardshrink_kernelERNS_18TensorIteratorBaseERKN3c106ScalarEENKUlvE_clEvENKUlvE2_clEvEUlNS5_8BFloat16EE_St5arrayIPcLm2EEEEviT0_T1_.private_seg_size, 0
	.set _ZN2at6native29vectorized_elementwise_kernelILi16EZZZNS0_12_GLOBAL__N_117hardshrink_kernelERNS_18TensorIteratorBaseERKN3c106ScalarEENKUlvE_clEvENKUlvE2_clEvEUlNS5_8BFloat16EE_St5arrayIPcLm2EEEEviT0_T1_.uses_vcc, 1
	.set _ZN2at6native29vectorized_elementwise_kernelILi16EZZZNS0_12_GLOBAL__N_117hardshrink_kernelERNS_18TensorIteratorBaseERKN3c106ScalarEENKUlvE_clEvENKUlvE2_clEvEUlNS5_8BFloat16EE_St5arrayIPcLm2EEEEviT0_T1_.uses_flat_scratch, 0
	.set _ZN2at6native29vectorized_elementwise_kernelILi16EZZZNS0_12_GLOBAL__N_117hardshrink_kernelERNS_18TensorIteratorBaseERKN3c106ScalarEENKUlvE_clEvENKUlvE2_clEvEUlNS5_8BFloat16EE_St5arrayIPcLm2EEEEviT0_T1_.has_dyn_sized_stack, 0
	.set _ZN2at6native29vectorized_elementwise_kernelILi16EZZZNS0_12_GLOBAL__N_117hardshrink_kernelERNS_18TensorIteratorBaseERKN3c106ScalarEENKUlvE_clEvENKUlvE2_clEvEUlNS5_8BFloat16EE_St5arrayIPcLm2EEEEviT0_T1_.has_recursion, 0
	.set _ZN2at6native29vectorized_elementwise_kernelILi16EZZZNS0_12_GLOBAL__N_117hardshrink_kernelERNS_18TensorIteratorBaseERKN3c106ScalarEENKUlvE_clEvENKUlvE2_clEvEUlNS5_8BFloat16EE_St5arrayIPcLm2EEEEviT0_T1_.has_indirect_call, 0
	.section	.AMDGPU.csdata,"",@progbits
; Kernel info:
; codeLenInByte = 1880
; TotalNumSgprs: 28
; NumVgprs: 17
; ScratchSize: 0
; MemoryBound: 0
; FloatMode: 240
; IeeeMode: 1
; LDSByteSize: 0 bytes/workgroup (compile time only)
; SGPRBlocks: 0
; VGPRBlocks: 1
; NumSGPRsForWavesPerEU: 28
; NumVGPRsForWavesPerEU: 17
; NamedBarCnt: 0
; Occupancy: 16
; WaveLimiterHint : 0
; COMPUTE_PGM_RSRC2:SCRATCH_EN: 0
; COMPUTE_PGM_RSRC2:USER_SGPR: 2
; COMPUTE_PGM_RSRC2:TRAP_HANDLER: 0
; COMPUTE_PGM_RSRC2:TGID_X_EN: 1
; COMPUTE_PGM_RSRC2:TGID_Y_EN: 0
; COMPUTE_PGM_RSRC2:TGID_Z_EN: 0
; COMPUTE_PGM_RSRC2:TIDIG_COMP_CNT: 0
	.section	.text._ZN2at6native29vectorized_elementwise_kernelILi8EZZZNS0_12_GLOBAL__N_117hardshrink_kernelERNS_18TensorIteratorBaseERKN3c106ScalarEENKUlvE_clEvENKUlvE2_clEvEUlNS5_8BFloat16EE_St5arrayIPcLm2EEEEviT0_T1_,"axG",@progbits,_ZN2at6native29vectorized_elementwise_kernelILi8EZZZNS0_12_GLOBAL__N_117hardshrink_kernelERNS_18TensorIteratorBaseERKN3c106ScalarEENKUlvE_clEvENKUlvE2_clEvEUlNS5_8BFloat16EE_St5arrayIPcLm2EEEEviT0_T1_,comdat
	.globl	_ZN2at6native29vectorized_elementwise_kernelILi8EZZZNS0_12_GLOBAL__N_117hardshrink_kernelERNS_18TensorIteratorBaseERKN3c106ScalarEENKUlvE_clEvENKUlvE2_clEvEUlNS5_8BFloat16EE_St5arrayIPcLm2EEEEviT0_T1_ ; -- Begin function _ZN2at6native29vectorized_elementwise_kernelILi8EZZZNS0_12_GLOBAL__N_117hardshrink_kernelERNS_18TensorIteratorBaseERKN3c106ScalarEENKUlvE_clEvENKUlvE2_clEvEUlNS5_8BFloat16EE_St5arrayIPcLm2EEEEviT0_T1_
	.p2align	8
	.type	_ZN2at6native29vectorized_elementwise_kernelILi8EZZZNS0_12_GLOBAL__N_117hardshrink_kernelERNS_18TensorIteratorBaseERKN3c106ScalarEENKUlvE_clEvENKUlvE2_clEvEUlNS5_8BFloat16EE_St5arrayIPcLm2EEEEviT0_T1_,@function
_ZN2at6native29vectorized_elementwise_kernelILi8EZZZNS0_12_GLOBAL__N_117hardshrink_kernelERNS_18TensorIteratorBaseERKN3c106ScalarEENKUlvE_clEvENKUlvE2_clEvEUlNS5_8BFloat16EE_St5arrayIPcLm2EEEEviT0_T1_: ; @_ZN2at6native29vectorized_elementwise_kernelILi8EZZZNS0_12_GLOBAL__N_117hardshrink_kernelERNS_18TensorIteratorBaseERKN3c106ScalarEENKUlvE_clEvENKUlvE2_clEvEUlNS5_8BFloat16EE_St5arrayIPcLm2EEEEviT0_T1_
; %bb.0:
	s_clause 0x1
	s_load_b64 s[14:15], s[0:1], 0x0
	s_load_b128 s[16:19], s[0:1], 0x8
	s_wait_xcnt 0x0
	s_bfe_u32 s0, ttmp6, 0x4000c
	s_and_b32 s1, ttmp6, 15
	s_add_co_i32 s0, s0, 1
	s_getreg_b32 s2, hwreg(HW_REG_IB_STS2, 6, 4)
	s_mul_i32 s0, ttmp9, s0
	s_delay_alu instid0(SALU_CYCLE_1) | instskip(SKIP_2) | instid1(SALU_CYCLE_1)
	s_add_co_i32 s1, s1, s0
	s_cmp_eq_u32 s2, 0
	s_cselect_b32 s0, ttmp9, s1
	s_lshl_b32 s20, s0, 11
	s_mov_b32 s0, -1
	s_wait_kmcnt 0x0
	s_sub_co_i32 s22, s14, s20
	s_delay_alu instid0(SALU_CYCLE_1)
	s_cmp_gt_i32 s22, 0x7ff
	s_cbranch_scc0 .LBB25_2
; %bb.1:
	s_ashr_i32 s21, s20, 31
	s_lshl_b32 s14, s15, 16
	s_lshl_b64 s[24:25], s[20:21], 1
	s_delay_alu instid0(SALU_CYCLE_1) | instskip(SKIP_3) | instid1(SALU_CYCLE_1)
	s_add_nc_u64 s[0:1], s[18:19], s[24:25]
	global_load_b128 v[2:5], v0, s[0:1] scale_offset
	s_wait_xcnt 0x0
	s_xor_b32 s0, s14, 0x80000000
	s_bfe_u32 s1, s0, 0x10010
	s_delay_alu instid0(SALU_CYCLE_1) | instskip(NEXT) | instid1(SALU_CYCLE_1)
	s_add_co_i32 s0, s0, s1
	s_addk_co_i32 s0, 0x7fff
	s_delay_alu instid0(SALU_CYCLE_1)
	s_and_b32 s0, s0, 0xffff0000
	s_cmp_o_f32 s14, s14
	s_cselect_b32 s10, s0, 0x7fc00000
	s_wait_loadcnt 0x0
	v_and_b32_e32 v10, 0xffff0000, v2
	v_and_b32_e32 v8, 0xffff0000, v3
	v_dual_lshlrev_b32 v7, 16, v3 :: v_dual_lshlrev_b32 v9, 16, v2
	v_and_b32_e32 v16, 0xffff0000, v4
	s_delay_alu instid0(VALU_DEP_4)
	v_cmp_nle_f32_e32 vcc_lo, s10, v10
	v_cmp_nge_f32_e64 s3, s14, v10
	v_dual_lshrrev_b32 v1, 16, v3 :: v_dual_lshrrev_b32 v6, 16, v2
	v_cmp_nle_f32_e64 s1, s10, v8
	v_cmp_nge_f32_e64 s5, s14, v8
	v_and_b32_e32 v14, 0xffff0000, v5
	v_cmp_nle_f32_e64 s2, s10, v7
	v_cmp_nge_f32_e64 s6, s14, v7
	v_dual_lshlrev_b32 v13, 16, v5 :: v_dual_lshlrev_b32 v15, 16, v4
	s_or_b32 vcc_lo, s3, vcc_lo
	v_cmp_nle_f32_e64 s7, s10, v16
	v_cmp_nge_f32_e64 s11, s14, v16
	v_cndmask_b32_e32 v6, 0, v6, vcc_lo
	s_or_b32 vcc_lo, s5, s1
	v_dual_lshrrev_b32 v11, 16, v5 :: v_dual_lshrrev_b32 v12, 16, v4
	v_cmp_nle_f32_e64 s9, s10, v14
	v_cmp_nge_f32_e64 s13, s14, v14
	v_cndmask_b32_e32 v1, 0, v1, vcc_lo
	s_or_b32 vcc_lo, s6, s2
	v_cmp_nle_f32_e64 s0, s10, v9
	v_cmp_nge_f32_e64 s4, s14, v9
	v_cmp_nle_f32_e64 s8, s10, v15
	v_cmp_nle_f32_e64 s10, s10, v13
	v_cmp_nge_f32_e64 s12, s14, v15
	v_cmp_nge_f32_e64 s14, s14, v13
	v_cndmask_b32_e32 v3, 0, v3, vcc_lo
	s_or_b32 vcc_lo, s11, s7
	s_add_nc_u64 s[2:3], s[16:17], s[24:25]
	v_cndmask_b32_e32 v7, 0, v12, vcc_lo
	s_or_b32 vcc_lo, s13, s9
	v_perm_b32 v3, v1, v3, 0x5040100
	v_cndmask_b32_e32 v8, 0, v11, vcc_lo
	s_or_b32 vcc_lo, s14, s10
	v_cndmask_b32_e32 v5, 0, v5, vcc_lo
	s_or_b32 vcc_lo, s12, s8
	;; [unrolled: 2-line block ×3, first 2 shown]
	s_delay_alu instid0(VALU_DEP_2) | instskip(SKIP_3) | instid1(VALU_DEP_2)
	v_perm_b32 v5, v8, v5, 0x5040100
	v_cndmask_b32_e32 v2, 0, v2, vcc_lo
	s_mov_b32 s0, 0
	v_perm_b32 v4, v7, v4, 0x5040100
	v_perm_b32 v2, v6, v2, 0x5040100
	global_store_b128 v0, v[2:5], s[2:3] scale_offset
.LBB25_2:
	s_and_not1_b32 vcc_lo, exec_lo, s0
	s_cbranch_vccnz .LBB25_28
; %bb.3:
	v_cmp_gt_i32_e32 vcc_lo, s22, v0
	s_wait_xcnt 0x0
	v_dual_mov_b32 v2, 0 :: v_dual_bitop2_b32 v5, s20, v0 bitop3:0x54
	v_or_b32_e32 v6, 0x100, v0
	v_dual_mov_b32 v8, 0 :: v_dual_mov_b32 v11, v0
	s_and_saveexec_b32 s0, vcc_lo
	s_cbranch_execz .LBB25_5
; %bb.4:
	global_load_u16 v8, v5, s[18:19] scale_offset
	v_or_b32_e32 v11, 0x100, v0
.LBB25_5:
	s_wait_xcnt 0x0
	s_or_b32 exec_lo, exec_lo, s0
	s_delay_alu instid0(SALU_CYCLE_1) | instskip(NEXT) | instid1(VALU_DEP_1)
	s_mov_b32 s1, exec_lo
	v_cmpx_gt_i32_e64 s22, v11
	s_cbranch_execz .LBB25_7
; %bb.6:
	v_add_nc_u32_e32 v1, s20, v11
	v_add_nc_u32_e32 v11, 0x100, v11
	global_load_u16 v2, v1, s[18:19] scale_offset
.LBB25_7:
	s_wait_xcnt 0x0
	s_or_b32 exec_lo, exec_lo, s1
	v_dual_mov_b32 v4, 0 :: v_dual_mov_b32 v10, 0
	s_mov_b32 s1, exec_lo
	v_cmpx_gt_i32_e64 s22, v11
	s_cbranch_execz .LBB25_9
; %bb.8:
	v_add_nc_u32_e32 v1, s20, v11
	v_add_nc_u32_e32 v11, 0x100, v11
	global_load_u16 v10, v1, s[18:19] scale_offset
.LBB25_9:
	s_wait_xcnt 0x0
	s_or_b32 exec_lo, exec_lo, s1
	s_delay_alu instid0(SALU_CYCLE_1)
	s_mov_b32 s1, exec_lo
	v_cmpx_gt_i32_e64 s22, v11
	s_cbranch_execz .LBB25_11
; %bb.10:
	v_add_nc_u32_e32 v1, s20, v11
	v_add_nc_u32_e32 v11, 0x100, v11
	global_load_u16 v4, v1, s[18:19] scale_offset
.LBB25_11:
	s_wait_xcnt 0x0
	s_or_b32 exec_lo, exec_lo, s1
	v_dual_mov_b32 v3, 0 :: v_dual_mov_b32 v9, 0
	s_mov_b32 s1, exec_lo
	v_cmpx_gt_i32_e64 s22, v11
	s_cbranch_execz .LBB25_13
; %bb.12:
	v_add_nc_u32_e32 v1, s20, v11
	v_add_nc_u32_e32 v11, 0x100, v11
	global_load_u16 v9, v1, s[18:19] scale_offset
.LBB25_13:
	s_wait_xcnt 0x0
	s_or_b32 exec_lo, exec_lo, s1
	s_delay_alu instid0(SALU_CYCLE_1)
	;; [unrolled: 22-line block ×3, first 2 shown]
	s_mov_b32 s1, exec_lo
	v_cmpx_gt_i32_e64 s22, v11
	s_cbranch_execz .LBB25_19
; %bb.18:
	v_add_nc_u32_e32 v1, s20, v11
	global_load_u16 v1, v1, s[18:19] scale_offset
.LBB25_19:
	s_wait_xcnt 0x0
	s_or_b32 exec_lo, exec_lo, s1
	s_lshl_b32 s0, s15, 16
	s_delay_alu instid0(SALU_CYCLE_1) | instskip(SKIP_2) | instid1(SALU_CYCLE_1)
	s_xor_b32 s1, s0, 0x80000000
	v_mov_b32_e32 v11, s0
	s_bfe_u32 s2, s1, 0x10010
	s_add_co_i32 s1, s1, s2
	s_delay_alu instid0(SALU_CYCLE_1) | instskip(NEXT) | instid1(SALU_CYCLE_1)
	s_addk_co_i32 s1, 0x7fff
	s_and_b32 s1, s1, 0xffff0000
	s_cmp_o_f32 s0, s0
	s_cselect_b32 s1, s1, 0x7fc00000
	s_and_saveexec_b32 s2, vcc_lo
	s_cbranch_execnz .LBB25_29
; %bb.20:
	s_or_b32 exec_lo, exec_lo, s2
	s_delay_alu instid0(SALU_CYCLE_1)
	s_mov_b32 s2, exec_lo
	v_cmpx_gt_i32_e64 s22, v0
	s_cbranch_execnz .LBB25_30
.LBB25_21:
	s_or_b32 exec_lo, exec_lo, s2
	s_delay_alu instid0(SALU_CYCLE_1)
	s_mov_b32 s2, exec_lo
	v_cmpx_gt_i32_e64 s22, v0
	s_cbranch_execnz .LBB25_31
.LBB25_22:
	s_or_b32 exec_lo, exec_lo, s2
	s_delay_alu instid0(SALU_CYCLE_1)
	s_mov_b32 s2, exec_lo
	v_cmpx_gt_i32_e64 s22, v0
	s_cbranch_execnz .LBB25_32
.LBB25_23:
	s_or_b32 exec_lo, exec_lo, s2
	s_delay_alu instid0(SALU_CYCLE_1)
	s_mov_b32 s2, exec_lo
	v_cmpx_gt_i32_e64 s22, v0
	s_cbranch_execnz .LBB25_33
.LBB25_24:
	s_or_b32 exec_lo, exec_lo, s2
	s_delay_alu instid0(SALU_CYCLE_1)
	s_mov_b32 s2, exec_lo
	v_cmpx_gt_i32_e64 s22, v0
	s_cbranch_execnz .LBB25_34
.LBB25_25:
	s_or_b32 exec_lo, exec_lo, s2
	s_delay_alu instid0(SALU_CYCLE_1)
	s_mov_b32 s2, exec_lo
	v_cmpx_gt_i32_e64 s22, v0
	s_cbranch_execnz .LBB25_35
.LBB25_26:
	s_or_b32 exec_lo, exec_lo, s2
	s_delay_alu instid0(SALU_CYCLE_1)
	s_mov_b32 s0, exec_lo
	v_cmpx_gt_i32_e64 s22, v0
	s_cbranch_execz .LBB25_28
.LBB25_27:
	s_wait_loadcnt 0x0
	v_dual_lshlrev_b32 v2, 16, v1 :: v_dual_add_nc_u32 v0, s20, v0
	s_delay_alu instid0(VALU_DEP_1)
	v_cmp_nle_f32_e32 vcc_lo, s1, v2
	v_cmp_nle_f32_e64 s0, v2, v11
	s_or_b32 vcc_lo, s0, vcc_lo
	v_cndmask_b32_e32 v1, 0, v1, vcc_lo
	global_store_b16 v0, v1, s[16:17] scale_offset
.LBB25_28:
	s_endpgm
.LBB25_29:
	s_wait_loadcnt 0x0
	v_lshlrev_b32_e32 v0, 16, v8
	s_delay_alu instid0(VALU_DEP_1)
	v_cmp_nge_f32_e32 vcc_lo, v11, v0
	v_cmp_nle_f32_e64 s0, s1, v0
	v_mov_b32_e32 v0, v6
	s_or_b32 vcc_lo, vcc_lo, s0
	v_cndmask_b32_e32 v8, 0, v8, vcc_lo
	global_store_b16 v5, v8, s[16:17] scale_offset
	s_wait_xcnt 0x0
	s_or_b32 exec_lo, exec_lo, s2
	s_delay_alu instid0(SALU_CYCLE_1)
	s_mov_b32 s2, exec_lo
	v_cmpx_gt_i32_e64 s22, v0
	s_cbranch_execz .LBB25_21
.LBB25_30:
	s_wait_loadcnt 0x0
	v_lshlrev_b32_e32 v5, 16, v2
	s_delay_alu instid0(VALU_DEP_1)
	v_cmp_nle_f32_e32 vcc_lo, s1, v5
	v_cmp_nge_f32_e64 s0, v11, v5
	v_add_nc_u32_e32 v5, s20, v0
	v_add_nc_u32_e32 v0, 0x100, v0
	s_or_b32 vcc_lo, s0, vcc_lo
	v_cndmask_b32_e32 v2, 0, v2, vcc_lo
	global_store_b16 v5, v2, s[16:17] scale_offset
	s_wait_xcnt 0x0
	s_or_b32 exec_lo, exec_lo, s2
	s_delay_alu instid0(SALU_CYCLE_1)
	s_mov_b32 s2, exec_lo
	v_cmpx_gt_i32_e64 s22, v0
	s_cbranch_execz .LBB25_22
.LBB25_31:
	s_wait_loadcnt 0x0
	v_dual_lshlrev_b32 v2, 16, v10 :: v_dual_add_nc_u32 v5, s20, v0
	v_add_nc_u32_e32 v0, 0x100, v0
	s_delay_alu instid0(VALU_DEP_2)
	v_cmp_nle_f32_e32 vcc_lo, s1, v2
	v_cmp_nge_f32_e64 s0, v11, v2
	s_or_b32 vcc_lo, s0, vcc_lo
	v_cndmask_b32_e32 v2, 0, v10, vcc_lo
	global_store_b16 v5, v2, s[16:17] scale_offset
	s_wait_xcnt 0x0
	s_or_b32 exec_lo, exec_lo, s2
	s_delay_alu instid0(SALU_CYCLE_1)
	s_mov_b32 s2, exec_lo
	v_cmpx_gt_i32_e64 s22, v0
	s_cbranch_execz .LBB25_23
.LBB25_32:
	s_wait_loadcnt 0x0
	v_lshlrev_b32_e32 v2, 16, v4
	s_delay_alu instid0(VALU_DEP_1)
	v_cmp_nle_f32_e32 vcc_lo, s1, v2
	v_cmp_nge_f32_e64 s0, v11, v2
	s_or_b32 vcc_lo, s0, vcc_lo
	v_cndmask_b32_e32 v2, 0, v4, vcc_lo
	v_add_nc_u32_e32 v4, s20, v0
	v_add_nc_u32_e32 v0, 0x100, v0
	global_store_b16 v4, v2, s[16:17] scale_offset
	s_wait_xcnt 0x0
	s_or_b32 exec_lo, exec_lo, s2
	s_delay_alu instid0(SALU_CYCLE_1)
	s_mov_b32 s2, exec_lo
	v_cmpx_gt_i32_e64 s22, v0
	s_cbranch_execz .LBB25_24
.LBB25_33:
	s_wait_loadcnt 0x0
	v_dual_lshlrev_b32 v2, 16, v9 :: v_dual_add_nc_u32 v4, s20, v0
	v_add_nc_u32_e32 v0, 0x100, v0
	s_delay_alu instid0(VALU_DEP_2)
	v_cmp_nle_f32_e32 vcc_lo, s1, v2
	v_cmp_nge_f32_e64 s0, v11, v2
	s_or_b32 vcc_lo, s0, vcc_lo
	v_cndmask_b32_e32 v2, 0, v9, vcc_lo
	global_store_b16 v4, v2, s[16:17] scale_offset
	s_wait_xcnt 0x0
	s_or_b32 exec_lo, exec_lo, s2
	s_delay_alu instid0(SALU_CYCLE_1)
	s_mov_b32 s2, exec_lo
	v_cmpx_gt_i32_e64 s22, v0
	s_cbranch_execz .LBB25_25
.LBB25_34:
	s_wait_loadcnt 0x0
	v_lshlrev_b32_e32 v2, 16, v3
	s_delay_alu instid0(VALU_DEP_1)
	v_cmp_nle_f32_e32 vcc_lo, s1, v2
	v_cmp_nge_f32_e64 s0, v11, v2
	s_or_b32 vcc_lo, s0, vcc_lo
	v_dual_cndmask_b32 v2, 0, v3 :: v_dual_add_nc_u32 v3, s20, v0
	v_add_nc_u32_e32 v0, 0x100, v0
	global_store_b16 v3, v2, s[16:17] scale_offset
	s_wait_xcnt 0x0
	s_or_b32 exec_lo, exec_lo, s2
	s_delay_alu instid0(SALU_CYCLE_1)
	s_mov_b32 s2, exec_lo
	v_cmpx_gt_i32_e64 s22, v0
	s_cbranch_execz .LBB25_26
.LBB25_35:
	s_wait_loadcnt 0x0
	v_dual_lshlrev_b32 v2, 16, v7 :: v_dual_add_nc_u32 v3, s20, v0
	v_add_nc_u32_e32 v0, 0x100, v0
	s_delay_alu instid0(VALU_DEP_2)
	v_cmp_nle_f32_e32 vcc_lo, s1, v2
	v_cmp_nge_f32_e64 s0, v11, v2
	s_or_b32 vcc_lo, s0, vcc_lo
	v_cndmask_b32_e32 v2, 0, v7, vcc_lo
	global_store_b16 v3, v2, s[16:17] scale_offset
	s_wait_xcnt 0x0
	s_or_b32 exec_lo, exec_lo, s2
	s_delay_alu instid0(SALU_CYCLE_1)
	s_mov_b32 s0, exec_lo
	v_cmpx_gt_i32_e64 s22, v0
	s_cbranch_execnz .LBB25_27
	s_branch .LBB25_28
	.section	.rodata,"a",@progbits
	.p2align	6, 0x0
	.amdhsa_kernel _ZN2at6native29vectorized_elementwise_kernelILi8EZZZNS0_12_GLOBAL__N_117hardshrink_kernelERNS_18TensorIteratorBaseERKN3c106ScalarEENKUlvE_clEvENKUlvE2_clEvEUlNS5_8BFloat16EE_St5arrayIPcLm2EEEEviT0_T1_
		.amdhsa_group_segment_fixed_size 0
		.amdhsa_private_segment_fixed_size 0
		.amdhsa_kernarg_size 24
		.amdhsa_user_sgpr_count 2
		.amdhsa_user_sgpr_dispatch_ptr 0
		.amdhsa_user_sgpr_queue_ptr 0
		.amdhsa_user_sgpr_kernarg_segment_ptr 1
		.amdhsa_user_sgpr_dispatch_id 0
		.amdhsa_user_sgpr_kernarg_preload_length 0
		.amdhsa_user_sgpr_kernarg_preload_offset 0
		.amdhsa_user_sgpr_private_segment_size 0
		.amdhsa_wavefront_size32 1
		.amdhsa_uses_dynamic_stack 0
		.amdhsa_enable_private_segment 0
		.amdhsa_system_sgpr_workgroup_id_x 1
		.amdhsa_system_sgpr_workgroup_id_y 0
		.amdhsa_system_sgpr_workgroup_id_z 0
		.amdhsa_system_sgpr_workgroup_info 0
		.amdhsa_system_vgpr_workitem_id 0
		.amdhsa_next_free_vgpr 17
		.amdhsa_next_free_sgpr 26
		.amdhsa_named_barrier_count 0
		.amdhsa_reserve_vcc 1
		.amdhsa_float_round_mode_32 0
		.amdhsa_float_round_mode_16_64 0
		.amdhsa_float_denorm_mode_32 3
		.amdhsa_float_denorm_mode_16_64 3
		.amdhsa_fp16_overflow 0
		.amdhsa_memory_ordered 1
		.amdhsa_forward_progress 1
		.amdhsa_inst_pref_size 15
		.amdhsa_round_robin_scheduling 0
		.amdhsa_exception_fp_ieee_invalid_op 0
		.amdhsa_exception_fp_denorm_src 0
		.amdhsa_exception_fp_ieee_div_zero 0
		.amdhsa_exception_fp_ieee_overflow 0
		.amdhsa_exception_fp_ieee_underflow 0
		.amdhsa_exception_fp_ieee_inexact 0
		.amdhsa_exception_int_div_zero 0
	.end_amdhsa_kernel
	.section	.text._ZN2at6native29vectorized_elementwise_kernelILi8EZZZNS0_12_GLOBAL__N_117hardshrink_kernelERNS_18TensorIteratorBaseERKN3c106ScalarEENKUlvE_clEvENKUlvE2_clEvEUlNS5_8BFloat16EE_St5arrayIPcLm2EEEEviT0_T1_,"axG",@progbits,_ZN2at6native29vectorized_elementwise_kernelILi8EZZZNS0_12_GLOBAL__N_117hardshrink_kernelERNS_18TensorIteratorBaseERKN3c106ScalarEENKUlvE_clEvENKUlvE2_clEvEUlNS5_8BFloat16EE_St5arrayIPcLm2EEEEviT0_T1_,comdat
.Lfunc_end25:
	.size	_ZN2at6native29vectorized_elementwise_kernelILi8EZZZNS0_12_GLOBAL__N_117hardshrink_kernelERNS_18TensorIteratorBaseERKN3c106ScalarEENKUlvE_clEvENKUlvE2_clEvEUlNS5_8BFloat16EE_St5arrayIPcLm2EEEEviT0_T1_, .Lfunc_end25-_ZN2at6native29vectorized_elementwise_kernelILi8EZZZNS0_12_GLOBAL__N_117hardshrink_kernelERNS_18TensorIteratorBaseERKN3c106ScalarEENKUlvE_clEvENKUlvE2_clEvEUlNS5_8BFloat16EE_St5arrayIPcLm2EEEEviT0_T1_
                                        ; -- End function
	.set _ZN2at6native29vectorized_elementwise_kernelILi8EZZZNS0_12_GLOBAL__N_117hardshrink_kernelERNS_18TensorIteratorBaseERKN3c106ScalarEENKUlvE_clEvENKUlvE2_clEvEUlNS5_8BFloat16EE_St5arrayIPcLm2EEEEviT0_T1_.num_vgpr, 17
	.set _ZN2at6native29vectorized_elementwise_kernelILi8EZZZNS0_12_GLOBAL__N_117hardshrink_kernelERNS_18TensorIteratorBaseERKN3c106ScalarEENKUlvE_clEvENKUlvE2_clEvEUlNS5_8BFloat16EE_St5arrayIPcLm2EEEEviT0_T1_.num_agpr, 0
	.set _ZN2at6native29vectorized_elementwise_kernelILi8EZZZNS0_12_GLOBAL__N_117hardshrink_kernelERNS_18TensorIteratorBaseERKN3c106ScalarEENKUlvE_clEvENKUlvE2_clEvEUlNS5_8BFloat16EE_St5arrayIPcLm2EEEEviT0_T1_.numbered_sgpr, 26
	.set _ZN2at6native29vectorized_elementwise_kernelILi8EZZZNS0_12_GLOBAL__N_117hardshrink_kernelERNS_18TensorIteratorBaseERKN3c106ScalarEENKUlvE_clEvENKUlvE2_clEvEUlNS5_8BFloat16EE_St5arrayIPcLm2EEEEviT0_T1_.num_named_barrier, 0
	.set _ZN2at6native29vectorized_elementwise_kernelILi8EZZZNS0_12_GLOBAL__N_117hardshrink_kernelERNS_18TensorIteratorBaseERKN3c106ScalarEENKUlvE_clEvENKUlvE2_clEvEUlNS5_8BFloat16EE_St5arrayIPcLm2EEEEviT0_T1_.private_seg_size, 0
	.set _ZN2at6native29vectorized_elementwise_kernelILi8EZZZNS0_12_GLOBAL__N_117hardshrink_kernelERNS_18TensorIteratorBaseERKN3c106ScalarEENKUlvE_clEvENKUlvE2_clEvEUlNS5_8BFloat16EE_St5arrayIPcLm2EEEEviT0_T1_.uses_vcc, 1
	.set _ZN2at6native29vectorized_elementwise_kernelILi8EZZZNS0_12_GLOBAL__N_117hardshrink_kernelERNS_18TensorIteratorBaseERKN3c106ScalarEENKUlvE_clEvENKUlvE2_clEvEUlNS5_8BFloat16EE_St5arrayIPcLm2EEEEviT0_T1_.uses_flat_scratch, 0
	.set _ZN2at6native29vectorized_elementwise_kernelILi8EZZZNS0_12_GLOBAL__N_117hardshrink_kernelERNS_18TensorIteratorBaseERKN3c106ScalarEENKUlvE_clEvENKUlvE2_clEvEUlNS5_8BFloat16EE_St5arrayIPcLm2EEEEviT0_T1_.has_dyn_sized_stack, 0
	.set _ZN2at6native29vectorized_elementwise_kernelILi8EZZZNS0_12_GLOBAL__N_117hardshrink_kernelERNS_18TensorIteratorBaseERKN3c106ScalarEENKUlvE_clEvENKUlvE2_clEvEUlNS5_8BFloat16EE_St5arrayIPcLm2EEEEviT0_T1_.has_recursion, 0
	.set _ZN2at6native29vectorized_elementwise_kernelILi8EZZZNS0_12_GLOBAL__N_117hardshrink_kernelERNS_18TensorIteratorBaseERKN3c106ScalarEENKUlvE_clEvENKUlvE2_clEvEUlNS5_8BFloat16EE_St5arrayIPcLm2EEEEviT0_T1_.has_indirect_call, 0
	.section	.AMDGPU.csdata,"",@progbits
; Kernel info:
; codeLenInByte = 1880
; TotalNumSgprs: 28
; NumVgprs: 17
; ScratchSize: 0
; MemoryBound: 0
; FloatMode: 240
; IeeeMode: 1
; LDSByteSize: 0 bytes/workgroup (compile time only)
; SGPRBlocks: 0
; VGPRBlocks: 1
; NumSGPRsForWavesPerEU: 28
; NumVGPRsForWavesPerEU: 17
; NamedBarCnt: 0
; Occupancy: 16
; WaveLimiterHint : 0
; COMPUTE_PGM_RSRC2:SCRATCH_EN: 0
; COMPUTE_PGM_RSRC2:USER_SGPR: 2
; COMPUTE_PGM_RSRC2:TRAP_HANDLER: 0
; COMPUTE_PGM_RSRC2:TGID_X_EN: 1
; COMPUTE_PGM_RSRC2:TGID_Y_EN: 0
; COMPUTE_PGM_RSRC2:TGID_Z_EN: 0
; COMPUTE_PGM_RSRC2:TIDIG_COMP_CNT: 0
	.section	.text._ZN2at6native29vectorized_elementwise_kernelILi4EZZZNS0_12_GLOBAL__N_117hardshrink_kernelERNS_18TensorIteratorBaseERKN3c106ScalarEENKUlvE_clEvENKUlvE2_clEvEUlNS5_8BFloat16EE_St5arrayIPcLm2EEEEviT0_T1_,"axG",@progbits,_ZN2at6native29vectorized_elementwise_kernelILi4EZZZNS0_12_GLOBAL__N_117hardshrink_kernelERNS_18TensorIteratorBaseERKN3c106ScalarEENKUlvE_clEvENKUlvE2_clEvEUlNS5_8BFloat16EE_St5arrayIPcLm2EEEEviT0_T1_,comdat
	.globl	_ZN2at6native29vectorized_elementwise_kernelILi4EZZZNS0_12_GLOBAL__N_117hardshrink_kernelERNS_18TensorIteratorBaseERKN3c106ScalarEENKUlvE_clEvENKUlvE2_clEvEUlNS5_8BFloat16EE_St5arrayIPcLm2EEEEviT0_T1_ ; -- Begin function _ZN2at6native29vectorized_elementwise_kernelILi4EZZZNS0_12_GLOBAL__N_117hardshrink_kernelERNS_18TensorIteratorBaseERKN3c106ScalarEENKUlvE_clEvENKUlvE2_clEvEUlNS5_8BFloat16EE_St5arrayIPcLm2EEEEviT0_T1_
	.p2align	8
	.type	_ZN2at6native29vectorized_elementwise_kernelILi4EZZZNS0_12_GLOBAL__N_117hardshrink_kernelERNS_18TensorIteratorBaseERKN3c106ScalarEENKUlvE_clEvENKUlvE2_clEvEUlNS5_8BFloat16EE_St5arrayIPcLm2EEEEviT0_T1_,@function
_ZN2at6native29vectorized_elementwise_kernelILi4EZZZNS0_12_GLOBAL__N_117hardshrink_kernelERNS_18TensorIteratorBaseERKN3c106ScalarEENKUlvE_clEvENKUlvE2_clEvEUlNS5_8BFloat16EE_St5arrayIPcLm2EEEEviT0_T1_: ; @_ZN2at6native29vectorized_elementwise_kernelILi4EZZZNS0_12_GLOBAL__N_117hardshrink_kernelERNS_18TensorIteratorBaseERKN3c106ScalarEENKUlvE_clEvENKUlvE2_clEvEUlNS5_8BFloat16EE_St5arrayIPcLm2EEEEviT0_T1_
; %bb.0:
	s_clause 0x1
	s_load_b64 s[14:15], s[0:1], 0x0
	s_load_b128 s[16:19], s[0:1], 0x8
	s_wait_xcnt 0x0
	s_bfe_u32 s0, ttmp6, 0x4000c
	s_and_b32 s1, ttmp6, 15
	s_add_co_i32 s0, s0, 1
	s_getreg_b32 s2, hwreg(HW_REG_IB_STS2, 6, 4)
	s_mul_i32 s0, ttmp9, s0
	s_delay_alu instid0(SALU_CYCLE_1) | instskip(SKIP_2) | instid1(SALU_CYCLE_1)
	s_add_co_i32 s1, s1, s0
	s_cmp_eq_u32 s2, 0
	s_cselect_b32 s0, ttmp9, s1
	s_lshl_b32 s20, s0, 11
	s_mov_b32 s0, -1
	s_wait_kmcnt 0x0
	s_sub_co_i32 s24, s14, s20
	s_delay_alu instid0(SALU_CYCLE_1)
	s_cmp_gt_i32 s24, 0x7ff
	s_cbranch_scc0 .LBB26_2
; %bb.1:
	s_ashr_i32 s21, s20, 31
	s_lshl_b32 s13, s15, 16
	s_lshl_b64 s[22:23], s[20:21], 1
	s_delay_alu instid0(SALU_CYCLE_1)
	s_add_nc_u64 s[0:1], s[18:19], s[22:23]
	s_clause 0x1
	global_load_b64 v[2:3], v0, s[0:1] scale_offset
	global_load_b64 v[4:5], v0, s[0:1] offset:2048 scale_offset
	s_wait_xcnt 0x0
	s_xor_b32 s0, s13, 0x80000000
	s_delay_alu instid0(SALU_CYCLE_1) | instskip(NEXT) | instid1(SALU_CYCLE_1)
	s_bfe_u32 s1, s0, 0x10010
	s_add_co_i32 s0, s0, s1
	s_delay_alu instid0(SALU_CYCLE_1) | instskip(NEXT) | instid1(SALU_CYCLE_1)
	s_addk_co_i32 s0, 0x7fff
	s_and_b32 s0, s0, 0xffff0000
	s_cmp_o_f32 s13, s13
	s_cselect_b32 s14, s0, 0x7fc00000
	s_wait_loadcnt 0x1
	v_dual_lshlrev_b32 v1, 16, v2 :: v_dual_lshlrev_b32 v7, 16, v3
	v_and_b32_e32 v6, 0xffff0000, v2
	v_and_b32_e32 v8, 0xffff, v3
	;; [unrolled: 1-line block ×3, first 2 shown]
	s_delay_alu instid0(VALU_DEP_4)
	v_cmp_nle_f32_e32 vcc_lo, s14, v1
	v_cmp_nge_f32_e64 s0, s13, v1
	s_wait_loadcnt 0x0
	v_and_b32_e32 v11, 0xffff0000, v4
	v_and_b32_e32 v2, 0xffff, v2
	v_cmp_nle_f32_e64 s1, s14, v6
	v_cmp_nge_f32_e64 s2, s13, v6
	v_cmp_nle_f32_e64 s3, s14, v7
	v_cmp_nge_f32_e64 s4, s13, v7
	v_dual_lshlrev_b32 v9, 16, v4 :: v_dual_lshlrev_b32 v12, 16, v5
	v_cmp_nle_f32_e64 s5, s14, v3
	v_cmp_nge_f32_e64 s6, s13, v3
	s_or_b32 vcc_lo, s0, vcc_lo
	v_and_b32_e32 v10, 0xffff0000, v5
	v_cmp_nle_f32_e64 s9, s14, v11
	v_cmp_nge_f32_e64 s11, s13, v11
	s_or_b32 s1, s2, s1
	v_cndmask_b32_e32 v2, 0, v2, vcc_lo
	s_or_b32 vcc_lo, s4, s3
	v_cmp_nle_f32_e64 s7, s14, v9
	v_cmp_nge_f32_e64 s8, s13, v9
	v_dual_cndmask_b32 v1, 0, v6, s1 :: v_dual_cndmask_b32 v6, 0, v8, vcc_lo
	s_or_b32 vcc_lo, s6, s5
	v_and_b32_e32 v4, 0xffff, v4
	v_cmp_nge_f32_e64 s10, s13, v10
	v_cmp_nle_f32_e64 s12, s14, v12
	v_cmp_nge_f32_e64 s13, s13, v12
	v_cndmask_b32_e32 v3, 0, v3, vcc_lo
	s_or_b32 vcc_lo, s11, s9
	v_and_b32_e32 v5, 0xffff, v5
	v_cmp_nle_f32_e64 s14, s14, v10
	v_cndmask_b32_e32 v7, 0, v11, vcc_lo
	s_or_b32 vcc_lo, s8, s7
	s_delay_alu instid0(SALU_CYCLE_1) | instskip(SKIP_4) | instid1(SALU_CYCLE_1)
	v_dual_cndmask_b32 v4, 0, v4, vcc_lo :: v_dual_bitop2_b32 v1, v2, v1 bitop3:0x54
	s_or_b32 vcc_lo, s13, s12
	v_or3_b32 v3, 0, v6, v3
	v_cndmask_b32_e32 v5, 0, v5, vcc_lo
	s_or_b32 vcc_lo, s10, s14
	v_dual_cndmask_b32 v8, 0, v10, vcc_lo :: v_dual_bitop2_b32 v4, v4, v7 bitop3:0x54
	v_or3_b32 v2, v1, 0, 0
	s_add_nc_u64 s[2:3], s[16:17], s[22:23]
	s_mov_b32 s0, 0
	s_delay_alu instid0(VALU_DEP_2)
	v_or3_b32 v4, v4, 0, 0
	v_or3_b32 v5, 0, v5, v8
	s_clause 0x1
	global_store_b64 v0, v[2:3], s[2:3] scale_offset
	global_store_b64 v0, v[4:5], s[2:3] offset:2048 scale_offset
.LBB26_2:
	s_and_not1_b32 vcc_lo, exec_lo, s0
	s_cbranch_vccnz .LBB26_28
; %bb.3:
	v_cmp_gt_i32_e32 vcc_lo, s24, v0
	s_wait_xcnt 0x0
	v_dual_mov_b32 v2, 0 :: v_dual_bitop2_b32 v5, s20, v0 bitop3:0x54
	v_or_b32_e32 v6, 0x100, v0
	v_dual_mov_b32 v8, 0 :: v_dual_mov_b32 v11, v0
	s_and_saveexec_b32 s0, vcc_lo
	s_cbranch_execz .LBB26_5
; %bb.4:
	global_load_u16 v8, v5, s[18:19] scale_offset
	v_or_b32_e32 v11, 0x100, v0
.LBB26_5:
	s_wait_xcnt 0x0
	s_or_b32 exec_lo, exec_lo, s0
	s_delay_alu instid0(SALU_CYCLE_1) | instskip(NEXT) | instid1(VALU_DEP_1)
	s_mov_b32 s1, exec_lo
	v_cmpx_gt_i32_e64 s24, v11
	s_cbranch_execz .LBB26_7
; %bb.6:
	v_add_nc_u32_e32 v1, s20, v11
	v_add_nc_u32_e32 v11, 0x100, v11
	global_load_u16 v2, v1, s[18:19] scale_offset
.LBB26_7:
	s_wait_xcnt 0x0
	s_or_b32 exec_lo, exec_lo, s1
	v_dual_mov_b32 v4, 0 :: v_dual_mov_b32 v10, 0
	s_mov_b32 s1, exec_lo
	v_cmpx_gt_i32_e64 s24, v11
	s_cbranch_execz .LBB26_9
; %bb.8:
	v_add_nc_u32_e32 v1, s20, v11
	v_add_nc_u32_e32 v11, 0x100, v11
	global_load_u16 v10, v1, s[18:19] scale_offset
.LBB26_9:
	s_wait_xcnt 0x0
	s_or_b32 exec_lo, exec_lo, s1
	s_delay_alu instid0(SALU_CYCLE_1)
	s_mov_b32 s1, exec_lo
	v_cmpx_gt_i32_e64 s24, v11
	s_cbranch_execz .LBB26_11
; %bb.10:
	v_add_nc_u32_e32 v1, s20, v11
	v_add_nc_u32_e32 v11, 0x100, v11
	global_load_u16 v4, v1, s[18:19] scale_offset
.LBB26_11:
	s_wait_xcnt 0x0
	s_or_b32 exec_lo, exec_lo, s1
	v_dual_mov_b32 v3, 0 :: v_dual_mov_b32 v9, 0
	s_mov_b32 s1, exec_lo
	v_cmpx_gt_i32_e64 s24, v11
	s_cbranch_execz .LBB26_13
; %bb.12:
	v_add_nc_u32_e32 v1, s20, v11
	v_add_nc_u32_e32 v11, 0x100, v11
	global_load_u16 v9, v1, s[18:19] scale_offset
.LBB26_13:
	s_wait_xcnt 0x0
	s_or_b32 exec_lo, exec_lo, s1
	s_delay_alu instid0(SALU_CYCLE_1)
	;; [unrolled: 22-line block ×3, first 2 shown]
	s_mov_b32 s1, exec_lo
	v_cmpx_gt_i32_e64 s24, v11
	s_cbranch_execz .LBB26_19
; %bb.18:
	v_add_nc_u32_e32 v1, s20, v11
	global_load_u16 v1, v1, s[18:19] scale_offset
.LBB26_19:
	s_wait_xcnt 0x0
	s_or_b32 exec_lo, exec_lo, s1
	s_lshl_b32 s0, s15, 16
	s_delay_alu instid0(SALU_CYCLE_1) | instskip(SKIP_2) | instid1(SALU_CYCLE_1)
	s_xor_b32 s1, s0, 0x80000000
	v_mov_b32_e32 v11, s0
	s_bfe_u32 s2, s1, 0x10010
	s_add_co_i32 s1, s1, s2
	s_delay_alu instid0(SALU_CYCLE_1) | instskip(NEXT) | instid1(SALU_CYCLE_1)
	s_addk_co_i32 s1, 0x7fff
	s_and_b32 s1, s1, 0xffff0000
	s_cmp_o_f32 s0, s0
	s_cselect_b32 s1, s1, 0x7fc00000
	s_and_saveexec_b32 s2, vcc_lo
	s_cbranch_execnz .LBB26_29
; %bb.20:
	s_or_b32 exec_lo, exec_lo, s2
	s_delay_alu instid0(SALU_CYCLE_1)
	s_mov_b32 s2, exec_lo
	v_cmpx_gt_i32_e64 s24, v0
	s_cbranch_execnz .LBB26_30
.LBB26_21:
	s_or_b32 exec_lo, exec_lo, s2
	s_delay_alu instid0(SALU_CYCLE_1)
	s_mov_b32 s2, exec_lo
	v_cmpx_gt_i32_e64 s24, v0
	s_cbranch_execnz .LBB26_31
.LBB26_22:
	s_or_b32 exec_lo, exec_lo, s2
	s_delay_alu instid0(SALU_CYCLE_1)
	s_mov_b32 s2, exec_lo
	v_cmpx_gt_i32_e64 s24, v0
	s_cbranch_execnz .LBB26_32
.LBB26_23:
	s_or_b32 exec_lo, exec_lo, s2
	s_delay_alu instid0(SALU_CYCLE_1)
	s_mov_b32 s2, exec_lo
	v_cmpx_gt_i32_e64 s24, v0
	s_cbranch_execnz .LBB26_33
.LBB26_24:
	s_or_b32 exec_lo, exec_lo, s2
	s_delay_alu instid0(SALU_CYCLE_1)
	s_mov_b32 s2, exec_lo
	v_cmpx_gt_i32_e64 s24, v0
	s_cbranch_execnz .LBB26_34
.LBB26_25:
	s_or_b32 exec_lo, exec_lo, s2
	s_delay_alu instid0(SALU_CYCLE_1)
	s_mov_b32 s2, exec_lo
	v_cmpx_gt_i32_e64 s24, v0
	s_cbranch_execnz .LBB26_35
.LBB26_26:
	s_or_b32 exec_lo, exec_lo, s2
	s_delay_alu instid0(SALU_CYCLE_1)
	s_mov_b32 s0, exec_lo
	v_cmpx_gt_i32_e64 s24, v0
	s_cbranch_execz .LBB26_28
.LBB26_27:
	s_wait_loadcnt 0x0
	v_dual_lshlrev_b32 v2, 16, v1 :: v_dual_add_nc_u32 v0, s20, v0
	s_delay_alu instid0(VALU_DEP_1)
	v_cmp_nle_f32_e32 vcc_lo, s1, v2
	v_cmp_nle_f32_e64 s0, v2, v11
	s_or_b32 vcc_lo, s0, vcc_lo
	v_cndmask_b32_e32 v1, 0, v1, vcc_lo
	global_store_b16 v0, v1, s[16:17] scale_offset
.LBB26_28:
	s_endpgm
.LBB26_29:
	s_wait_loadcnt 0x0
	v_lshlrev_b32_e32 v0, 16, v8
	s_delay_alu instid0(VALU_DEP_1)
	v_cmp_nge_f32_e32 vcc_lo, v11, v0
	v_cmp_nle_f32_e64 s0, s1, v0
	v_mov_b32_e32 v0, v6
	s_or_b32 vcc_lo, vcc_lo, s0
	v_cndmask_b32_e32 v8, 0, v8, vcc_lo
	global_store_b16 v5, v8, s[16:17] scale_offset
	s_wait_xcnt 0x0
	s_or_b32 exec_lo, exec_lo, s2
	s_delay_alu instid0(SALU_CYCLE_1)
	s_mov_b32 s2, exec_lo
	v_cmpx_gt_i32_e64 s24, v0
	s_cbranch_execz .LBB26_21
.LBB26_30:
	s_wait_loadcnt 0x0
	v_lshlrev_b32_e32 v5, 16, v2
	s_delay_alu instid0(VALU_DEP_1)
	v_cmp_nle_f32_e32 vcc_lo, s1, v5
	v_cmp_nge_f32_e64 s0, v11, v5
	v_add_nc_u32_e32 v5, s20, v0
	v_add_nc_u32_e32 v0, 0x100, v0
	s_or_b32 vcc_lo, s0, vcc_lo
	v_cndmask_b32_e32 v2, 0, v2, vcc_lo
	global_store_b16 v5, v2, s[16:17] scale_offset
	s_wait_xcnt 0x0
	s_or_b32 exec_lo, exec_lo, s2
	s_delay_alu instid0(SALU_CYCLE_1)
	s_mov_b32 s2, exec_lo
	v_cmpx_gt_i32_e64 s24, v0
	s_cbranch_execz .LBB26_22
.LBB26_31:
	s_wait_loadcnt 0x0
	v_dual_lshlrev_b32 v2, 16, v10 :: v_dual_add_nc_u32 v5, s20, v0
	v_add_nc_u32_e32 v0, 0x100, v0
	s_delay_alu instid0(VALU_DEP_2)
	v_cmp_nle_f32_e32 vcc_lo, s1, v2
	v_cmp_nge_f32_e64 s0, v11, v2
	s_or_b32 vcc_lo, s0, vcc_lo
	v_cndmask_b32_e32 v2, 0, v10, vcc_lo
	global_store_b16 v5, v2, s[16:17] scale_offset
	s_wait_xcnt 0x0
	s_or_b32 exec_lo, exec_lo, s2
	s_delay_alu instid0(SALU_CYCLE_1)
	s_mov_b32 s2, exec_lo
	v_cmpx_gt_i32_e64 s24, v0
	s_cbranch_execz .LBB26_23
.LBB26_32:
	s_wait_loadcnt 0x0
	v_lshlrev_b32_e32 v2, 16, v4
	s_delay_alu instid0(VALU_DEP_1)
	v_cmp_nle_f32_e32 vcc_lo, s1, v2
	v_cmp_nge_f32_e64 s0, v11, v2
	s_or_b32 vcc_lo, s0, vcc_lo
	v_cndmask_b32_e32 v2, 0, v4, vcc_lo
	v_add_nc_u32_e32 v4, s20, v0
	v_add_nc_u32_e32 v0, 0x100, v0
	global_store_b16 v4, v2, s[16:17] scale_offset
	s_wait_xcnt 0x0
	s_or_b32 exec_lo, exec_lo, s2
	s_delay_alu instid0(SALU_CYCLE_1)
	s_mov_b32 s2, exec_lo
	v_cmpx_gt_i32_e64 s24, v0
	s_cbranch_execz .LBB26_24
.LBB26_33:
	s_wait_loadcnt 0x0
	v_dual_lshlrev_b32 v2, 16, v9 :: v_dual_add_nc_u32 v4, s20, v0
	v_add_nc_u32_e32 v0, 0x100, v0
	s_delay_alu instid0(VALU_DEP_2)
	v_cmp_nle_f32_e32 vcc_lo, s1, v2
	v_cmp_nge_f32_e64 s0, v11, v2
	s_or_b32 vcc_lo, s0, vcc_lo
	v_cndmask_b32_e32 v2, 0, v9, vcc_lo
	global_store_b16 v4, v2, s[16:17] scale_offset
	s_wait_xcnt 0x0
	s_or_b32 exec_lo, exec_lo, s2
	s_delay_alu instid0(SALU_CYCLE_1)
	s_mov_b32 s2, exec_lo
	v_cmpx_gt_i32_e64 s24, v0
	s_cbranch_execz .LBB26_25
.LBB26_34:
	s_wait_loadcnt 0x0
	v_lshlrev_b32_e32 v2, 16, v3
	s_delay_alu instid0(VALU_DEP_1)
	v_cmp_nle_f32_e32 vcc_lo, s1, v2
	v_cmp_nge_f32_e64 s0, v11, v2
	s_or_b32 vcc_lo, s0, vcc_lo
	v_dual_cndmask_b32 v2, 0, v3 :: v_dual_add_nc_u32 v3, s20, v0
	v_add_nc_u32_e32 v0, 0x100, v0
	global_store_b16 v3, v2, s[16:17] scale_offset
	s_wait_xcnt 0x0
	s_or_b32 exec_lo, exec_lo, s2
	s_delay_alu instid0(SALU_CYCLE_1)
	s_mov_b32 s2, exec_lo
	v_cmpx_gt_i32_e64 s24, v0
	s_cbranch_execz .LBB26_26
.LBB26_35:
	s_wait_loadcnt 0x0
	v_dual_lshlrev_b32 v2, 16, v7 :: v_dual_add_nc_u32 v3, s20, v0
	v_add_nc_u32_e32 v0, 0x100, v0
	s_delay_alu instid0(VALU_DEP_2)
	v_cmp_nle_f32_e32 vcc_lo, s1, v2
	v_cmp_nge_f32_e64 s0, v11, v2
	s_or_b32 vcc_lo, s0, vcc_lo
	v_cndmask_b32_e32 v2, 0, v7, vcc_lo
	global_store_b16 v3, v2, s[16:17] scale_offset
	s_wait_xcnt 0x0
	s_or_b32 exec_lo, exec_lo, s2
	s_delay_alu instid0(SALU_CYCLE_1)
	s_mov_b32 s0, exec_lo
	v_cmpx_gt_i32_e64 s24, v0
	s_cbranch_execnz .LBB26_27
	s_branch .LBB26_28
	.section	.rodata,"a",@progbits
	.p2align	6, 0x0
	.amdhsa_kernel _ZN2at6native29vectorized_elementwise_kernelILi4EZZZNS0_12_GLOBAL__N_117hardshrink_kernelERNS_18TensorIteratorBaseERKN3c106ScalarEENKUlvE_clEvENKUlvE2_clEvEUlNS5_8BFloat16EE_St5arrayIPcLm2EEEEviT0_T1_
		.amdhsa_group_segment_fixed_size 0
		.amdhsa_private_segment_fixed_size 0
		.amdhsa_kernarg_size 24
		.amdhsa_user_sgpr_count 2
		.amdhsa_user_sgpr_dispatch_ptr 0
		.amdhsa_user_sgpr_queue_ptr 0
		.amdhsa_user_sgpr_kernarg_segment_ptr 1
		.amdhsa_user_sgpr_dispatch_id 0
		.amdhsa_user_sgpr_kernarg_preload_length 0
		.amdhsa_user_sgpr_kernarg_preload_offset 0
		.amdhsa_user_sgpr_private_segment_size 0
		.amdhsa_wavefront_size32 1
		.amdhsa_uses_dynamic_stack 0
		.amdhsa_enable_private_segment 0
		.amdhsa_system_sgpr_workgroup_id_x 1
		.amdhsa_system_sgpr_workgroup_id_y 0
		.amdhsa_system_sgpr_workgroup_id_z 0
		.amdhsa_system_sgpr_workgroup_info 0
		.amdhsa_system_vgpr_workitem_id 0
		.amdhsa_next_free_vgpr 13
		.amdhsa_next_free_sgpr 25
		.amdhsa_named_barrier_count 0
		.amdhsa_reserve_vcc 1
		.amdhsa_float_round_mode_32 0
		.amdhsa_float_round_mode_16_64 0
		.amdhsa_float_denorm_mode_32 3
		.amdhsa_float_denorm_mode_16_64 3
		.amdhsa_fp16_overflow 0
		.amdhsa_memory_ordered 1
		.amdhsa_forward_progress 1
		.amdhsa_inst_pref_size 16
		.amdhsa_round_robin_scheduling 0
		.amdhsa_exception_fp_ieee_invalid_op 0
		.amdhsa_exception_fp_denorm_src 0
		.amdhsa_exception_fp_ieee_div_zero 0
		.amdhsa_exception_fp_ieee_overflow 0
		.amdhsa_exception_fp_ieee_underflow 0
		.amdhsa_exception_fp_ieee_inexact 0
		.amdhsa_exception_int_div_zero 0
	.end_amdhsa_kernel
	.section	.text._ZN2at6native29vectorized_elementwise_kernelILi4EZZZNS0_12_GLOBAL__N_117hardshrink_kernelERNS_18TensorIteratorBaseERKN3c106ScalarEENKUlvE_clEvENKUlvE2_clEvEUlNS5_8BFloat16EE_St5arrayIPcLm2EEEEviT0_T1_,"axG",@progbits,_ZN2at6native29vectorized_elementwise_kernelILi4EZZZNS0_12_GLOBAL__N_117hardshrink_kernelERNS_18TensorIteratorBaseERKN3c106ScalarEENKUlvE_clEvENKUlvE2_clEvEUlNS5_8BFloat16EE_St5arrayIPcLm2EEEEviT0_T1_,comdat
.Lfunc_end26:
	.size	_ZN2at6native29vectorized_elementwise_kernelILi4EZZZNS0_12_GLOBAL__N_117hardshrink_kernelERNS_18TensorIteratorBaseERKN3c106ScalarEENKUlvE_clEvENKUlvE2_clEvEUlNS5_8BFloat16EE_St5arrayIPcLm2EEEEviT0_T1_, .Lfunc_end26-_ZN2at6native29vectorized_elementwise_kernelILi4EZZZNS0_12_GLOBAL__N_117hardshrink_kernelERNS_18TensorIteratorBaseERKN3c106ScalarEENKUlvE_clEvENKUlvE2_clEvEUlNS5_8BFloat16EE_St5arrayIPcLm2EEEEviT0_T1_
                                        ; -- End function
	.set _ZN2at6native29vectorized_elementwise_kernelILi4EZZZNS0_12_GLOBAL__N_117hardshrink_kernelERNS_18TensorIteratorBaseERKN3c106ScalarEENKUlvE_clEvENKUlvE2_clEvEUlNS5_8BFloat16EE_St5arrayIPcLm2EEEEviT0_T1_.num_vgpr, 13
	.set _ZN2at6native29vectorized_elementwise_kernelILi4EZZZNS0_12_GLOBAL__N_117hardshrink_kernelERNS_18TensorIteratorBaseERKN3c106ScalarEENKUlvE_clEvENKUlvE2_clEvEUlNS5_8BFloat16EE_St5arrayIPcLm2EEEEviT0_T1_.num_agpr, 0
	.set _ZN2at6native29vectorized_elementwise_kernelILi4EZZZNS0_12_GLOBAL__N_117hardshrink_kernelERNS_18TensorIteratorBaseERKN3c106ScalarEENKUlvE_clEvENKUlvE2_clEvEUlNS5_8BFloat16EE_St5arrayIPcLm2EEEEviT0_T1_.numbered_sgpr, 25
	.set _ZN2at6native29vectorized_elementwise_kernelILi4EZZZNS0_12_GLOBAL__N_117hardshrink_kernelERNS_18TensorIteratorBaseERKN3c106ScalarEENKUlvE_clEvENKUlvE2_clEvEUlNS5_8BFloat16EE_St5arrayIPcLm2EEEEviT0_T1_.num_named_barrier, 0
	.set _ZN2at6native29vectorized_elementwise_kernelILi4EZZZNS0_12_GLOBAL__N_117hardshrink_kernelERNS_18TensorIteratorBaseERKN3c106ScalarEENKUlvE_clEvENKUlvE2_clEvEUlNS5_8BFloat16EE_St5arrayIPcLm2EEEEviT0_T1_.private_seg_size, 0
	.set _ZN2at6native29vectorized_elementwise_kernelILi4EZZZNS0_12_GLOBAL__N_117hardshrink_kernelERNS_18TensorIteratorBaseERKN3c106ScalarEENKUlvE_clEvENKUlvE2_clEvEUlNS5_8BFloat16EE_St5arrayIPcLm2EEEEviT0_T1_.uses_vcc, 1
	.set _ZN2at6native29vectorized_elementwise_kernelILi4EZZZNS0_12_GLOBAL__N_117hardshrink_kernelERNS_18TensorIteratorBaseERKN3c106ScalarEENKUlvE_clEvENKUlvE2_clEvEUlNS5_8BFloat16EE_St5arrayIPcLm2EEEEviT0_T1_.uses_flat_scratch, 0
	.set _ZN2at6native29vectorized_elementwise_kernelILi4EZZZNS0_12_GLOBAL__N_117hardshrink_kernelERNS_18TensorIteratorBaseERKN3c106ScalarEENKUlvE_clEvENKUlvE2_clEvEUlNS5_8BFloat16EE_St5arrayIPcLm2EEEEviT0_T1_.has_dyn_sized_stack, 0
	.set _ZN2at6native29vectorized_elementwise_kernelILi4EZZZNS0_12_GLOBAL__N_117hardshrink_kernelERNS_18TensorIteratorBaseERKN3c106ScalarEENKUlvE_clEvENKUlvE2_clEvEUlNS5_8BFloat16EE_St5arrayIPcLm2EEEEviT0_T1_.has_recursion, 0
	.set _ZN2at6native29vectorized_elementwise_kernelILi4EZZZNS0_12_GLOBAL__N_117hardshrink_kernelERNS_18TensorIteratorBaseERKN3c106ScalarEENKUlvE_clEvENKUlvE2_clEvEUlNS5_8BFloat16EE_St5arrayIPcLm2EEEEviT0_T1_.has_indirect_call, 0
	.section	.AMDGPU.csdata,"",@progbits
; Kernel info:
; codeLenInByte = 1932
; TotalNumSgprs: 27
; NumVgprs: 13
; ScratchSize: 0
; MemoryBound: 0
; FloatMode: 240
; IeeeMode: 1
; LDSByteSize: 0 bytes/workgroup (compile time only)
; SGPRBlocks: 0
; VGPRBlocks: 0
; NumSGPRsForWavesPerEU: 27
; NumVGPRsForWavesPerEU: 13
; NamedBarCnt: 0
; Occupancy: 16
; WaveLimiterHint : 1
; COMPUTE_PGM_RSRC2:SCRATCH_EN: 0
; COMPUTE_PGM_RSRC2:USER_SGPR: 2
; COMPUTE_PGM_RSRC2:TRAP_HANDLER: 0
; COMPUTE_PGM_RSRC2:TGID_X_EN: 1
; COMPUTE_PGM_RSRC2:TGID_Y_EN: 0
; COMPUTE_PGM_RSRC2:TGID_Z_EN: 0
; COMPUTE_PGM_RSRC2:TIDIG_COMP_CNT: 0
	.section	.text._ZN2at6native29vectorized_elementwise_kernelILi2EZZZNS0_12_GLOBAL__N_117hardshrink_kernelERNS_18TensorIteratorBaseERKN3c106ScalarEENKUlvE_clEvENKUlvE2_clEvEUlNS5_8BFloat16EE_St5arrayIPcLm2EEEEviT0_T1_,"axG",@progbits,_ZN2at6native29vectorized_elementwise_kernelILi2EZZZNS0_12_GLOBAL__N_117hardshrink_kernelERNS_18TensorIteratorBaseERKN3c106ScalarEENKUlvE_clEvENKUlvE2_clEvEUlNS5_8BFloat16EE_St5arrayIPcLm2EEEEviT0_T1_,comdat
	.globl	_ZN2at6native29vectorized_elementwise_kernelILi2EZZZNS0_12_GLOBAL__N_117hardshrink_kernelERNS_18TensorIteratorBaseERKN3c106ScalarEENKUlvE_clEvENKUlvE2_clEvEUlNS5_8BFloat16EE_St5arrayIPcLm2EEEEviT0_T1_ ; -- Begin function _ZN2at6native29vectorized_elementwise_kernelILi2EZZZNS0_12_GLOBAL__N_117hardshrink_kernelERNS_18TensorIteratorBaseERKN3c106ScalarEENKUlvE_clEvENKUlvE2_clEvEUlNS5_8BFloat16EE_St5arrayIPcLm2EEEEviT0_T1_
	.p2align	8
	.type	_ZN2at6native29vectorized_elementwise_kernelILi2EZZZNS0_12_GLOBAL__N_117hardshrink_kernelERNS_18TensorIteratorBaseERKN3c106ScalarEENKUlvE_clEvENKUlvE2_clEvEUlNS5_8BFloat16EE_St5arrayIPcLm2EEEEviT0_T1_,@function
_ZN2at6native29vectorized_elementwise_kernelILi2EZZZNS0_12_GLOBAL__N_117hardshrink_kernelERNS_18TensorIteratorBaseERKN3c106ScalarEENKUlvE_clEvENKUlvE2_clEvEUlNS5_8BFloat16EE_St5arrayIPcLm2EEEEviT0_T1_: ; @_ZN2at6native29vectorized_elementwise_kernelILi2EZZZNS0_12_GLOBAL__N_117hardshrink_kernelERNS_18TensorIteratorBaseERKN3c106ScalarEENKUlvE_clEvENKUlvE2_clEvEUlNS5_8BFloat16EE_St5arrayIPcLm2EEEEviT0_T1_
; %bb.0:
	s_clause 0x1
	s_load_b64 s[14:15], s[0:1], 0x0
	s_load_b128 s[16:19], s[0:1], 0x8
	s_wait_xcnt 0x0
	s_bfe_u32 s0, ttmp6, 0x4000c
	s_and_b32 s1, ttmp6, 15
	s_add_co_i32 s0, s0, 1
	s_getreg_b32 s2, hwreg(HW_REG_IB_STS2, 6, 4)
	s_mul_i32 s0, ttmp9, s0
	s_delay_alu instid0(SALU_CYCLE_1) | instskip(SKIP_2) | instid1(SALU_CYCLE_1)
	s_add_co_i32 s1, s1, s0
	s_cmp_eq_u32 s2, 0
	s_cselect_b32 s0, ttmp9, s1
	s_lshl_b32 s20, s0, 11
	s_mov_b32 s0, -1
	s_wait_kmcnt 0x0
	s_sub_co_i32 s22, s14, s20
	s_delay_alu instid0(SALU_CYCLE_1)
	s_cmp_gt_i32 s22, 0x7ff
	s_cbranch_scc0 .LBB27_2
; %bb.1:
	s_ashr_i32 s21, s20, 31
	s_lshl_b32 s14, s15, 16
	s_lshl_b64 s[24:25], s[20:21], 1
	s_delay_alu instid0(SALU_CYCLE_1)
	s_add_nc_u64 s[0:1], s[18:19], s[24:25]
	s_clause 0x3
	global_load_b32 v1, v0, s[0:1] scale_offset
	global_load_b32 v2, v0, s[0:1] offset:1024 scale_offset
	global_load_b32 v3, v0, s[0:1] offset:2048 scale_offset
	;; [unrolled: 1-line block ×3, first 2 shown]
	s_wait_xcnt 0x0
	s_xor_b32 s0, s14, 0x80000000
	s_delay_alu instid0(SALU_CYCLE_1) | instskip(NEXT) | instid1(SALU_CYCLE_1)
	s_bfe_u32 s1, s0, 0x10010
	s_add_co_i32 s0, s0, s1
	s_delay_alu instid0(SALU_CYCLE_1) | instskip(NEXT) | instid1(SALU_CYCLE_1)
	s_addk_co_i32 s0, 0x7fff
	s_and_b32 s0, s0, 0xffff0000
	s_cmp_o_f32 s14, s14
	s_cselect_b32 s13, s0, 0x7fc00000
	s_wait_loadcnt 0x2
	v_dual_lshlrev_b32 v5, 16, v1 :: v_dual_lshlrev_b32 v7, 16, v2
	v_and_b32_e32 v6, 0xffff, v1
	v_and_b32_e32 v1, 0xffff0000, v1
	;; [unrolled: 1-line block ×3, first 2 shown]
	s_delay_alu instid0(VALU_DEP_4)
	v_cmp_nle_f32_e32 vcc_lo, s13, v5
	v_cmp_nge_f32_e64 s0, s14, v5
	v_and_b32_e32 v2, 0xffff0000, v2
	v_cmp_nle_f32_e64 s1, s13, v1
	v_cmp_nge_f32_e64 s2, s14, v1
	s_wait_loadcnt 0x0
	v_dual_lshlrev_b32 v9, 16, v3 :: v_dual_lshlrev_b32 v11, 16, v4
	v_cmp_nle_f32_e64 s3, s13, v7
	v_cmp_nge_f32_e64 s4, s14, v7
	v_and_b32_e32 v10, 0xffff, v3
	v_and_b32_e32 v3, 0xffff0000, v3
	s_or_b32 vcc_lo, s0, vcc_lo
	v_cmp_nle_f32_e64 s5, s13, v2
	v_cmp_nge_f32_e64 s6, s14, v2
	v_cndmask_b32_e32 v5, 0, v6, vcc_lo
	s_or_b32 vcc_lo, s2, s1
	v_cmp_nle_f32_e64 s7, s13, v9
	v_cmp_nge_f32_e64 s8, s14, v9
	v_and_b32_e32 v12, 0xffff, v4
	v_and_b32_e32 v4, 0xffff0000, v4
	v_cndmask_b32_e32 v1, 0, v1, vcc_lo
	s_or_b32 vcc_lo, s4, s3
	v_cmp_nle_f32_e64 s9, s13, v3
	v_cmp_nge_f32_e64 s10, s14, v3
	v_cndmask_b32_e32 v6, 0, v8, vcc_lo
	s_or_b32 vcc_lo, s6, s5
	v_cmp_nle_f32_e64 s11, s13, v11
	v_cmp_nge_f32_e64 s12, s14, v11
	;; [unrolled: 4-line block ×3, first 2 shown]
	v_cndmask_b32_e32 v7, 0, v10, vcc_lo
	s_or_b32 vcc_lo, s10, s9
	s_delay_alu instid0(SALU_CYCLE_1) | instskip(SKIP_1) | instid1(SALU_CYCLE_1)
	v_dual_cndmask_b32 v3, 0, v3, vcc_lo :: v_dual_bitop2_b32 v1, v5, v1 bitop3:0x54
	s_or_b32 vcc_lo, s12, s11
	v_dual_cndmask_b32 v8, 0, v12, vcc_lo :: v_dual_bitop2_b32 v2, v6, v2 bitop3:0x54
	s_or_b32 vcc_lo, s14, s13
	s_delay_alu instid0(VALU_DEP_2) | instid1(SALU_CYCLE_1)
	v_dual_cndmask_b32 v4, 0, v4, vcc_lo :: v_dual_bitop2_b32 v3, v7, v3 bitop3:0x54
	s_add_nc_u64 s[2:3], s[16:17], s[24:25]
	s_mov_b32 s0, 0
	s_delay_alu instid0(VALU_DEP_1)
	v_or_b32_e32 v4, v8, v4
	s_clause 0x3
	global_store_b32 v0, v1, s[2:3] scale_offset
	global_store_b32 v0, v2, s[2:3] offset:1024 scale_offset
	global_store_b32 v0, v3, s[2:3] offset:2048 scale_offset
	;; [unrolled: 1-line block ×3, first 2 shown]
.LBB27_2:
	s_and_not1_b32 vcc_lo, exec_lo, s0
	s_cbranch_vccnz .LBB27_28
; %bb.3:
	v_cmp_gt_i32_e32 vcc_lo, s22, v0
	s_wait_xcnt 0x2
	v_dual_mov_b32 v2, 0 :: v_dual_bitop2_b32 v5, s20, v0 bitop3:0x54
	v_or_b32_e32 v6, 0x100, v0
	v_dual_mov_b32 v8, 0 :: v_dual_mov_b32 v11, v0
	s_wait_xcnt 0x0
	s_and_saveexec_b32 s0, vcc_lo
	s_cbranch_execz .LBB27_5
; %bb.4:
	global_load_u16 v8, v5, s[18:19] scale_offset
	v_or_b32_e32 v11, 0x100, v0
.LBB27_5:
	s_wait_xcnt 0x0
	s_or_b32 exec_lo, exec_lo, s0
	s_delay_alu instid0(SALU_CYCLE_1) | instskip(NEXT) | instid1(VALU_DEP_1)
	s_mov_b32 s1, exec_lo
	v_cmpx_gt_i32_e64 s22, v11
	s_cbranch_execz .LBB27_7
; %bb.6:
	v_add_nc_u32_e32 v1, s20, v11
	v_add_nc_u32_e32 v11, 0x100, v11
	global_load_u16 v2, v1, s[18:19] scale_offset
.LBB27_7:
	s_wait_xcnt 0x0
	s_or_b32 exec_lo, exec_lo, s1
	v_dual_mov_b32 v4, 0 :: v_dual_mov_b32 v10, 0
	s_mov_b32 s1, exec_lo
	v_cmpx_gt_i32_e64 s22, v11
	s_cbranch_execz .LBB27_9
; %bb.8:
	v_add_nc_u32_e32 v1, s20, v11
	v_add_nc_u32_e32 v11, 0x100, v11
	global_load_u16 v10, v1, s[18:19] scale_offset
.LBB27_9:
	s_wait_xcnt 0x0
	s_or_b32 exec_lo, exec_lo, s1
	s_delay_alu instid0(SALU_CYCLE_1)
	s_mov_b32 s1, exec_lo
	v_cmpx_gt_i32_e64 s22, v11
	s_cbranch_execz .LBB27_11
; %bb.10:
	v_add_nc_u32_e32 v1, s20, v11
	v_add_nc_u32_e32 v11, 0x100, v11
	global_load_u16 v4, v1, s[18:19] scale_offset
.LBB27_11:
	s_wait_xcnt 0x0
	s_or_b32 exec_lo, exec_lo, s1
	v_dual_mov_b32 v3, 0 :: v_dual_mov_b32 v9, 0
	s_mov_b32 s1, exec_lo
	v_cmpx_gt_i32_e64 s22, v11
	s_cbranch_execz .LBB27_13
; %bb.12:
	v_add_nc_u32_e32 v1, s20, v11
	v_add_nc_u32_e32 v11, 0x100, v11
	global_load_u16 v9, v1, s[18:19] scale_offset
.LBB27_13:
	s_wait_xcnt 0x0
	s_or_b32 exec_lo, exec_lo, s1
	s_delay_alu instid0(SALU_CYCLE_1)
	s_mov_b32 s1, exec_lo
	v_cmpx_gt_i32_e64 s22, v11
	s_cbranch_execz .LBB27_15
; %bb.14:
	v_add_nc_u32_e32 v1, s20, v11
	v_add_nc_u32_e32 v11, 0x100, v11
	global_load_u16 v3, v1, s[18:19] scale_offset
.LBB27_15:
	s_wait_xcnt 0x0
	s_or_b32 exec_lo, exec_lo, s1
	v_dual_mov_b32 v1, 0 :: v_dual_mov_b32 v7, 0
	s_mov_b32 s1, exec_lo
	v_cmpx_gt_i32_e64 s22, v11
	s_cbranch_execz .LBB27_17
; %bb.16:
	v_add_nc_u32_e32 v7, s20, v11
	v_add_nc_u32_e32 v11, 0x100, v11
	global_load_u16 v7, v7, s[18:19] scale_offset
.LBB27_17:
	s_wait_xcnt 0x0
	s_or_b32 exec_lo, exec_lo, s1
	s_delay_alu instid0(SALU_CYCLE_1)
	s_mov_b32 s1, exec_lo
	v_cmpx_gt_i32_e64 s22, v11
	s_cbranch_execz .LBB27_19
; %bb.18:
	v_add_nc_u32_e32 v1, s20, v11
	global_load_u16 v1, v1, s[18:19] scale_offset
.LBB27_19:
	s_wait_xcnt 0x0
	s_or_b32 exec_lo, exec_lo, s1
	s_lshl_b32 s0, s15, 16
	s_delay_alu instid0(SALU_CYCLE_1) | instskip(SKIP_2) | instid1(SALU_CYCLE_1)
	s_xor_b32 s1, s0, 0x80000000
	v_mov_b32_e32 v11, s0
	s_bfe_u32 s2, s1, 0x10010
	s_add_co_i32 s1, s1, s2
	s_delay_alu instid0(SALU_CYCLE_1) | instskip(NEXT) | instid1(SALU_CYCLE_1)
	s_addk_co_i32 s1, 0x7fff
	s_and_b32 s1, s1, 0xffff0000
	s_cmp_o_f32 s0, s0
	s_cselect_b32 s1, s1, 0x7fc00000
	s_and_saveexec_b32 s2, vcc_lo
	s_cbranch_execnz .LBB27_29
; %bb.20:
	s_or_b32 exec_lo, exec_lo, s2
	s_delay_alu instid0(SALU_CYCLE_1)
	s_mov_b32 s2, exec_lo
	v_cmpx_gt_i32_e64 s22, v0
	s_cbranch_execnz .LBB27_30
.LBB27_21:
	s_or_b32 exec_lo, exec_lo, s2
	s_delay_alu instid0(SALU_CYCLE_1)
	s_mov_b32 s2, exec_lo
	v_cmpx_gt_i32_e64 s22, v0
	s_cbranch_execnz .LBB27_31
.LBB27_22:
	s_or_b32 exec_lo, exec_lo, s2
	s_delay_alu instid0(SALU_CYCLE_1)
	s_mov_b32 s2, exec_lo
	v_cmpx_gt_i32_e64 s22, v0
	s_cbranch_execnz .LBB27_32
.LBB27_23:
	s_or_b32 exec_lo, exec_lo, s2
	s_delay_alu instid0(SALU_CYCLE_1)
	s_mov_b32 s2, exec_lo
	v_cmpx_gt_i32_e64 s22, v0
	s_cbranch_execnz .LBB27_33
.LBB27_24:
	s_or_b32 exec_lo, exec_lo, s2
	s_delay_alu instid0(SALU_CYCLE_1)
	s_mov_b32 s2, exec_lo
	v_cmpx_gt_i32_e64 s22, v0
	s_cbranch_execnz .LBB27_34
.LBB27_25:
	s_or_b32 exec_lo, exec_lo, s2
	s_delay_alu instid0(SALU_CYCLE_1)
	s_mov_b32 s2, exec_lo
	v_cmpx_gt_i32_e64 s22, v0
	s_cbranch_execnz .LBB27_35
.LBB27_26:
	s_or_b32 exec_lo, exec_lo, s2
	s_delay_alu instid0(SALU_CYCLE_1)
	s_mov_b32 s0, exec_lo
	v_cmpx_gt_i32_e64 s22, v0
	s_cbranch_execz .LBB27_28
.LBB27_27:
	s_wait_loadcnt 0x0
	v_dual_lshlrev_b32 v2, 16, v1 :: v_dual_add_nc_u32 v0, s20, v0
	s_delay_alu instid0(VALU_DEP_1)
	v_cmp_nle_f32_e32 vcc_lo, s1, v2
	v_cmp_nle_f32_e64 s0, v2, v11
	s_or_b32 vcc_lo, s0, vcc_lo
	v_cndmask_b32_e32 v1, 0, v1, vcc_lo
	global_store_b16 v0, v1, s[16:17] scale_offset
.LBB27_28:
	s_endpgm
.LBB27_29:
	s_wait_loadcnt 0x0
	v_lshlrev_b32_e32 v0, 16, v8
	s_delay_alu instid0(VALU_DEP_1)
	v_cmp_nge_f32_e32 vcc_lo, v11, v0
	v_cmp_nle_f32_e64 s0, s1, v0
	v_mov_b32_e32 v0, v6
	s_or_b32 vcc_lo, vcc_lo, s0
	v_cndmask_b32_e32 v8, 0, v8, vcc_lo
	global_store_b16 v5, v8, s[16:17] scale_offset
	s_wait_xcnt 0x0
	s_or_b32 exec_lo, exec_lo, s2
	s_delay_alu instid0(SALU_CYCLE_1)
	s_mov_b32 s2, exec_lo
	v_cmpx_gt_i32_e64 s22, v0
	s_cbranch_execz .LBB27_21
.LBB27_30:
	s_wait_loadcnt 0x0
	v_lshlrev_b32_e32 v5, 16, v2
	s_delay_alu instid0(VALU_DEP_1)
	v_cmp_nle_f32_e32 vcc_lo, s1, v5
	v_cmp_nge_f32_e64 s0, v11, v5
	v_add_nc_u32_e32 v5, s20, v0
	v_add_nc_u32_e32 v0, 0x100, v0
	s_or_b32 vcc_lo, s0, vcc_lo
	v_cndmask_b32_e32 v2, 0, v2, vcc_lo
	global_store_b16 v5, v2, s[16:17] scale_offset
	s_wait_xcnt 0x0
	s_or_b32 exec_lo, exec_lo, s2
	s_delay_alu instid0(SALU_CYCLE_1)
	s_mov_b32 s2, exec_lo
	v_cmpx_gt_i32_e64 s22, v0
	s_cbranch_execz .LBB27_22
.LBB27_31:
	s_wait_loadcnt 0x0
	v_dual_lshlrev_b32 v2, 16, v10 :: v_dual_add_nc_u32 v5, s20, v0
	v_add_nc_u32_e32 v0, 0x100, v0
	s_delay_alu instid0(VALU_DEP_2)
	v_cmp_nle_f32_e32 vcc_lo, s1, v2
	v_cmp_nge_f32_e64 s0, v11, v2
	s_or_b32 vcc_lo, s0, vcc_lo
	v_cndmask_b32_e32 v2, 0, v10, vcc_lo
	global_store_b16 v5, v2, s[16:17] scale_offset
	s_wait_xcnt 0x0
	s_or_b32 exec_lo, exec_lo, s2
	s_delay_alu instid0(SALU_CYCLE_1)
	s_mov_b32 s2, exec_lo
	v_cmpx_gt_i32_e64 s22, v0
	s_cbranch_execz .LBB27_23
.LBB27_32:
	s_wait_loadcnt 0x0
	v_lshlrev_b32_e32 v2, 16, v4
	s_delay_alu instid0(VALU_DEP_1)
	v_cmp_nle_f32_e32 vcc_lo, s1, v2
	v_cmp_nge_f32_e64 s0, v11, v2
	s_or_b32 vcc_lo, s0, vcc_lo
	v_cndmask_b32_e32 v2, 0, v4, vcc_lo
	v_add_nc_u32_e32 v4, s20, v0
	v_add_nc_u32_e32 v0, 0x100, v0
	global_store_b16 v4, v2, s[16:17] scale_offset
	s_wait_xcnt 0x0
	s_or_b32 exec_lo, exec_lo, s2
	s_delay_alu instid0(SALU_CYCLE_1)
	s_mov_b32 s2, exec_lo
	v_cmpx_gt_i32_e64 s22, v0
	s_cbranch_execz .LBB27_24
.LBB27_33:
	s_wait_loadcnt 0x0
	v_dual_lshlrev_b32 v2, 16, v9 :: v_dual_add_nc_u32 v4, s20, v0
	v_add_nc_u32_e32 v0, 0x100, v0
	s_delay_alu instid0(VALU_DEP_2)
	v_cmp_nle_f32_e32 vcc_lo, s1, v2
	v_cmp_nge_f32_e64 s0, v11, v2
	s_or_b32 vcc_lo, s0, vcc_lo
	v_cndmask_b32_e32 v2, 0, v9, vcc_lo
	global_store_b16 v4, v2, s[16:17] scale_offset
	s_wait_xcnt 0x0
	s_or_b32 exec_lo, exec_lo, s2
	s_delay_alu instid0(SALU_CYCLE_1)
	s_mov_b32 s2, exec_lo
	v_cmpx_gt_i32_e64 s22, v0
	s_cbranch_execz .LBB27_25
.LBB27_34:
	s_wait_loadcnt 0x0
	v_lshlrev_b32_e32 v2, 16, v3
	s_delay_alu instid0(VALU_DEP_1)
	v_cmp_nle_f32_e32 vcc_lo, s1, v2
	v_cmp_nge_f32_e64 s0, v11, v2
	s_or_b32 vcc_lo, s0, vcc_lo
	v_dual_cndmask_b32 v2, 0, v3 :: v_dual_add_nc_u32 v3, s20, v0
	v_add_nc_u32_e32 v0, 0x100, v0
	global_store_b16 v3, v2, s[16:17] scale_offset
	s_wait_xcnt 0x0
	s_or_b32 exec_lo, exec_lo, s2
	s_delay_alu instid0(SALU_CYCLE_1)
	s_mov_b32 s2, exec_lo
	v_cmpx_gt_i32_e64 s22, v0
	s_cbranch_execz .LBB27_26
.LBB27_35:
	s_wait_loadcnt 0x0
	v_dual_lshlrev_b32 v2, 16, v7 :: v_dual_add_nc_u32 v3, s20, v0
	v_add_nc_u32_e32 v0, 0x100, v0
	s_delay_alu instid0(VALU_DEP_2)
	v_cmp_nle_f32_e32 vcc_lo, s1, v2
	v_cmp_nge_f32_e64 s0, v11, v2
	s_or_b32 vcc_lo, s0, vcc_lo
	v_cndmask_b32_e32 v2, 0, v7, vcc_lo
	global_store_b16 v3, v2, s[16:17] scale_offset
	s_wait_xcnt 0x0
	s_or_b32 exec_lo, exec_lo, s2
	s_delay_alu instid0(SALU_CYCLE_1)
	s_mov_b32 s0, exec_lo
	v_cmpx_gt_i32_e64 s22, v0
	s_cbranch_execnz .LBB27_27
	s_branch .LBB27_28
	.section	.rodata,"a",@progbits
	.p2align	6, 0x0
	.amdhsa_kernel _ZN2at6native29vectorized_elementwise_kernelILi2EZZZNS0_12_GLOBAL__N_117hardshrink_kernelERNS_18TensorIteratorBaseERKN3c106ScalarEENKUlvE_clEvENKUlvE2_clEvEUlNS5_8BFloat16EE_St5arrayIPcLm2EEEEviT0_T1_
		.amdhsa_group_segment_fixed_size 0
		.amdhsa_private_segment_fixed_size 0
		.amdhsa_kernarg_size 24
		.amdhsa_user_sgpr_count 2
		.amdhsa_user_sgpr_dispatch_ptr 0
		.amdhsa_user_sgpr_queue_ptr 0
		.amdhsa_user_sgpr_kernarg_segment_ptr 1
		.amdhsa_user_sgpr_dispatch_id 0
		.amdhsa_user_sgpr_kernarg_preload_length 0
		.amdhsa_user_sgpr_kernarg_preload_offset 0
		.amdhsa_user_sgpr_private_segment_size 0
		.amdhsa_wavefront_size32 1
		.amdhsa_uses_dynamic_stack 0
		.amdhsa_enable_private_segment 0
		.amdhsa_system_sgpr_workgroup_id_x 1
		.amdhsa_system_sgpr_workgroup_id_y 0
		.amdhsa_system_sgpr_workgroup_id_z 0
		.amdhsa_system_sgpr_workgroup_info 0
		.amdhsa_system_vgpr_workitem_id 0
		.amdhsa_next_free_vgpr 13
		.amdhsa_next_free_sgpr 26
		.amdhsa_named_barrier_count 0
		.amdhsa_reserve_vcc 1
		.amdhsa_float_round_mode_32 0
		.amdhsa_float_round_mode_16_64 0
		.amdhsa_float_denorm_mode_32 3
		.amdhsa_float_denorm_mode_16_64 3
		.amdhsa_fp16_overflow 0
		.amdhsa_memory_ordered 1
		.amdhsa_forward_progress 1
		.amdhsa_inst_pref_size 16
		.amdhsa_round_robin_scheduling 0
		.amdhsa_exception_fp_ieee_invalid_op 0
		.amdhsa_exception_fp_denorm_src 0
		.amdhsa_exception_fp_ieee_div_zero 0
		.amdhsa_exception_fp_ieee_overflow 0
		.amdhsa_exception_fp_ieee_underflow 0
		.amdhsa_exception_fp_ieee_inexact 0
		.amdhsa_exception_int_div_zero 0
	.end_amdhsa_kernel
	.section	.text._ZN2at6native29vectorized_elementwise_kernelILi2EZZZNS0_12_GLOBAL__N_117hardshrink_kernelERNS_18TensorIteratorBaseERKN3c106ScalarEENKUlvE_clEvENKUlvE2_clEvEUlNS5_8BFloat16EE_St5arrayIPcLm2EEEEviT0_T1_,"axG",@progbits,_ZN2at6native29vectorized_elementwise_kernelILi2EZZZNS0_12_GLOBAL__N_117hardshrink_kernelERNS_18TensorIteratorBaseERKN3c106ScalarEENKUlvE_clEvENKUlvE2_clEvEUlNS5_8BFloat16EE_St5arrayIPcLm2EEEEviT0_T1_,comdat
.Lfunc_end27:
	.size	_ZN2at6native29vectorized_elementwise_kernelILi2EZZZNS0_12_GLOBAL__N_117hardshrink_kernelERNS_18TensorIteratorBaseERKN3c106ScalarEENKUlvE_clEvENKUlvE2_clEvEUlNS5_8BFloat16EE_St5arrayIPcLm2EEEEviT0_T1_, .Lfunc_end27-_ZN2at6native29vectorized_elementwise_kernelILi2EZZZNS0_12_GLOBAL__N_117hardshrink_kernelERNS_18TensorIteratorBaseERKN3c106ScalarEENKUlvE_clEvENKUlvE2_clEvEUlNS5_8BFloat16EE_St5arrayIPcLm2EEEEviT0_T1_
                                        ; -- End function
	.set _ZN2at6native29vectorized_elementwise_kernelILi2EZZZNS0_12_GLOBAL__N_117hardshrink_kernelERNS_18TensorIteratorBaseERKN3c106ScalarEENKUlvE_clEvENKUlvE2_clEvEUlNS5_8BFloat16EE_St5arrayIPcLm2EEEEviT0_T1_.num_vgpr, 13
	.set _ZN2at6native29vectorized_elementwise_kernelILi2EZZZNS0_12_GLOBAL__N_117hardshrink_kernelERNS_18TensorIteratorBaseERKN3c106ScalarEENKUlvE_clEvENKUlvE2_clEvEUlNS5_8BFloat16EE_St5arrayIPcLm2EEEEviT0_T1_.num_agpr, 0
	.set _ZN2at6native29vectorized_elementwise_kernelILi2EZZZNS0_12_GLOBAL__N_117hardshrink_kernelERNS_18TensorIteratorBaseERKN3c106ScalarEENKUlvE_clEvENKUlvE2_clEvEUlNS5_8BFloat16EE_St5arrayIPcLm2EEEEviT0_T1_.numbered_sgpr, 26
	.set _ZN2at6native29vectorized_elementwise_kernelILi2EZZZNS0_12_GLOBAL__N_117hardshrink_kernelERNS_18TensorIteratorBaseERKN3c106ScalarEENKUlvE_clEvENKUlvE2_clEvEUlNS5_8BFloat16EE_St5arrayIPcLm2EEEEviT0_T1_.num_named_barrier, 0
	.set _ZN2at6native29vectorized_elementwise_kernelILi2EZZZNS0_12_GLOBAL__N_117hardshrink_kernelERNS_18TensorIteratorBaseERKN3c106ScalarEENKUlvE_clEvENKUlvE2_clEvEUlNS5_8BFloat16EE_St5arrayIPcLm2EEEEviT0_T1_.private_seg_size, 0
	.set _ZN2at6native29vectorized_elementwise_kernelILi2EZZZNS0_12_GLOBAL__N_117hardshrink_kernelERNS_18TensorIteratorBaseERKN3c106ScalarEENKUlvE_clEvENKUlvE2_clEvEUlNS5_8BFloat16EE_St5arrayIPcLm2EEEEviT0_T1_.uses_vcc, 1
	.set _ZN2at6native29vectorized_elementwise_kernelILi2EZZZNS0_12_GLOBAL__N_117hardshrink_kernelERNS_18TensorIteratorBaseERKN3c106ScalarEENKUlvE_clEvENKUlvE2_clEvEUlNS5_8BFloat16EE_St5arrayIPcLm2EEEEviT0_T1_.uses_flat_scratch, 0
	.set _ZN2at6native29vectorized_elementwise_kernelILi2EZZZNS0_12_GLOBAL__N_117hardshrink_kernelERNS_18TensorIteratorBaseERKN3c106ScalarEENKUlvE_clEvENKUlvE2_clEvEUlNS5_8BFloat16EE_St5arrayIPcLm2EEEEviT0_T1_.has_dyn_sized_stack, 0
	.set _ZN2at6native29vectorized_elementwise_kernelILi2EZZZNS0_12_GLOBAL__N_117hardshrink_kernelERNS_18TensorIteratorBaseERKN3c106ScalarEENKUlvE_clEvENKUlvE2_clEvEUlNS5_8BFloat16EE_St5arrayIPcLm2EEEEviT0_T1_.has_recursion, 0
	.set _ZN2at6native29vectorized_elementwise_kernelILi2EZZZNS0_12_GLOBAL__N_117hardshrink_kernelERNS_18TensorIteratorBaseERKN3c106ScalarEENKUlvE_clEvENKUlvE2_clEvEUlNS5_8BFloat16EE_St5arrayIPcLm2EEEEviT0_T1_.has_indirect_call, 0
	.section	.AMDGPU.csdata,"",@progbits
; Kernel info:
; codeLenInByte = 1964
; TotalNumSgprs: 28
; NumVgprs: 13
; ScratchSize: 0
; MemoryBound: 0
; FloatMode: 240
; IeeeMode: 1
; LDSByteSize: 0 bytes/workgroup (compile time only)
; SGPRBlocks: 0
; VGPRBlocks: 0
; NumSGPRsForWavesPerEU: 28
; NumVGPRsForWavesPerEU: 13
; NamedBarCnt: 0
; Occupancy: 16
; WaveLimiterHint : 1
; COMPUTE_PGM_RSRC2:SCRATCH_EN: 0
; COMPUTE_PGM_RSRC2:USER_SGPR: 2
; COMPUTE_PGM_RSRC2:TRAP_HANDLER: 0
; COMPUTE_PGM_RSRC2:TGID_X_EN: 1
; COMPUTE_PGM_RSRC2:TGID_Y_EN: 0
; COMPUTE_PGM_RSRC2:TGID_Z_EN: 0
; COMPUTE_PGM_RSRC2:TIDIG_COMP_CNT: 0
	.section	.text._ZN2at6native27unrolled_elementwise_kernelIZZZNS0_12_GLOBAL__N_117hardshrink_kernelERNS_18TensorIteratorBaseERKN3c106ScalarEENKUlvE_clEvENKUlvE2_clEvEUlNS5_8BFloat16EE_St5arrayIPcLm2EELi4E23TrivialOffsetCalculatorILi1EjESH_NS0_6memory15LoadWithoutCastENSI_16StoreWithoutCastEEEviT_T0_T2_T3_T4_T5_,"axG",@progbits,_ZN2at6native27unrolled_elementwise_kernelIZZZNS0_12_GLOBAL__N_117hardshrink_kernelERNS_18TensorIteratorBaseERKN3c106ScalarEENKUlvE_clEvENKUlvE2_clEvEUlNS5_8BFloat16EE_St5arrayIPcLm2EELi4E23TrivialOffsetCalculatorILi1EjESH_NS0_6memory15LoadWithoutCastENSI_16StoreWithoutCastEEEviT_T0_T2_T3_T4_T5_,comdat
	.globl	_ZN2at6native27unrolled_elementwise_kernelIZZZNS0_12_GLOBAL__N_117hardshrink_kernelERNS_18TensorIteratorBaseERKN3c106ScalarEENKUlvE_clEvENKUlvE2_clEvEUlNS5_8BFloat16EE_St5arrayIPcLm2EELi4E23TrivialOffsetCalculatorILi1EjESH_NS0_6memory15LoadWithoutCastENSI_16StoreWithoutCastEEEviT_T0_T2_T3_T4_T5_ ; -- Begin function _ZN2at6native27unrolled_elementwise_kernelIZZZNS0_12_GLOBAL__N_117hardshrink_kernelERNS_18TensorIteratorBaseERKN3c106ScalarEENKUlvE_clEvENKUlvE2_clEvEUlNS5_8BFloat16EE_St5arrayIPcLm2EELi4E23TrivialOffsetCalculatorILi1EjESH_NS0_6memory15LoadWithoutCastENSI_16StoreWithoutCastEEEviT_T0_T2_T3_T4_T5_
	.p2align	8
	.type	_ZN2at6native27unrolled_elementwise_kernelIZZZNS0_12_GLOBAL__N_117hardshrink_kernelERNS_18TensorIteratorBaseERKN3c106ScalarEENKUlvE_clEvENKUlvE2_clEvEUlNS5_8BFloat16EE_St5arrayIPcLm2EELi4E23TrivialOffsetCalculatorILi1EjESH_NS0_6memory15LoadWithoutCastENSI_16StoreWithoutCastEEEviT_T0_T2_T3_T4_T5_,@function
_ZN2at6native27unrolled_elementwise_kernelIZZZNS0_12_GLOBAL__N_117hardshrink_kernelERNS_18TensorIteratorBaseERKN3c106ScalarEENKUlvE_clEvENKUlvE2_clEvEUlNS5_8BFloat16EE_St5arrayIPcLm2EELi4E23TrivialOffsetCalculatorILi1EjESH_NS0_6memory15LoadWithoutCastENSI_16StoreWithoutCastEEEviT_T0_T2_T3_T4_T5_: ; @_ZN2at6native27unrolled_elementwise_kernelIZZZNS0_12_GLOBAL__N_117hardshrink_kernelERNS_18TensorIteratorBaseERKN3c106ScalarEENKUlvE_clEvENKUlvE2_clEvEUlNS5_8BFloat16EE_St5arrayIPcLm2EELi4E23TrivialOffsetCalculatorILi1EjESH_NS0_6memory15LoadWithoutCastENSI_16StoreWithoutCastEEEviT_T0_T2_T3_T4_T5_
; %bb.0:
	s_clause 0x1
	s_load_b64 s[2:3], s[0:1], 0x0
	s_load_b128 s[4:7], s[0:1], 0x8
	s_bfe_u32 s8, ttmp6, 0x4000c
	s_wait_xcnt 0x0
	s_and_b32 s0, ttmp6, 15
	s_add_co_i32 s8, s8, 1
	v_dual_mov_b32 v1, 0 :: v_dual_mov_b32 v6, 0
	s_mul_i32 s1, ttmp9, s8
	s_getreg_b32 s8, hwreg(HW_REG_IB_STS2, 6, 4)
	s_add_co_i32 s0, s0, s1
	s_cmp_eq_u32 s8, 0
	v_or_b32_e32 v3, 0x100, v0
	s_cselect_b32 s0, ttmp9, s0
	v_mov_b32_e32 v7, v0
	s_lshl_b32 s1, s0, 10
	s_delay_alu instid0(SALU_CYCLE_1) | instskip(SKIP_2) | instid1(SALU_CYCLE_1)
	v_or_b32_e32 v4, s1, v0
	s_wait_kmcnt 0x0
	s_sub_co_i32 s2, s2, s1
	v_cmp_gt_i32_e32 vcc_lo, s2, v0
	s_and_saveexec_b32 s0, vcc_lo
	s_cbranch_execz .LBB28_2
; %bb.1:
	global_load_u16 v6, v4, s[6:7] scale_offset
	v_or_b32_e32 v7, 0x100, v0
.LBB28_2:
	s_wait_xcnt 0x0
	s_or_b32 exec_lo, exec_lo, s0
	s_delay_alu instid0(SALU_CYCLE_1) | instskip(NEXT) | instid1(VALU_DEP_1)
	s_mov_b32 s8, exec_lo
	v_cmpx_gt_i32_e64 s2, v7
	s_cbranch_execz .LBB28_4
; %bb.3:
	v_add_nc_u32_e32 v1, s1, v7
	v_add_nc_u32_e32 v7, 0x100, v7
	global_load_u16 v1, v1, s[6:7] scale_offset
.LBB28_4:
	s_wait_xcnt 0x0
	s_or_b32 exec_lo, exec_lo, s8
	v_dual_mov_b32 v2, 0 :: v_dual_mov_b32 v5, 0
	s_mov_b32 s8, exec_lo
	v_cmpx_gt_i32_e64 s2, v7
	s_cbranch_execz .LBB28_6
; %bb.5:
	v_add_nc_u32_e32 v5, s1, v7
	v_add_nc_u32_e32 v7, 0x100, v7
	global_load_u16 v5, v5, s[6:7] scale_offset
.LBB28_6:
	s_wait_xcnt 0x0
	s_or_b32 exec_lo, exec_lo, s8
	s_delay_alu instid0(SALU_CYCLE_1)
	s_mov_b32 s8, exec_lo
	v_cmpx_gt_i32_e64 s2, v7
	s_cbranch_execz .LBB28_8
; %bb.7:
	v_add_nc_u32_e32 v2, s1, v7
	global_load_u16 v2, v2, s[6:7] scale_offset
.LBB28_8:
	s_wait_xcnt 0x0
	s_or_b32 exec_lo, exec_lo, s8
	s_lshl_b32 s0, s3, 16
	s_delay_alu instid0(SALU_CYCLE_1) | instskip(SKIP_2) | instid1(SALU_CYCLE_1)
	s_xor_b32 s3, s0, 0x80000000
	v_mov_b32_e32 v7, s0
	s_bfe_u32 s6, s3, 0x10010
	s_add_co_i32 s3, s3, s6
	s_delay_alu instid0(SALU_CYCLE_1) | instskip(NEXT) | instid1(SALU_CYCLE_1)
	s_addk_co_i32 s3, 0x7fff
	s_and_b32 s3, s3, 0xffff0000
	s_cmp_o_f32 s0, s0
	s_cselect_b32 s3, s3, 0x7fc00000
	s_and_saveexec_b32 s6, vcc_lo
	s_cbranch_execnz .LBB28_13
; %bb.9:
	s_or_b32 exec_lo, exec_lo, s6
	s_delay_alu instid0(SALU_CYCLE_1)
	s_mov_b32 s6, exec_lo
	v_cmpx_gt_i32_e64 s2, v0
	s_cbranch_execnz .LBB28_14
.LBB28_10:
	s_or_b32 exec_lo, exec_lo, s6
	s_delay_alu instid0(SALU_CYCLE_1)
	s_mov_b32 s6, exec_lo
	v_cmpx_gt_i32_e64 s2, v0
	s_cbranch_execnz .LBB28_15
.LBB28_11:
	s_or_b32 exec_lo, exec_lo, s6
	s_delay_alu instid0(SALU_CYCLE_1)
	s_mov_b32 s0, exec_lo
	v_cmpx_gt_i32_e64 s2, v0
	s_cbranch_execnz .LBB28_16
.LBB28_12:
	s_endpgm
.LBB28_13:
	s_wait_loadcnt 0x0
	v_lshlrev_b32_e32 v0, 16, v6
	s_delay_alu instid0(VALU_DEP_1)
	v_cmp_nge_f32_e32 vcc_lo, v7, v0
	v_cmp_nle_f32_e64 s0, s3, v0
	v_mov_b32_e32 v0, v3
	s_or_b32 vcc_lo, vcc_lo, s0
	v_cndmask_b32_e32 v6, 0, v6, vcc_lo
	global_store_b16 v4, v6, s[4:5] scale_offset
	s_wait_xcnt 0x0
	s_or_b32 exec_lo, exec_lo, s6
	s_delay_alu instid0(SALU_CYCLE_1)
	s_mov_b32 s6, exec_lo
	v_cmpx_gt_i32_e64 s2, v0
	s_cbranch_execz .LBB28_10
.LBB28_14:
	s_wait_loadcnt 0x0
	v_lshlrev_b32_e32 v3, 16, v1
	s_delay_alu instid0(VALU_DEP_1) | instskip(SKIP_4) | instid1(VALU_DEP_2)
	v_cmp_nle_f32_e32 vcc_lo, s3, v3
	v_cmp_nge_f32_e64 s0, v7, v3
	v_add_nc_u32_e32 v3, 0x100, v0
	v_add_nc_u32_e32 v4, s1, v0
	s_or_b32 vcc_lo, s0, vcc_lo
	v_dual_mov_b32 v0, v3 :: v_dual_cndmask_b32 v1, 0, v1
	global_store_b16 v4, v1, s[4:5] scale_offset
	s_wait_xcnt 0x0
	s_or_b32 exec_lo, exec_lo, s6
	s_delay_alu instid0(SALU_CYCLE_1)
	s_mov_b32 s6, exec_lo
	v_cmpx_gt_i32_e64 s2, v0
	s_cbranch_execz .LBB28_11
.LBB28_15:
	s_wait_loadcnt 0x0
	v_lshlrev_b32_e32 v1, 16, v5
	s_delay_alu instid0(VALU_DEP_1) | instskip(SKIP_4) | instid1(VALU_DEP_2)
	v_cmp_nle_f32_e32 vcc_lo, s3, v1
	v_cmp_nge_f32_e64 s0, v7, v1
	v_add_nc_u32_e32 v1, 0x100, v0
	v_add_nc_u32_e32 v4, s1, v0
	s_or_b32 vcc_lo, s0, vcc_lo
	v_dual_mov_b32 v0, v1 :: v_dual_cndmask_b32 v3, 0, v5
	global_store_b16 v4, v3, s[4:5] scale_offset
	s_wait_xcnt 0x0
	s_or_b32 exec_lo, exec_lo, s6
	s_delay_alu instid0(SALU_CYCLE_1)
	s_mov_b32 s0, exec_lo
	v_cmpx_gt_i32_e64 s2, v0
	s_cbranch_execz .LBB28_12
.LBB28_16:
	s_wait_loadcnt 0x0
	v_dual_lshlrev_b32 v1, 16, v2 :: v_dual_add_nc_u32 v0, s1, v0
	s_delay_alu instid0(VALU_DEP_1)
	v_cmp_nle_f32_e32 vcc_lo, s3, v1
	v_cmp_nle_f32_e64 s0, v1, v7
	s_or_b32 vcc_lo, s0, vcc_lo
	v_cndmask_b32_e32 v1, 0, v2, vcc_lo
	global_store_b16 v0, v1, s[4:5] scale_offset
	s_endpgm
	.section	.rodata,"a",@progbits
	.p2align	6, 0x0
	.amdhsa_kernel _ZN2at6native27unrolled_elementwise_kernelIZZZNS0_12_GLOBAL__N_117hardshrink_kernelERNS_18TensorIteratorBaseERKN3c106ScalarEENKUlvE_clEvENKUlvE2_clEvEUlNS5_8BFloat16EE_St5arrayIPcLm2EELi4E23TrivialOffsetCalculatorILi1EjESH_NS0_6memory15LoadWithoutCastENSI_16StoreWithoutCastEEEviT_T0_T2_T3_T4_T5_
		.amdhsa_group_segment_fixed_size 0
		.amdhsa_private_segment_fixed_size 0
		.amdhsa_kernarg_size 28
		.amdhsa_user_sgpr_count 2
		.amdhsa_user_sgpr_dispatch_ptr 0
		.amdhsa_user_sgpr_queue_ptr 0
		.amdhsa_user_sgpr_kernarg_segment_ptr 1
		.amdhsa_user_sgpr_dispatch_id 0
		.amdhsa_user_sgpr_kernarg_preload_length 0
		.amdhsa_user_sgpr_kernarg_preload_offset 0
		.amdhsa_user_sgpr_private_segment_size 0
		.amdhsa_wavefront_size32 1
		.amdhsa_uses_dynamic_stack 0
		.amdhsa_enable_private_segment 0
		.amdhsa_system_sgpr_workgroup_id_x 1
		.amdhsa_system_sgpr_workgroup_id_y 0
		.amdhsa_system_sgpr_workgroup_id_z 0
		.amdhsa_system_sgpr_workgroup_info 0
		.amdhsa_system_vgpr_workitem_id 0
		.amdhsa_next_free_vgpr 8
		.amdhsa_next_free_sgpr 9
		.amdhsa_named_barrier_count 0
		.amdhsa_reserve_vcc 1
		.amdhsa_float_round_mode_32 0
		.amdhsa_float_round_mode_16_64 0
		.amdhsa_float_denorm_mode_32 3
		.amdhsa_float_denorm_mode_16_64 3
		.amdhsa_fp16_overflow 0
		.amdhsa_memory_ordered 1
		.amdhsa_forward_progress 1
		.amdhsa_inst_pref_size 6
		.amdhsa_round_robin_scheduling 0
		.amdhsa_exception_fp_ieee_invalid_op 0
		.amdhsa_exception_fp_denorm_src 0
		.amdhsa_exception_fp_ieee_div_zero 0
		.amdhsa_exception_fp_ieee_overflow 0
		.amdhsa_exception_fp_ieee_underflow 0
		.amdhsa_exception_fp_ieee_inexact 0
		.amdhsa_exception_int_div_zero 0
	.end_amdhsa_kernel
	.section	.text._ZN2at6native27unrolled_elementwise_kernelIZZZNS0_12_GLOBAL__N_117hardshrink_kernelERNS_18TensorIteratorBaseERKN3c106ScalarEENKUlvE_clEvENKUlvE2_clEvEUlNS5_8BFloat16EE_St5arrayIPcLm2EELi4E23TrivialOffsetCalculatorILi1EjESH_NS0_6memory15LoadWithoutCastENSI_16StoreWithoutCastEEEviT_T0_T2_T3_T4_T5_,"axG",@progbits,_ZN2at6native27unrolled_elementwise_kernelIZZZNS0_12_GLOBAL__N_117hardshrink_kernelERNS_18TensorIteratorBaseERKN3c106ScalarEENKUlvE_clEvENKUlvE2_clEvEUlNS5_8BFloat16EE_St5arrayIPcLm2EELi4E23TrivialOffsetCalculatorILi1EjESH_NS0_6memory15LoadWithoutCastENSI_16StoreWithoutCastEEEviT_T0_T2_T3_T4_T5_,comdat
.Lfunc_end28:
	.size	_ZN2at6native27unrolled_elementwise_kernelIZZZNS0_12_GLOBAL__N_117hardshrink_kernelERNS_18TensorIteratorBaseERKN3c106ScalarEENKUlvE_clEvENKUlvE2_clEvEUlNS5_8BFloat16EE_St5arrayIPcLm2EELi4E23TrivialOffsetCalculatorILi1EjESH_NS0_6memory15LoadWithoutCastENSI_16StoreWithoutCastEEEviT_T0_T2_T3_T4_T5_, .Lfunc_end28-_ZN2at6native27unrolled_elementwise_kernelIZZZNS0_12_GLOBAL__N_117hardshrink_kernelERNS_18TensorIteratorBaseERKN3c106ScalarEENKUlvE_clEvENKUlvE2_clEvEUlNS5_8BFloat16EE_St5arrayIPcLm2EELi4E23TrivialOffsetCalculatorILi1EjESH_NS0_6memory15LoadWithoutCastENSI_16StoreWithoutCastEEEviT_T0_T2_T3_T4_T5_
                                        ; -- End function
	.set _ZN2at6native27unrolled_elementwise_kernelIZZZNS0_12_GLOBAL__N_117hardshrink_kernelERNS_18TensorIteratorBaseERKN3c106ScalarEENKUlvE_clEvENKUlvE2_clEvEUlNS5_8BFloat16EE_St5arrayIPcLm2EELi4E23TrivialOffsetCalculatorILi1EjESH_NS0_6memory15LoadWithoutCastENSI_16StoreWithoutCastEEEviT_T0_T2_T3_T4_T5_.num_vgpr, 8
	.set _ZN2at6native27unrolled_elementwise_kernelIZZZNS0_12_GLOBAL__N_117hardshrink_kernelERNS_18TensorIteratorBaseERKN3c106ScalarEENKUlvE_clEvENKUlvE2_clEvEUlNS5_8BFloat16EE_St5arrayIPcLm2EELi4E23TrivialOffsetCalculatorILi1EjESH_NS0_6memory15LoadWithoutCastENSI_16StoreWithoutCastEEEviT_T0_T2_T3_T4_T5_.num_agpr, 0
	.set _ZN2at6native27unrolled_elementwise_kernelIZZZNS0_12_GLOBAL__N_117hardshrink_kernelERNS_18TensorIteratorBaseERKN3c106ScalarEENKUlvE_clEvENKUlvE2_clEvEUlNS5_8BFloat16EE_St5arrayIPcLm2EELi4E23TrivialOffsetCalculatorILi1EjESH_NS0_6memory15LoadWithoutCastENSI_16StoreWithoutCastEEEviT_T0_T2_T3_T4_T5_.numbered_sgpr, 9
	.set _ZN2at6native27unrolled_elementwise_kernelIZZZNS0_12_GLOBAL__N_117hardshrink_kernelERNS_18TensorIteratorBaseERKN3c106ScalarEENKUlvE_clEvENKUlvE2_clEvEUlNS5_8BFloat16EE_St5arrayIPcLm2EELi4E23TrivialOffsetCalculatorILi1EjESH_NS0_6memory15LoadWithoutCastENSI_16StoreWithoutCastEEEviT_T0_T2_T3_T4_T5_.num_named_barrier, 0
	.set _ZN2at6native27unrolled_elementwise_kernelIZZZNS0_12_GLOBAL__N_117hardshrink_kernelERNS_18TensorIteratorBaseERKN3c106ScalarEENKUlvE_clEvENKUlvE2_clEvEUlNS5_8BFloat16EE_St5arrayIPcLm2EELi4E23TrivialOffsetCalculatorILi1EjESH_NS0_6memory15LoadWithoutCastENSI_16StoreWithoutCastEEEviT_T0_T2_T3_T4_T5_.private_seg_size, 0
	.set _ZN2at6native27unrolled_elementwise_kernelIZZZNS0_12_GLOBAL__N_117hardshrink_kernelERNS_18TensorIteratorBaseERKN3c106ScalarEENKUlvE_clEvENKUlvE2_clEvEUlNS5_8BFloat16EE_St5arrayIPcLm2EELi4E23TrivialOffsetCalculatorILi1EjESH_NS0_6memory15LoadWithoutCastENSI_16StoreWithoutCastEEEviT_T0_T2_T3_T4_T5_.uses_vcc, 1
	.set _ZN2at6native27unrolled_elementwise_kernelIZZZNS0_12_GLOBAL__N_117hardshrink_kernelERNS_18TensorIteratorBaseERKN3c106ScalarEENKUlvE_clEvENKUlvE2_clEvEUlNS5_8BFloat16EE_St5arrayIPcLm2EELi4E23TrivialOffsetCalculatorILi1EjESH_NS0_6memory15LoadWithoutCastENSI_16StoreWithoutCastEEEviT_T0_T2_T3_T4_T5_.uses_flat_scratch, 0
	.set _ZN2at6native27unrolled_elementwise_kernelIZZZNS0_12_GLOBAL__N_117hardshrink_kernelERNS_18TensorIteratorBaseERKN3c106ScalarEENKUlvE_clEvENKUlvE2_clEvEUlNS5_8BFloat16EE_St5arrayIPcLm2EELi4E23TrivialOffsetCalculatorILi1EjESH_NS0_6memory15LoadWithoutCastENSI_16StoreWithoutCastEEEviT_T0_T2_T3_T4_T5_.has_dyn_sized_stack, 0
	.set _ZN2at6native27unrolled_elementwise_kernelIZZZNS0_12_GLOBAL__N_117hardshrink_kernelERNS_18TensorIteratorBaseERKN3c106ScalarEENKUlvE_clEvENKUlvE2_clEvEUlNS5_8BFloat16EE_St5arrayIPcLm2EELi4E23TrivialOffsetCalculatorILi1EjESH_NS0_6memory15LoadWithoutCastENSI_16StoreWithoutCastEEEviT_T0_T2_T3_T4_T5_.has_recursion, 0
	.set _ZN2at6native27unrolled_elementwise_kernelIZZZNS0_12_GLOBAL__N_117hardshrink_kernelERNS_18TensorIteratorBaseERKN3c106ScalarEENKUlvE_clEvENKUlvE2_clEvEUlNS5_8BFloat16EE_St5arrayIPcLm2EELi4E23TrivialOffsetCalculatorILi1EjESH_NS0_6memory15LoadWithoutCastENSI_16StoreWithoutCastEEEviT_T0_T2_T3_T4_T5_.has_indirect_call, 0
	.section	.AMDGPU.csdata,"",@progbits
; Kernel info:
; codeLenInByte = 744
; TotalNumSgprs: 11
; NumVgprs: 8
; ScratchSize: 0
; MemoryBound: 0
; FloatMode: 240
; IeeeMode: 1
; LDSByteSize: 0 bytes/workgroup (compile time only)
; SGPRBlocks: 0
; VGPRBlocks: 0
; NumSGPRsForWavesPerEU: 11
; NumVGPRsForWavesPerEU: 8
; NamedBarCnt: 0
; Occupancy: 16
; WaveLimiterHint : 0
; COMPUTE_PGM_RSRC2:SCRATCH_EN: 0
; COMPUTE_PGM_RSRC2:USER_SGPR: 2
; COMPUTE_PGM_RSRC2:TRAP_HANDLER: 0
; COMPUTE_PGM_RSRC2:TGID_X_EN: 1
; COMPUTE_PGM_RSRC2:TGID_Y_EN: 0
; COMPUTE_PGM_RSRC2:TGID_Z_EN: 0
; COMPUTE_PGM_RSRC2:TIDIG_COMP_CNT: 0
	.section	.text._ZN2at6native32elementwise_kernel_manual_unrollILi128ELi8EZNS0_22gpu_kernel_impl_nocastIZZZNS0_12_GLOBAL__N_117hardshrink_kernelERNS_18TensorIteratorBaseERKN3c106ScalarEENKUlvE_clEvENKUlvE2_clEvEUlNS6_8BFloat16EE_EEvS5_RKT_EUlibE_EEviT1_,"axG",@progbits,_ZN2at6native32elementwise_kernel_manual_unrollILi128ELi8EZNS0_22gpu_kernel_impl_nocastIZZZNS0_12_GLOBAL__N_117hardshrink_kernelERNS_18TensorIteratorBaseERKN3c106ScalarEENKUlvE_clEvENKUlvE2_clEvEUlNS6_8BFloat16EE_EEvS5_RKT_EUlibE_EEviT1_,comdat
	.globl	_ZN2at6native32elementwise_kernel_manual_unrollILi128ELi8EZNS0_22gpu_kernel_impl_nocastIZZZNS0_12_GLOBAL__N_117hardshrink_kernelERNS_18TensorIteratorBaseERKN3c106ScalarEENKUlvE_clEvENKUlvE2_clEvEUlNS6_8BFloat16EE_EEvS5_RKT_EUlibE_EEviT1_ ; -- Begin function _ZN2at6native32elementwise_kernel_manual_unrollILi128ELi8EZNS0_22gpu_kernel_impl_nocastIZZZNS0_12_GLOBAL__N_117hardshrink_kernelERNS_18TensorIteratorBaseERKN3c106ScalarEENKUlvE_clEvENKUlvE2_clEvEUlNS6_8BFloat16EE_EEvS5_RKT_EUlibE_EEviT1_
	.p2align	8
	.type	_ZN2at6native32elementwise_kernel_manual_unrollILi128ELi8EZNS0_22gpu_kernel_impl_nocastIZZZNS0_12_GLOBAL__N_117hardshrink_kernelERNS_18TensorIteratorBaseERKN3c106ScalarEENKUlvE_clEvENKUlvE2_clEvEUlNS6_8BFloat16EE_EEvS5_RKT_EUlibE_EEviT1_,@function
_ZN2at6native32elementwise_kernel_manual_unrollILi128ELi8EZNS0_22gpu_kernel_impl_nocastIZZZNS0_12_GLOBAL__N_117hardshrink_kernelERNS_18TensorIteratorBaseERKN3c106ScalarEENKUlvE_clEvENKUlvE2_clEvEUlNS6_8BFloat16EE_EEvS5_RKT_EUlibE_EEviT1_: ; @_ZN2at6native32elementwise_kernel_manual_unrollILi128ELi8EZNS0_22gpu_kernel_impl_nocastIZZZNS0_12_GLOBAL__N_117hardshrink_kernelERNS_18TensorIteratorBaseERKN3c106ScalarEENKUlvE_clEvENKUlvE2_clEvEUlNS6_8BFloat16EE_EEvS5_RKT_EUlibE_EEviT1_
; %bb.0:
	s_clause 0x1
	s_load_b32 s28, s[0:1], 0x8
	s_load_b32 s35, s[0:1], 0x0
	s_bfe_u32 s2, ttmp6, 0x4000c
	s_and_b32 s3, ttmp6, 15
	s_add_co_i32 s2, s2, 1
	s_getreg_b32 s4, hwreg(HW_REG_IB_STS2, 6, 4)
	s_mul_i32 s2, ttmp9, s2
	s_mov_b32 s17, 0
	s_add_co_i32 s3, s3, s2
	s_cmp_eq_u32 s4, 0
	s_cselect_b32 s2, ttmp9, s3
	s_delay_alu instid0(SALU_CYCLE_1) | instskip(SKIP_3) | instid1(VALU_DEP_1)
	v_lshl_or_b32 v0, s2, 10, v0
	s_add_nc_u64 s[2:3], s[0:1], 8
	s_wait_xcnt 0x0
	s_mov_b32 s0, exec_lo
	v_or_b32_e32 v16, 0x380, v0
	s_wait_kmcnt 0x0
	s_add_co_i32 s29, s28, -1
	s_delay_alu instid0(SALU_CYCLE_1)
	s_cmp_gt_u32 s29, 1
	s_cselect_b32 s30, -1, 0
	v_cmpx_le_i32_e64 s35, v16
	s_xor_b32 s31, exec_lo, s0
	s_cbranch_execz .LBB29_7
; %bb.1:
	s_clause 0x1
	s_load_b32 s16, s[2:3], 0x158
	s_load_b128 s[8:11], s[2:3], 0x4
	s_cmp_lg_u32 s28, 0
	s_load_b64 s[0:1], s[2:3], 0x14
	s_cselect_b32 s37, -1, 0
	s_min_u32 s36, s29, 15
	s_clause 0x1
	s_load_b128 s[12:15], s[2:3], 0xc4
	s_load_b128 s[4:7], s[2:3], 0x148
	s_cmp_gt_u32 s28, 1
	s_add_nc_u64 s[20:21], s[2:3], 0xc4
	s_cselect_b32 s34, -1, 0
	s_mov_b32 s19, s17
	s_mov_b32 s38, exec_lo
	s_wait_kmcnt 0x0
	s_lshl_b32 s33, s16, 16
	s_delay_alu instid0(SALU_CYCLE_1) | instskip(NEXT) | instid1(SALU_CYCLE_1)
	s_xor_b32 s16, s33, 0x80000000
	s_bfe_u32 s18, s16, 0x10010
	s_delay_alu instid0(SALU_CYCLE_1) | instskip(NEXT) | instid1(SALU_CYCLE_1)
	s_add_co_i32 s16, s16, s18
	s_add_co_i32 s18, s16, 0x7fff
	s_mov_b32 s16, s9
	s_and_b32 s9, s18, 0xffff0000
	s_cmp_o_f32 s33, s33
	s_mov_b32 s18, s0
	s_cselect_b32 s9, s9, 0x7fc00000
	v_cmpx_gt_i32_e64 s35, v0
	s_cbranch_execz .LBB29_14
; %bb.2:
	s_and_not1_b32 vcc_lo, exec_lo, s30
	s_cbranch_vccnz .LBB29_21
; %bb.3:
	s_and_not1_b32 vcc_lo, exec_lo, s37
	s_cbranch_vccnz .LBB29_129
; %bb.4:
	s_add_co_i32 s0, s36, 1
	s_cmp_eq_u32 s29, 2
	s_cbranch_scc1 .LBB29_131
; %bb.5:
	v_dual_mov_b32 v2, 0 :: v_dual_mov_b32 v3, 0
	v_mov_b32_e32 v1, v0
	s_and_b32 s22, s0, 28
	s_mov_b32 s23, 0
	s_mov_b64 s[24:25], s[2:3]
	s_mov_b64 s[26:27], s[20:21]
.LBB29_6:                               ; =>This Inner Loop Header: Depth=1
	s_clause 0x1
	s_load_b256 s[40:47], s[24:25], 0x4
	s_load_b128 s[56:59], s[24:25], 0x24
	s_load_b256 s[48:55], s[26:27], 0x0
	s_add_co_i32 s23, s23, 4
	s_wait_xcnt 0x0
	s_add_nc_u64 s[24:25], s[24:25], 48
	s_cmp_lg_u32 s22, s23
	s_add_nc_u64 s[26:27], s[26:27], 32
	s_wait_kmcnt 0x0
	v_mul_hi_u32 v4, s41, v1
	s_delay_alu instid0(VALU_DEP_1) | instskip(NEXT) | instid1(VALU_DEP_1)
	v_add_nc_u32_e32 v4, v1, v4
	v_lshrrev_b32_e32 v4, s42, v4
	s_delay_alu instid0(VALU_DEP_1) | instskip(NEXT) | instid1(VALU_DEP_1)
	v_mul_hi_u32 v5, s44, v4
	v_add_nc_u32_e32 v5, v4, v5
	s_delay_alu instid0(VALU_DEP_1) | instskip(NEXT) | instid1(VALU_DEP_1)
	v_lshrrev_b32_e32 v5, s45, v5
	v_mul_hi_u32 v6, s47, v5
	s_delay_alu instid0(VALU_DEP_1) | instskip(SKIP_1) | instid1(VALU_DEP_1)
	v_add_nc_u32_e32 v6, v5, v6
	v_mul_lo_u32 v7, v4, s40
	v_sub_nc_u32_e32 v1, v1, v7
	v_mul_lo_u32 v7, v5, s43
	s_delay_alu instid0(VALU_DEP_4) | instskip(NEXT) | instid1(VALU_DEP_3)
	v_lshrrev_b32_e32 v6, s56, v6
	v_mad_u32 v3, v1, s49, v3
	v_mad_u32 v1, v1, s48, v2
	s_delay_alu instid0(VALU_DEP_4) | instskip(NEXT) | instid1(VALU_DEP_4)
	v_sub_nc_u32_e32 v2, v4, v7
	v_mul_hi_u32 v8, s58, v6
	v_mul_lo_u32 v4, v6, s46
	s_delay_alu instid0(VALU_DEP_3) | instskip(SKIP_1) | instid1(VALU_DEP_4)
	v_mad_u32 v3, v2, s51, v3
	v_mad_u32 v2, v2, s50, v1
	v_add_nc_u32_e32 v7, v6, v8
	s_delay_alu instid0(VALU_DEP_1) | instskip(NEXT) | instid1(VALU_DEP_1)
	v_dual_sub_nc_u32 v4, v5, v4 :: v_dual_lshrrev_b32 v1, s59, v7
	v_mad_u32 v3, v4, s53, v3
	s_delay_alu instid0(VALU_DEP_4) | instskip(NEXT) | instid1(VALU_DEP_3)
	v_mad_u32 v2, v4, s52, v2
	v_mul_lo_u32 v5, v1, s57
	s_delay_alu instid0(VALU_DEP_1) | instskip(NEXT) | instid1(VALU_DEP_1)
	v_sub_nc_u32_e32 v4, v6, v5
	v_mad_u32 v3, v4, s55, v3
	s_delay_alu instid0(VALU_DEP_4)
	v_mad_u32 v2, v4, s54, v2
	s_cbranch_scc1 .LBB29_6
	s_branch .LBB29_132
.LBB29_7:
	s_and_not1_saveexec_b32 s0, s31
	s_cbranch_execz .LBB29_221
.LBB29_8:
	v_cndmask_b32_e64 v14, 0, 1, s30
	s_and_not1_b32 vcc_lo, exec_lo, s30
	s_cbranch_vccnz .LBB29_20
; %bb.9:
	s_cmp_lg_u32 s28, 0
	s_mov_b32 s8, 0
	s_cbranch_scc0 .LBB29_23
; %bb.10:
	s_min_u32 s1, s29, 15
	s_delay_alu instid0(SALU_CYCLE_1)
	s_add_co_i32 s1, s1, 1
	s_cmp_eq_u32 s29, 2
	s_cbranch_scc1 .LBB29_24
; %bb.11:
	v_dual_mov_b32 v2, 0 :: v_dual_mov_b32 v3, 0
	v_mov_b32_e32 v1, v0
	s_and_b32 s0, s1, 28
	s_add_nc_u64 s[4:5], s[2:3], 0xc4
	s_mov_b32 s9, 0
	s_mov_b64 s[6:7], s[2:3]
.LBB29_12:                              ; =>This Inner Loop Header: Depth=1
	s_clause 0x1
	s_load_b256 s[12:19], s[6:7], 0x4
	s_load_b128 s[36:39], s[6:7], 0x24
	s_load_b256 s[20:27], s[4:5], 0x0
	s_add_co_i32 s9, s9, 4
	s_wait_xcnt 0x0
	s_add_nc_u64 s[6:7], s[6:7], 48
	s_cmp_lg_u32 s0, s9
	s_add_nc_u64 s[4:5], s[4:5], 32
	s_wait_kmcnt 0x0
	v_mul_hi_u32 v4, s13, v1
	s_delay_alu instid0(VALU_DEP_1) | instskip(NEXT) | instid1(VALU_DEP_1)
	v_add_nc_u32_e32 v4, v1, v4
	v_lshrrev_b32_e32 v4, s14, v4
	s_delay_alu instid0(VALU_DEP_1) | instskip(NEXT) | instid1(VALU_DEP_1)
	v_mul_hi_u32 v5, s16, v4
	v_add_nc_u32_e32 v5, v4, v5
	s_delay_alu instid0(VALU_DEP_1) | instskip(NEXT) | instid1(VALU_DEP_1)
	v_lshrrev_b32_e32 v5, s17, v5
	v_mul_hi_u32 v6, s19, v5
	s_delay_alu instid0(VALU_DEP_1) | instskip(SKIP_1) | instid1(VALU_DEP_1)
	v_add_nc_u32_e32 v6, v5, v6
	v_mul_lo_u32 v7, v4, s12
	v_sub_nc_u32_e32 v1, v1, v7
	v_mul_lo_u32 v7, v5, s15
	s_delay_alu instid0(VALU_DEP_4) | instskip(NEXT) | instid1(VALU_DEP_3)
	v_lshrrev_b32_e32 v6, s36, v6
	v_mad_u32 v3, v1, s21, v3
	v_mad_u32 v1, v1, s20, v2
	s_delay_alu instid0(VALU_DEP_4) | instskip(NEXT) | instid1(VALU_DEP_4)
	v_sub_nc_u32_e32 v2, v4, v7
	v_mul_hi_u32 v8, s38, v6
	v_mul_lo_u32 v4, v6, s18
	s_delay_alu instid0(VALU_DEP_3) | instskip(SKIP_1) | instid1(VALU_DEP_4)
	v_mad_u32 v3, v2, s23, v3
	v_mad_u32 v2, v2, s22, v1
	v_add_nc_u32_e32 v7, v6, v8
	s_delay_alu instid0(VALU_DEP_1) | instskip(NEXT) | instid1(VALU_DEP_1)
	v_dual_sub_nc_u32 v4, v5, v4 :: v_dual_lshrrev_b32 v1, s39, v7
	v_mad_u32 v3, v4, s25, v3
	s_delay_alu instid0(VALU_DEP_4) | instskip(NEXT) | instid1(VALU_DEP_3)
	v_mad_u32 v2, v4, s24, v2
	v_mul_lo_u32 v5, v1, s37
	s_delay_alu instid0(VALU_DEP_1) | instskip(NEXT) | instid1(VALU_DEP_1)
	v_sub_nc_u32_e32 v4, v6, v5
	v_mad_u32 v3, v4, s27, v3
	s_delay_alu instid0(VALU_DEP_4)
	v_mad_u32 v2, v4, s26, v2
	s_cbranch_scc1 .LBB29_12
; %bb.13:
	s_and_b32 s6, s1, 3
	s_mov_b32 s1, 0
	s_cmp_eq_u32 s6, 0
	s_cbranch_scc0 .LBB29_25
	s_branch .LBB29_27
.LBB29_14:
	s_or_b32 exec_lo, exec_lo, s38
	s_delay_alu instid0(SALU_CYCLE_1)
	s_mov_b32 s38, exec_lo
	v_cmpx_gt_i32_e64 s35, v0
	s_cbranch_execz .LBB29_139
.LBB29_15:
	s_and_not1_b32 vcc_lo, exec_lo, s30
	s_cbranch_vccnz .LBB29_22
; %bb.16:
	s_and_not1_b32 vcc_lo, exec_lo, s37
	s_cbranch_vccnz .LBB29_130
; %bb.17:
	s_add_co_i32 s0, s36, 1
	s_cmp_eq_u32 s29, 2
	s_cbranch_scc1 .LBB29_147
; %bb.18:
	v_dual_mov_b32 v2, 0 :: v_dual_mov_b32 v3, 0
	v_mov_b32_e32 v1, v0
	s_and_b32 s22, s0, 28
	s_mov_b32 s23, 0
	s_mov_b64 s[24:25], s[2:3]
	s_mov_b64 s[26:27], s[20:21]
.LBB29_19:                              ; =>This Inner Loop Header: Depth=1
	s_clause 0x1
	s_load_b256 s[40:47], s[24:25], 0x4
	s_load_b128 s[56:59], s[24:25], 0x24
	s_load_b256 s[48:55], s[26:27], 0x0
	s_add_co_i32 s23, s23, 4
	s_wait_xcnt 0x0
	s_add_nc_u64 s[24:25], s[24:25], 48
	s_cmp_eq_u32 s22, s23
	s_add_nc_u64 s[26:27], s[26:27], 32
	s_wait_kmcnt 0x0
	v_mul_hi_u32 v4, s41, v1
	s_delay_alu instid0(VALU_DEP_1) | instskip(NEXT) | instid1(VALU_DEP_1)
	v_add_nc_u32_e32 v4, v1, v4
	v_lshrrev_b32_e32 v4, s42, v4
	s_delay_alu instid0(VALU_DEP_1) | instskip(NEXT) | instid1(VALU_DEP_1)
	v_mul_hi_u32 v5, s44, v4
	v_add_nc_u32_e32 v5, v4, v5
	s_delay_alu instid0(VALU_DEP_1) | instskip(NEXT) | instid1(VALU_DEP_1)
	v_lshrrev_b32_e32 v5, s45, v5
	v_mul_hi_u32 v6, s47, v5
	s_delay_alu instid0(VALU_DEP_1) | instskip(SKIP_1) | instid1(VALU_DEP_1)
	v_add_nc_u32_e32 v6, v5, v6
	v_mul_lo_u32 v7, v4, s40
	v_sub_nc_u32_e32 v1, v1, v7
	v_mul_lo_u32 v7, v5, s43
	s_delay_alu instid0(VALU_DEP_4) | instskip(NEXT) | instid1(VALU_DEP_3)
	v_lshrrev_b32_e32 v6, s56, v6
	v_mad_u32 v3, v1, s49, v3
	v_mad_u32 v1, v1, s48, v2
	s_delay_alu instid0(VALU_DEP_4) | instskip(NEXT) | instid1(VALU_DEP_4)
	v_sub_nc_u32_e32 v2, v4, v7
	v_mul_hi_u32 v8, s58, v6
	v_mul_lo_u32 v4, v6, s46
	s_delay_alu instid0(VALU_DEP_3) | instskip(SKIP_1) | instid1(VALU_DEP_4)
	v_mad_u32 v3, v2, s51, v3
	v_mad_u32 v2, v2, s50, v1
	v_add_nc_u32_e32 v7, v6, v8
	s_delay_alu instid0(VALU_DEP_1) | instskip(NEXT) | instid1(VALU_DEP_1)
	v_dual_sub_nc_u32 v4, v5, v4 :: v_dual_lshrrev_b32 v1, s59, v7
	v_mad_u32 v3, v4, s53, v3
	s_delay_alu instid0(VALU_DEP_4) | instskip(NEXT) | instid1(VALU_DEP_3)
	v_mad_u32 v2, v4, s52, v2
	v_mul_lo_u32 v5, v1, s57
	s_delay_alu instid0(VALU_DEP_1) | instskip(NEXT) | instid1(VALU_DEP_1)
	v_sub_nc_u32_e32 v4, v6, v5
	v_mad_u32 v3, v4, s55, v3
	s_delay_alu instid0(VALU_DEP_4)
	v_mad_u32 v2, v4, s54, v2
	s_cbranch_scc0 .LBB29_19
	s_branch .LBB29_148
.LBB29_20:
	s_mov_b32 s8, -1
                                        ; implicit-def: $vgpr3
	s_branch .LBB29_27
.LBB29_21:
                                        ; implicit-def: $vgpr3
	s_branch .LBB29_136
.LBB29_22:
                                        ; implicit-def: $vgpr3
	s_branch .LBB29_152
.LBB29_23:
	v_dual_mov_b32 v3, 0 :: v_dual_mov_b32 v2, 0
	s_branch .LBB29_27
.LBB29_24:
	v_mov_b64_e32 v[2:3], 0
	v_mov_b32_e32 v1, v0
	s_mov_b32 s0, 0
	s_and_b32 s6, s1, 3
	s_mov_b32 s1, 0
	s_cmp_eq_u32 s6, 0
	s_cbranch_scc1 .LBB29_27
.LBB29_25:
	s_lshl_b32 s4, s0, 3
	s_mov_b32 s5, s1
	s_mul_u64 s[10:11], s[0:1], 12
	s_add_nc_u64 s[4:5], s[2:3], s[4:5]
	s_delay_alu instid0(SALU_CYCLE_1)
	s_add_nc_u64 s[0:1], s[4:5], 0xc4
	s_add_nc_u64 s[4:5], s[2:3], s[10:11]
.LBB29_26:                              ; =>This Inner Loop Header: Depth=1
	s_load_b96 s[12:14], s[4:5], 0x4
	s_load_b64 s[10:11], s[0:1], 0x0
	s_add_co_i32 s6, s6, -1
	s_wait_xcnt 0x0
	s_add_nc_u64 s[4:5], s[4:5], 12
	s_cmp_lg_u32 s6, 0
	s_add_nc_u64 s[0:1], s[0:1], 8
	s_wait_kmcnt 0x0
	v_mul_hi_u32 v4, s13, v1
	s_delay_alu instid0(VALU_DEP_1) | instskip(NEXT) | instid1(VALU_DEP_1)
	v_add_nc_u32_e32 v4, v1, v4
	v_lshrrev_b32_e32 v4, s14, v4
	s_delay_alu instid0(VALU_DEP_1) | instskip(NEXT) | instid1(VALU_DEP_1)
	v_mul_lo_u32 v5, v4, s12
	v_sub_nc_u32_e32 v1, v1, v5
	s_delay_alu instid0(VALU_DEP_1)
	v_mad_u32 v3, v1, s11, v3
	v_mad_u32 v2, v1, s10, v2
	v_mov_b32_e32 v1, v4
	s_cbranch_scc1 .LBB29_26
.LBB29_27:
	s_and_not1_b32 vcc_lo, exec_lo, s8
	s_cbranch_vccnz .LBB29_30
; %bb.28:
	s_clause 0x1
	s_load_b96 s[4:6], s[2:3], 0x4
	s_load_b64 s[0:1], s[2:3], 0xc4
	s_cmp_lt_u32 s28, 2
	s_wait_kmcnt 0x0
	v_mul_hi_u32 v1, s5, v0
	s_delay_alu instid0(VALU_DEP_1) | instskip(NEXT) | instid1(VALU_DEP_1)
	v_add_nc_u32_e32 v1, v0, v1
	v_lshrrev_b32_e32 v1, s6, v1
	s_delay_alu instid0(VALU_DEP_1) | instskip(NEXT) | instid1(VALU_DEP_1)
	v_mul_lo_u32 v2, v1, s4
	v_sub_nc_u32_e32 v2, v0, v2
	s_delay_alu instid0(VALU_DEP_1)
	v_mul_lo_u32 v3, v2, s1
	v_mul_lo_u32 v2, v2, s0
	s_cbranch_scc1 .LBB29_30
; %bb.29:
	s_clause 0x1
	s_load_b96 s[4:6], s[2:3], 0x10
	s_load_b64 s[0:1], s[2:3], 0xcc
	s_wait_kmcnt 0x0
	v_mul_hi_u32 v4, s5, v1
	s_delay_alu instid0(VALU_DEP_1) | instskip(NEXT) | instid1(VALU_DEP_1)
	v_add_nc_u32_e32 v4, v1, v4
	v_lshrrev_b32_e32 v4, s6, v4
	s_delay_alu instid0(VALU_DEP_1) | instskip(NEXT) | instid1(VALU_DEP_1)
	v_mul_lo_u32 v4, v4, s4
	v_sub_nc_u32_e32 v1, v1, v4
	s_delay_alu instid0(VALU_DEP_1)
	v_mad_u32 v2, v1, s0, v2
	v_mad_u32 v3, v1, s1, v3
.LBB29_30:
	v_cmp_ne_u32_e32 vcc_lo, 1, v14
	v_add_nc_u32_e32 v1, 0x80, v0
	s_cbranch_vccnz .LBB29_36
; %bb.31:
	s_cmp_lg_u32 s28, 0
	s_mov_b32 s8, 0
	s_cbranch_scc0 .LBB29_37
; %bb.32:
	s_min_u32 s1, s29, 15
	s_delay_alu instid0(SALU_CYCLE_1)
	s_add_co_i32 s1, s1, 1
	s_cmp_eq_u32 s29, 2
	s_cbranch_scc1 .LBB29_38
; %bb.33:
	v_dual_mov_b32 v4, 0 :: v_dual_mov_b32 v5, 0
	v_mov_b32_e32 v6, v1
	s_and_b32 s0, s1, 28
	s_add_nc_u64 s[4:5], s[2:3], 0xc4
	s_mov_b32 s9, 0
	s_mov_b64 s[6:7], s[2:3]
.LBB29_34:                              ; =>This Inner Loop Header: Depth=1
	s_clause 0x1
	s_load_b256 s[12:19], s[6:7], 0x4
	s_load_b128 s[36:39], s[6:7], 0x24
	s_load_b256 s[20:27], s[4:5], 0x0
	s_add_co_i32 s9, s9, 4
	s_wait_xcnt 0x0
	s_add_nc_u64 s[6:7], s[6:7], 48
	s_cmp_lg_u32 s0, s9
	s_add_nc_u64 s[4:5], s[4:5], 32
	s_wait_kmcnt 0x0
	v_mul_hi_u32 v7, s13, v6
	s_delay_alu instid0(VALU_DEP_1) | instskip(NEXT) | instid1(VALU_DEP_1)
	v_add_nc_u32_e32 v7, v6, v7
	v_lshrrev_b32_e32 v7, s14, v7
	s_delay_alu instid0(VALU_DEP_1) | instskip(NEXT) | instid1(VALU_DEP_1)
	v_mul_hi_u32 v8, s16, v7
	v_add_nc_u32_e32 v8, v7, v8
	s_delay_alu instid0(VALU_DEP_1) | instskip(NEXT) | instid1(VALU_DEP_1)
	v_lshrrev_b32_e32 v8, s17, v8
	v_mul_hi_u32 v9, s19, v8
	s_delay_alu instid0(VALU_DEP_1) | instskip(SKIP_1) | instid1(VALU_DEP_1)
	v_add_nc_u32_e32 v9, v8, v9
	v_mul_lo_u32 v10, v7, s12
	v_sub_nc_u32_e32 v6, v6, v10
	v_mul_lo_u32 v10, v8, s15
	s_delay_alu instid0(VALU_DEP_4) | instskip(NEXT) | instid1(VALU_DEP_3)
	v_lshrrev_b32_e32 v9, s36, v9
	v_mad_u32 v5, v6, s21, v5
	v_mad_u32 v4, v6, s20, v4
	s_delay_alu instid0(VALU_DEP_4) | instskip(NEXT) | instid1(VALU_DEP_4)
	v_sub_nc_u32_e32 v6, v7, v10
	v_mul_hi_u32 v11, s38, v9
	v_mul_lo_u32 v7, v9, s18
	s_delay_alu instid0(VALU_DEP_3) | instskip(SKIP_1) | instid1(VALU_DEP_4)
	v_mad_u32 v5, v6, s23, v5
	v_mad_u32 v4, v6, s22, v4
	v_add_nc_u32_e32 v10, v9, v11
	s_delay_alu instid0(VALU_DEP_1) | instskip(NEXT) | instid1(VALU_DEP_1)
	v_dual_sub_nc_u32 v7, v8, v7 :: v_dual_lshrrev_b32 v6, s39, v10
	v_mad_u32 v5, v7, s25, v5
	s_delay_alu instid0(VALU_DEP_4) | instskip(NEXT) | instid1(VALU_DEP_3)
	v_mad_u32 v4, v7, s24, v4
	v_mul_lo_u32 v8, v6, s37
	s_delay_alu instid0(VALU_DEP_1) | instskip(NEXT) | instid1(VALU_DEP_1)
	v_sub_nc_u32_e32 v7, v9, v8
	v_mad_u32 v5, v7, s27, v5
	s_delay_alu instid0(VALU_DEP_4)
	v_mad_u32 v4, v7, s26, v4
	s_cbranch_scc1 .LBB29_34
; %bb.35:
	s_and_b32 s6, s1, 3
	s_mov_b32 s1, 0
	s_cmp_eq_u32 s6, 0
	s_cbranch_scc0 .LBB29_39
	s_branch .LBB29_41
.LBB29_36:
	s_mov_b32 s8, -1
                                        ; implicit-def: $vgpr5
	s_branch .LBB29_41
.LBB29_37:
	v_dual_mov_b32 v5, 0 :: v_dual_mov_b32 v4, 0
	s_branch .LBB29_41
.LBB29_38:
	v_mov_b64_e32 v[4:5], 0
	v_mov_b32_e32 v6, v1
	s_mov_b32 s0, 0
	s_and_b32 s6, s1, 3
	s_mov_b32 s1, 0
	s_cmp_eq_u32 s6, 0
	s_cbranch_scc1 .LBB29_41
.LBB29_39:
	s_lshl_b32 s4, s0, 3
	s_mov_b32 s5, s1
	s_mul_u64 s[10:11], s[0:1], 12
	s_add_nc_u64 s[4:5], s[2:3], s[4:5]
	s_delay_alu instid0(SALU_CYCLE_1)
	s_add_nc_u64 s[0:1], s[4:5], 0xc4
	s_add_nc_u64 s[4:5], s[2:3], s[10:11]
.LBB29_40:                              ; =>This Inner Loop Header: Depth=1
	s_load_b96 s[12:14], s[4:5], 0x4
	s_load_b64 s[10:11], s[0:1], 0x0
	s_add_co_i32 s6, s6, -1
	s_wait_xcnt 0x0
	s_add_nc_u64 s[4:5], s[4:5], 12
	s_cmp_lg_u32 s6, 0
	s_add_nc_u64 s[0:1], s[0:1], 8
	s_wait_kmcnt 0x0
	v_mul_hi_u32 v7, s13, v6
	s_delay_alu instid0(VALU_DEP_1) | instskip(NEXT) | instid1(VALU_DEP_1)
	v_add_nc_u32_e32 v7, v6, v7
	v_lshrrev_b32_e32 v7, s14, v7
	s_delay_alu instid0(VALU_DEP_1) | instskip(NEXT) | instid1(VALU_DEP_1)
	v_mul_lo_u32 v8, v7, s12
	v_sub_nc_u32_e32 v6, v6, v8
	s_delay_alu instid0(VALU_DEP_1)
	v_mad_u32 v5, v6, s11, v5
	v_mad_u32 v4, v6, s10, v4
	v_mov_b32_e32 v6, v7
	s_cbranch_scc1 .LBB29_40
.LBB29_41:
	s_and_not1_b32 vcc_lo, exec_lo, s8
	s_cbranch_vccnz .LBB29_44
; %bb.42:
	s_clause 0x1
	s_load_b96 s[4:6], s[2:3], 0x4
	s_load_b64 s[0:1], s[2:3], 0xc4
	s_cmp_lt_u32 s28, 2
	s_wait_kmcnt 0x0
	v_mul_hi_u32 v4, s5, v1
	s_delay_alu instid0(VALU_DEP_1) | instskip(NEXT) | instid1(VALU_DEP_1)
	v_add_nc_u32_e32 v4, v1, v4
	v_lshrrev_b32_e32 v6, s6, v4
	s_delay_alu instid0(VALU_DEP_1) | instskip(NEXT) | instid1(VALU_DEP_1)
	v_mul_lo_u32 v4, v6, s4
	v_sub_nc_u32_e32 v1, v1, v4
	s_delay_alu instid0(VALU_DEP_1)
	v_mul_lo_u32 v5, v1, s1
	v_mul_lo_u32 v4, v1, s0
	s_cbranch_scc1 .LBB29_44
; %bb.43:
	s_clause 0x1
	s_load_b96 s[4:6], s[2:3], 0x10
	s_load_b64 s[0:1], s[2:3], 0xcc
	s_wait_kmcnt 0x0
	v_mul_hi_u32 v1, s5, v6
	s_delay_alu instid0(VALU_DEP_1) | instskip(NEXT) | instid1(VALU_DEP_1)
	v_add_nc_u32_e32 v1, v6, v1
	v_lshrrev_b32_e32 v1, s6, v1
	s_delay_alu instid0(VALU_DEP_1) | instskip(NEXT) | instid1(VALU_DEP_1)
	v_mul_lo_u32 v1, v1, s4
	v_sub_nc_u32_e32 v1, v6, v1
	s_delay_alu instid0(VALU_DEP_1)
	v_mad_u32 v4, v1, s0, v4
	v_mad_u32 v5, v1, s1, v5
.LBB29_44:
	v_cmp_ne_u32_e32 vcc_lo, 1, v14
	v_add_nc_u32_e32 v1, 0x100, v0
	s_cbranch_vccnz .LBB29_50
; %bb.45:
	s_cmp_lg_u32 s28, 0
	s_mov_b32 s8, 0
	s_cbranch_scc0 .LBB29_51
; %bb.46:
	s_min_u32 s1, s29, 15
	s_delay_alu instid0(SALU_CYCLE_1)
	s_add_co_i32 s1, s1, 1
	s_cmp_eq_u32 s29, 2
	s_cbranch_scc1 .LBB29_52
; %bb.47:
	v_dual_mov_b32 v6, 0 :: v_dual_mov_b32 v7, 0
	v_mov_b32_e32 v8, v1
	s_and_b32 s0, s1, 28
	s_add_nc_u64 s[4:5], s[2:3], 0xc4
	s_mov_b32 s9, 0
	s_mov_b64 s[6:7], s[2:3]
.LBB29_48:                              ; =>This Inner Loop Header: Depth=1
	s_clause 0x1
	s_load_b256 s[12:19], s[6:7], 0x4
	s_load_b128 s[36:39], s[6:7], 0x24
	s_load_b256 s[20:27], s[4:5], 0x0
	s_add_co_i32 s9, s9, 4
	s_wait_xcnt 0x0
	s_add_nc_u64 s[6:7], s[6:7], 48
	s_cmp_lg_u32 s0, s9
	s_add_nc_u64 s[4:5], s[4:5], 32
	s_wait_kmcnt 0x0
	v_mul_hi_u32 v9, s13, v8
	s_delay_alu instid0(VALU_DEP_1) | instskip(NEXT) | instid1(VALU_DEP_1)
	v_add_nc_u32_e32 v9, v8, v9
	v_lshrrev_b32_e32 v9, s14, v9
	s_delay_alu instid0(VALU_DEP_1) | instskip(NEXT) | instid1(VALU_DEP_1)
	v_mul_hi_u32 v10, s16, v9
	v_add_nc_u32_e32 v10, v9, v10
	s_delay_alu instid0(VALU_DEP_1) | instskip(NEXT) | instid1(VALU_DEP_1)
	v_lshrrev_b32_e32 v10, s17, v10
	v_mul_hi_u32 v11, s19, v10
	s_delay_alu instid0(VALU_DEP_1) | instskip(SKIP_1) | instid1(VALU_DEP_1)
	v_add_nc_u32_e32 v11, v10, v11
	v_mul_lo_u32 v12, v9, s12
	v_sub_nc_u32_e32 v8, v8, v12
	v_mul_lo_u32 v12, v10, s15
	s_delay_alu instid0(VALU_DEP_4) | instskip(NEXT) | instid1(VALU_DEP_3)
	v_lshrrev_b32_e32 v11, s36, v11
	v_mad_u32 v7, v8, s21, v7
	v_mad_u32 v6, v8, s20, v6
	s_delay_alu instid0(VALU_DEP_4) | instskip(NEXT) | instid1(VALU_DEP_4)
	v_sub_nc_u32_e32 v8, v9, v12
	v_mul_hi_u32 v13, s38, v11
	v_mul_lo_u32 v9, v11, s18
	s_delay_alu instid0(VALU_DEP_3) | instskip(SKIP_1) | instid1(VALU_DEP_4)
	v_mad_u32 v7, v8, s23, v7
	v_mad_u32 v6, v8, s22, v6
	v_add_nc_u32_e32 v12, v11, v13
	s_delay_alu instid0(VALU_DEP_1) | instskip(NEXT) | instid1(VALU_DEP_1)
	v_dual_sub_nc_u32 v9, v10, v9 :: v_dual_lshrrev_b32 v8, s39, v12
	v_mad_u32 v7, v9, s25, v7
	s_delay_alu instid0(VALU_DEP_4) | instskip(NEXT) | instid1(VALU_DEP_3)
	v_mad_u32 v6, v9, s24, v6
	v_mul_lo_u32 v10, v8, s37
	s_delay_alu instid0(VALU_DEP_1) | instskip(NEXT) | instid1(VALU_DEP_1)
	v_sub_nc_u32_e32 v9, v11, v10
	v_mad_u32 v7, v9, s27, v7
	s_delay_alu instid0(VALU_DEP_4)
	v_mad_u32 v6, v9, s26, v6
	s_cbranch_scc1 .LBB29_48
; %bb.49:
	s_and_b32 s6, s1, 3
	s_mov_b32 s1, 0
	s_cmp_eq_u32 s6, 0
	s_cbranch_scc0 .LBB29_53
	s_branch .LBB29_55
.LBB29_50:
	s_mov_b32 s8, -1
                                        ; implicit-def: $vgpr7
	s_branch .LBB29_55
.LBB29_51:
	v_dual_mov_b32 v7, 0 :: v_dual_mov_b32 v6, 0
	s_branch .LBB29_55
.LBB29_52:
	v_mov_b64_e32 v[6:7], 0
	v_mov_b32_e32 v8, v1
	s_mov_b32 s0, 0
	s_and_b32 s6, s1, 3
	s_mov_b32 s1, 0
	s_cmp_eq_u32 s6, 0
	s_cbranch_scc1 .LBB29_55
.LBB29_53:
	s_lshl_b32 s4, s0, 3
	s_mov_b32 s5, s1
	s_mul_u64 s[10:11], s[0:1], 12
	s_add_nc_u64 s[4:5], s[2:3], s[4:5]
	s_delay_alu instid0(SALU_CYCLE_1)
	s_add_nc_u64 s[0:1], s[4:5], 0xc4
	s_add_nc_u64 s[4:5], s[2:3], s[10:11]
.LBB29_54:                              ; =>This Inner Loop Header: Depth=1
	s_load_b96 s[12:14], s[4:5], 0x4
	s_load_b64 s[10:11], s[0:1], 0x0
	s_add_co_i32 s6, s6, -1
	s_wait_xcnt 0x0
	s_add_nc_u64 s[4:5], s[4:5], 12
	s_cmp_lg_u32 s6, 0
	s_add_nc_u64 s[0:1], s[0:1], 8
	s_wait_kmcnt 0x0
	v_mul_hi_u32 v9, s13, v8
	s_delay_alu instid0(VALU_DEP_1) | instskip(NEXT) | instid1(VALU_DEP_1)
	v_add_nc_u32_e32 v9, v8, v9
	v_lshrrev_b32_e32 v9, s14, v9
	s_delay_alu instid0(VALU_DEP_1) | instskip(NEXT) | instid1(VALU_DEP_1)
	v_mul_lo_u32 v10, v9, s12
	v_sub_nc_u32_e32 v8, v8, v10
	s_delay_alu instid0(VALU_DEP_1)
	v_mad_u32 v7, v8, s11, v7
	v_mad_u32 v6, v8, s10, v6
	v_mov_b32_e32 v8, v9
	s_cbranch_scc1 .LBB29_54
.LBB29_55:
	s_and_not1_b32 vcc_lo, exec_lo, s8
	s_cbranch_vccnz .LBB29_58
; %bb.56:
	s_clause 0x1
	s_load_b96 s[4:6], s[2:3], 0x4
	s_load_b64 s[0:1], s[2:3], 0xc4
	s_cmp_lt_u32 s28, 2
	s_wait_kmcnt 0x0
	v_mul_hi_u32 v6, s5, v1
	s_delay_alu instid0(VALU_DEP_1) | instskip(NEXT) | instid1(VALU_DEP_1)
	v_add_nc_u32_e32 v6, v1, v6
	v_lshrrev_b32_e32 v8, s6, v6
	s_delay_alu instid0(VALU_DEP_1) | instskip(NEXT) | instid1(VALU_DEP_1)
	v_mul_lo_u32 v6, v8, s4
	v_sub_nc_u32_e32 v1, v1, v6
	s_delay_alu instid0(VALU_DEP_1)
	v_mul_lo_u32 v7, v1, s1
	v_mul_lo_u32 v6, v1, s0
	s_cbranch_scc1 .LBB29_58
; %bb.57:
	s_clause 0x1
	s_load_b96 s[4:6], s[2:3], 0x10
	s_load_b64 s[0:1], s[2:3], 0xcc
	s_wait_kmcnt 0x0
	v_mul_hi_u32 v1, s5, v8
	s_delay_alu instid0(VALU_DEP_1) | instskip(NEXT) | instid1(VALU_DEP_1)
	v_add_nc_u32_e32 v1, v8, v1
	v_lshrrev_b32_e32 v1, s6, v1
	s_delay_alu instid0(VALU_DEP_1) | instskip(NEXT) | instid1(VALU_DEP_1)
	v_mul_lo_u32 v1, v1, s4
	v_sub_nc_u32_e32 v1, v8, v1
	s_delay_alu instid0(VALU_DEP_1)
	v_mad_u32 v6, v1, s0, v6
	v_mad_u32 v7, v1, s1, v7
.LBB29_58:
	v_cmp_ne_u32_e32 vcc_lo, 1, v14
	v_add_nc_u32_e32 v1, 0x180, v0
	s_cbranch_vccnz .LBB29_64
; %bb.59:
	s_cmp_lg_u32 s28, 0
	s_mov_b32 s8, 0
	s_cbranch_scc0 .LBB29_65
; %bb.60:
	s_min_u32 s1, s29, 15
	s_delay_alu instid0(SALU_CYCLE_1)
	s_add_co_i32 s1, s1, 1
	s_cmp_eq_u32 s29, 2
	s_cbranch_scc1 .LBB29_66
; %bb.61:
	v_dual_mov_b32 v8, 0 :: v_dual_mov_b32 v9, 0
	v_mov_b32_e32 v10, v1
	s_and_b32 s0, s1, 28
	s_add_nc_u64 s[4:5], s[2:3], 0xc4
	s_mov_b32 s9, 0
	s_mov_b64 s[6:7], s[2:3]
.LBB29_62:                              ; =>This Inner Loop Header: Depth=1
	s_clause 0x1
	s_load_b256 s[12:19], s[6:7], 0x4
	s_load_b128 s[36:39], s[6:7], 0x24
	s_load_b256 s[20:27], s[4:5], 0x0
	s_add_co_i32 s9, s9, 4
	s_wait_xcnt 0x0
	s_add_nc_u64 s[6:7], s[6:7], 48
	s_cmp_lg_u32 s0, s9
	s_add_nc_u64 s[4:5], s[4:5], 32
	s_wait_kmcnt 0x0
	v_mul_hi_u32 v11, s13, v10
	s_delay_alu instid0(VALU_DEP_1) | instskip(NEXT) | instid1(VALU_DEP_1)
	v_add_nc_u32_e32 v11, v10, v11
	v_lshrrev_b32_e32 v11, s14, v11
	s_delay_alu instid0(VALU_DEP_1) | instskip(NEXT) | instid1(VALU_DEP_1)
	v_mul_hi_u32 v12, s16, v11
	v_add_nc_u32_e32 v12, v11, v12
	s_delay_alu instid0(VALU_DEP_1) | instskip(NEXT) | instid1(VALU_DEP_1)
	v_lshrrev_b32_e32 v12, s17, v12
	v_mul_hi_u32 v13, s19, v12
	s_delay_alu instid0(VALU_DEP_1) | instskip(SKIP_1) | instid1(VALU_DEP_1)
	v_add_nc_u32_e32 v13, v12, v13
	v_mul_lo_u32 v15, v11, s12
	v_sub_nc_u32_e32 v10, v10, v15
	v_mul_lo_u32 v15, v12, s15
	s_delay_alu instid0(VALU_DEP_4) | instskip(NEXT) | instid1(VALU_DEP_3)
	v_lshrrev_b32_e32 v13, s36, v13
	v_mad_u32 v9, v10, s21, v9
	v_mad_u32 v8, v10, s20, v8
	s_delay_alu instid0(VALU_DEP_4) | instskip(NEXT) | instid1(VALU_DEP_4)
	v_sub_nc_u32_e32 v10, v11, v15
	v_mul_hi_u32 v17, s38, v13
	v_mul_lo_u32 v11, v13, s18
	s_delay_alu instid0(VALU_DEP_3) | instskip(SKIP_1) | instid1(VALU_DEP_3)
	v_mad_u32 v9, v10, s23, v9
	v_mad_u32 v8, v10, s22, v8
	v_dual_add_nc_u32 v15, v13, v17 :: v_dual_sub_nc_u32 v11, v12, v11
	s_delay_alu instid0(VALU_DEP_1) | instskip(NEXT) | instid1(VALU_DEP_2)
	v_lshrrev_b32_e32 v10, s39, v15
	v_mad_u32 v9, v11, s25, v9
	s_delay_alu instid0(VALU_DEP_4) | instskip(NEXT) | instid1(VALU_DEP_3)
	v_mad_u32 v8, v11, s24, v8
	v_mul_lo_u32 v12, v10, s37
	s_delay_alu instid0(VALU_DEP_1) | instskip(NEXT) | instid1(VALU_DEP_1)
	v_sub_nc_u32_e32 v11, v13, v12
	v_mad_u32 v9, v11, s27, v9
	s_delay_alu instid0(VALU_DEP_4)
	v_mad_u32 v8, v11, s26, v8
	s_cbranch_scc1 .LBB29_62
; %bb.63:
	s_and_b32 s6, s1, 3
	s_mov_b32 s1, 0
	s_cmp_eq_u32 s6, 0
	s_cbranch_scc0 .LBB29_67
	s_branch .LBB29_69
.LBB29_64:
	s_mov_b32 s8, -1
                                        ; implicit-def: $vgpr9
	s_branch .LBB29_69
.LBB29_65:
	v_dual_mov_b32 v9, 0 :: v_dual_mov_b32 v8, 0
	s_branch .LBB29_69
.LBB29_66:
	v_mov_b64_e32 v[8:9], 0
	v_mov_b32_e32 v10, v1
	s_mov_b32 s0, 0
	s_and_b32 s6, s1, 3
	s_mov_b32 s1, 0
	s_cmp_eq_u32 s6, 0
	s_cbranch_scc1 .LBB29_69
.LBB29_67:
	s_lshl_b32 s4, s0, 3
	s_mov_b32 s5, s1
	s_mul_u64 s[10:11], s[0:1], 12
	s_add_nc_u64 s[4:5], s[2:3], s[4:5]
	s_delay_alu instid0(SALU_CYCLE_1)
	s_add_nc_u64 s[0:1], s[4:5], 0xc4
	s_add_nc_u64 s[4:5], s[2:3], s[10:11]
.LBB29_68:                              ; =>This Inner Loop Header: Depth=1
	s_load_b96 s[12:14], s[4:5], 0x4
	s_load_b64 s[10:11], s[0:1], 0x0
	s_add_co_i32 s6, s6, -1
	s_wait_xcnt 0x0
	s_add_nc_u64 s[4:5], s[4:5], 12
	s_cmp_lg_u32 s6, 0
	s_add_nc_u64 s[0:1], s[0:1], 8
	s_wait_kmcnt 0x0
	v_mul_hi_u32 v11, s13, v10
	s_delay_alu instid0(VALU_DEP_1) | instskip(NEXT) | instid1(VALU_DEP_1)
	v_add_nc_u32_e32 v11, v10, v11
	v_lshrrev_b32_e32 v11, s14, v11
	s_delay_alu instid0(VALU_DEP_1) | instskip(NEXT) | instid1(VALU_DEP_1)
	v_mul_lo_u32 v12, v11, s12
	v_sub_nc_u32_e32 v10, v10, v12
	s_delay_alu instid0(VALU_DEP_1)
	v_mad_u32 v9, v10, s11, v9
	v_mad_u32 v8, v10, s10, v8
	v_mov_b32_e32 v10, v11
	s_cbranch_scc1 .LBB29_68
.LBB29_69:
	s_and_not1_b32 vcc_lo, exec_lo, s8
	s_cbranch_vccnz .LBB29_72
; %bb.70:
	s_clause 0x1
	s_load_b96 s[4:6], s[2:3], 0x4
	s_load_b64 s[0:1], s[2:3], 0xc4
	s_cmp_lt_u32 s28, 2
	s_wait_kmcnt 0x0
	v_mul_hi_u32 v8, s5, v1
	s_delay_alu instid0(VALU_DEP_1) | instskip(NEXT) | instid1(VALU_DEP_1)
	v_add_nc_u32_e32 v8, v1, v8
	v_lshrrev_b32_e32 v10, s6, v8
	s_delay_alu instid0(VALU_DEP_1) | instskip(NEXT) | instid1(VALU_DEP_1)
	v_mul_lo_u32 v8, v10, s4
	v_sub_nc_u32_e32 v1, v1, v8
	s_delay_alu instid0(VALU_DEP_1)
	v_mul_lo_u32 v9, v1, s1
	v_mul_lo_u32 v8, v1, s0
	s_cbranch_scc1 .LBB29_72
; %bb.71:
	s_clause 0x1
	s_load_b96 s[4:6], s[2:3], 0x10
	s_load_b64 s[0:1], s[2:3], 0xcc
	s_wait_kmcnt 0x0
	v_mul_hi_u32 v1, s5, v10
	s_delay_alu instid0(VALU_DEP_1) | instskip(NEXT) | instid1(VALU_DEP_1)
	v_add_nc_u32_e32 v1, v10, v1
	v_lshrrev_b32_e32 v1, s6, v1
	s_delay_alu instid0(VALU_DEP_1) | instskip(NEXT) | instid1(VALU_DEP_1)
	v_mul_lo_u32 v1, v1, s4
	v_sub_nc_u32_e32 v1, v10, v1
	s_delay_alu instid0(VALU_DEP_1)
	v_mad_u32 v8, v1, s0, v8
	v_mad_u32 v9, v1, s1, v9
.LBB29_72:
	v_cmp_ne_u32_e32 vcc_lo, 1, v14
	v_add_nc_u32_e32 v1, 0x200, v0
	s_cbranch_vccnz .LBB29_78
; %bb.73:
	s_cmp_lg_u32 s28, 0
	s_mov_b32 s8, 0
	s_cbranch_scc0 .LBB29_79
; %bb.74:
	s_min_u32 s1, s29, 15
	s_delay_alu instid0(SALU_CYCLE_1)
	s_add_co_i32 s1, s1, 1
	s_cmp_eq_u32 s29, 2
	s_cbranch_scc1 .LBB29_80
; %bb.75:
	v_dual_mov_b32 v10, 0 :: v_dual_mov_b32 v11, 0
	v_mov_b32_e32 v12, v1
	s_and_b32 s0, s1, 28
	s_add_nc_u64 s[4:5], s[2:3], 0xc4
	s_mov_b32 s9, 0
	s_mov_b64 s[6:7], s[2:3]
.LBB29_76:                              ; =>This Inner Loop Header: Depth=1
	s_clause 0x1
	s_load_b256 s[12:19], s[6:7], 0x4
	s_load_b128 s[36:39], s[6:7], 0x24
	s_load_b256 s[20:27], s[4:5], 0x0
	s_add_co_i32 s9, s9, 4
	s_wait_xcnt 0x0
	s_add_nc_u64 s[6:7], s[6:7], 48
	s_cmp_lg_u32 s0, s9
	s_add_nc_u64 s[4:5], s[4:5], 32
	s_wait_kmcnt 0x0
	v_mul_hi_u32 v13, s13, v12
	s_delay_alu instid0(VALU_DEP_1) | instskip(NEXT) | instid1(VALU_DEP_1)
	v_add_nc_u32_e32 v13, v12, v13
	v_lshrrev_b32_e32 v13, s14, v13
	s_delay_alu instid0(VALU_DEP_1) | instskip(NEXT) | instid1(VALU_DEP_1)
	v_mul_lo_u32 v18, v13, s12
	v_sub_nc_u32_e32 v12, v12, v18
	v_mul_hi_u32 v15, s16, v13
	s_delay_alu instid0(VALU_DEP_2) | instskip(SKIP_1) | instid1(VALU_DEP_3)
	v_mad_u32 v11, v12, s21, v11
	v_mad_u32 v10, v12, s20, v10
	v_add_nc_u32_e32 v15, v13, v15
	s_delay_alu instid0(VALU_DEP_1) | instskip(NEXT) | instid1(VALU_DEP_1)
	v_lshrrev_b32_e32 v15, s17, v15
	v_mul_hi_u32 v17, s19, v15
	v_mul_lo_u32 v18, v15, s15
	s_delay_alu instid0(VALU_DEP_1) | instskip(NEXT) | instid1(VALU_DEP_1)
	v_dual_add_nc_u32 v17, v15, v17 :: v_dual_sub_nc_u32 v12, v13, v18
	v_lshrrev_b32_e32 v17, s36, v17
	s_delay_alu instid0(VALU_DEP_2) | instskip(SKIP_1) | instid1(VALU_DEP_3)
	v_mad_u32 v11, v12, s23, v11
	v_mad_u32 v10, v12, s22, v10
	v_mul_hi_u32 v19, s38, v17
	v_mul_lo_u32 v13, v17, s18
	s_delay_alu instid0(VALU_DEP_1) | instskip(NEXT) | instid1(VALU_DEP_1)
	v_dual_add_nc_u32 v18, v17, v19 :: v_dual_sub_nc_u32 v13, v15, v13
	v_lshrrev_b32_e32 v12, s39, v18
	s_delay_alu instid0(VALU_DEP_2) | instskip(SKIP_1) | instid1(VALU_DEP_3)
	v_mad_u32 v11, v13, s25, v11
	v_mad_u32 v10, v13, s24, v10
	v_mul_lo_u32 v15, v12, s37
	s_delay_alu instid0(VALU_DEP_1) | instskip(NEXT) | instid1(VALU_DEP_1)
	v_sub_nc_u32_e32 v13, v17, v15
	v_mad_u32 v11, v13, s27, v11
	s_delay_alu instid0(VALU_DEP_4)
	v_mad_u32 v10, v13, s26, v10
	s_cbranch_scc1 .LBB29_76
; %bb.77:
	s_and_b32 s6, s1, 3
	s_mov_b32 s1, 0
	s_cmp_eq_u32 s6, 0
	s_cbranch_scc0 .LBB29_81
	s_branch .LBB29_83
.LBB29_78:
	s_mov_b32 s8, -1
                                        ; implicit-def: $vgpr11
	s_branch .LBB29_83
.LBB29_79:
	v_dual_mov_b32 v11, 0 :: v_dual_mov_b32 v10, 0
	s_branch .LBB29_83
.LBB29_80:
	v_mov_b64_e32 v[10:11], 0
	v_mov_b32_e32 v12, v1
	s_mov_b32 s0, 0
	s_and_b32 s6, s1, 3
	s_mov_b32 s1, 0
	s_cmp_eq_u32 s6, 0
	s_cbranch_scc1 .LBB29_83
.LBB29_81:
	s_lshl_b32 s4, s0, 3
	s_mov_b32 s5, s1
	s_mul_u64 s[10:11], s[0:1], 12
	s_add_nc_u64 s[4:5], s[2:3], s[4:5]
	s_delay_alu instid0(SALU_CYCLE_1)
	s_add_nc_u64 s[0:1], s[4:5], 0xc4
	s_add_nc_u64 s[4:5], s[2:3], s[10:11]
.LBB29_82:                              ; =>This Inner Loop Header: Depth=1
	s_load_b96 s[12:14], s[4:5], 0x4
	s_load_b64 s[10:11], s[0:1], 0x0
	s_add_co_i32 s6, s6, -1
	s_wait_xcnt 0x0
	s_add_nc_u64 s[4:5], s[4:5], 12
	s_cmp_lg_u32 s6, 0
	s_add_nc_u64 s[0:1], s[0:1], 8
	s_wait_kmcnt 0x0
	v_mul_hi_u32 v13, s13, v12
	s_delay_alu instid0(VALU_DEP_1) | instskip(NEXT) | instid1(VALU_DEP_1)
	v_add_nc_u32_e32 v13, v12, v13
	v_lshrrev_b32_e32 v13, s14, v13
	s_delay_alu instid0(VALU_DEP_1) | instskip(NEXT) | instid1(VALU_DEP_1)
	v_mul_lo_u32 v15, v13, s12
	v_sub_nc_u32_e32 v12, v12, v15
	s_delay_alu instid0(VALU_DEP_1)
	v_mad_u32 v11, v12, s11, v11
	v_mad_u32 v10, v12, s10, v10
	v_mov_b32_e32 v12, v13
	s_cbranch_scc1 .LBB29_82
.LBB29_83:
	s_and_not1_b32 vcc_lo, exec_lo, s8
	s_cbranch_vccnz .LBB29_86
; %bb.84:
	s_clause 0x1
	s_load_b96 s[4:6], s[2:3], 0x4
	s_load_b64 s[0:1], s[2:3], 0xc4
	s_cmp_lt_u32 s28, 2
	s_wait_kmcnt 0x0
	v_mul_hi_u32 v10, s5, v1
	s_delay_alu instid0(VALU_DEP_1) | instskip(NEXT) | instid1(VALU_DEP_1)
	v_add_nc_u32_e32 v10, v1, v10
	v_lshrrev_b32_e32 v12, s6, v10
	s_delay_alu instid0(VALU_DEP_1) | instskip(NEXT) | instid1(VALU_DEP_1)
	v_mul_lo_u32 v10, v12, s4
	v_sub_nc_u32_e32 v1, v1, v10
	s_delay_alu instid0(VALU_DEP_1)
	v_mul_lo_u32 v11, v1, s1
	v_mul_lo_u32 v10, v1, s0
	s_cbranch_scc1 .LBB29_86
; %bb.85:
	s_clause 0x1
	s_load_b96 s[4:6], s[2:3], 0x10
	s_load_b64 s[0:1], s[2:3], 0xcc
	s_wait_kmcnt 0x0
	v_mul_hi_u32 v1, s5, v12
	s_delay_alu instid0(VALU_DEP_1) | instskip(NEXT) | instid1(VALU_DEP_1)
	v_add_nc_u32_e32 v1, v12, v1
	v_lshrrev_b32_e32 v1, s6, v1
	s_delay_alu instid0(VALU_DEP_1) | instskip(NEXT) | instid1(VALU_DEP_1)
	v_mul_lo_u32 v1, v1, s4
	v_sub_nc_u32_e32 v1, v12, v1
	s_delay_alu instid0(VALU_DEP_1)
	v_mad_u32 v10, v1, s0, v10
	v_mad_u32 v11, v1, s1, v11
.LBB29_86:
	v_cmp_ne_u32_e32 vcc_lo, 1, v14
	v_add_nc_u32_e32 v1, 0x280, v0
	s_cbranch_vccnz .LBB29_92
; %bb.87:
	s_cmp_lg_u32 s28, 0
	s_mov_b32 s8, 0
	s_cbranch_scc0 .LBB29_93
; %bb.88:
	s_min_u32 s1, s29, 15
	s_delay_alu instid0(SALU_CYCLE_1)
	s_add_co_i32 s1, s1, 1
	s_cmp_eq_u32 s29, 2
	s_cbranch_scc1 .LBB29_94
; %bb.89:
	v_dual_mov_b32 v12, 0 :: v_dual_mov_b32 v13, 0
	v_mov_b32_e32 v15, v1
	s_and_b32 s0, s1, 28
	s_add_nc_u64 s[4:5], s[2:3], 0xc4
	s_mov_b32 s9, 0
	s_mov_b64 s[6:7], s[2:3]
.LBB29_90:                              ; =>This Inner Loop Header: Depth=1
	s_clause 0x1
	s_load_b256 s[12:19], s[6:7], 0x4
	s_load_b128 s[36:39], s[6:7], 0x24
	s_load_b256 s[20:27], s[4:5], 0x0
	s_add_co_i32 s9, s9, 4
	s_wait_xcnt 0x0
	s_add_nc_u64 s[6:7], s[6:7], 48
	s_cmp_lg_u32 s0, s9
	s_add_nc_u64 s[4:5], s[4:5], 32
	s_wait_kmcnt 0x0
	v_mul_hi_u32 v17, s13, v15
	s_delay_alu instid0(VALU_DEP_1) | instskip(NEXT) | instid1(VALU_DEP_1)
	v_add_nc_u32_e32 v17, v15, v17
	v_lshrrev_b32_e32 v17, s14, v17
	s_delay_alu instid0(VALU_DEP_1) | instskip(NEXT) | instid1(VALU_DEP_1)
	v_mul_hi_u32 v18, s16, v17
	v_add_nc_u32_e32 v18, v17, v18
	s_delay_alu instid0(VALU_DEP_1) | instskip(NEXT) | instid1(VALU_DEP_1)
	v_lshrrev_b32_e32 v18, s17, v18
	v_mul_hi_u32 v19, s19, v18
	s_delay_alu instid0(VALU_DEP_1) | instskip(SKIP_1) | instid1(VALU_DEP_1)
	v_add_nc_u32_e32 v19, v18, v19
	v_mul_lo_u32 v20, v17, s12
	v_sub_nc_u32_e32 v15, v15, v20
	v_mul_lo_u32 v20, v18, s15
	s_delay_alu instid0(VALU_DEP_4) | instskip(NEXT) | instid1(VALU_DEP_3)
	v_lshrrev_b32_e32 v19, s36, v19
	v_mad_u32 v13, v15, s21, v13
	v_mad_u32 v12, v15, s20, v12
	s_delay_alu instid0(VALU_DEP_4) | instskip(NEXT) | instid1(VALU_DEP_4)
	v_sub_nc_u32_e32 v15, v17, v20
	v_mul_hi_u32 v21, s38, v19
	v_mul_lo_u32 v17, v19, s18
	s_delay_alu instid0(VALU_DEP_3) | instskip(SKIP_1) | instid1(VALU_DEP_4)
	v_mad_u32 v13, v15, s23, v13
	v_mad_u32 v12, v15, s22, v12
	v_add_nc_u32_e32 v20, v19, v21
	s_delay_alu instid0(VALU_DEP_1) | instskip(NEXT) | instid1(VALU_DEP_1)
	v_dual_sub_nc_u32 v17, v18, v17 :: v_dual_lshrrev_b32 v15, s39, v20
	v_mad_u32 v13, v17, s25, v13
	s_delay_alu instid0(VALU_DEP_4) | instskip(NEXT) | instid1(VALU_DEP_3)
	v_mad_u32 v12, v17, s24, v12
	v_mul_lo_u32 v18, v15, s37
	s_delay_alu instid0(VALU_DEP_1) | instskip(NEXT) | instid1(VALU_DEP_1)
	v_sub_nc_u32_e32 v17, v19, v18
	v_mad_u32 v13, v17, s27, v13
	s_delay_alu instid0(VALU_DEP_4)
	v_mad_u32 v12, v17, s26, v12
	s_cbranch_scc1 .LBB29_90
; %bb.91:
	s_and_b32 s6, s1, 3
	s_mov_b32 s1, 0
	s_cmp_eq_u32 s6, 0
	s_cbranch_scc0 .LBB29_95
	s_branch .LBB29_97
.LBB29_92:
	s_mov_b32 s8, -1
                                        ; implicit-def: $vgpr13
	s_branch .LBB29_97
.LBB29_93:
	v_dual_mov_b32 v13, 0 :: v_dual_mov_b32 v12, 0
	s_branch .LBB29_97
.LBB29_94:
	v_mov_b64_e32 v[12:13], 0
	v_mov_b32_e32 v15, v1
	s_mov_b32 s0, 0
	s_and_b32 s6, s1, 3
	s_mov_b32 s1, 0
	s_cmp_eq_u32 s6, 0
	s_cbranch_scc1 .LBB29_97
.LBB29_95:
	s_lshl_b32 s4, s0, 3
	s_mov_b32 s5, s1
	s_mul_u64 s[10:11], s[0:1], 12
	s_add_nc_u64 s[4:5], s[2:3], s[4:5]
	s_delay_alu instid0(SALU_CYCLE_1)
	s_add_nc_u64 s[0:1], s[4:5], 0xc4
	s_add_nc_u64 s[4:5], s[2:3], s[10:11]
.LBB29_96:                              ; =>This Inner Loop Header: Depth=1
	s_load_b96 s[12:14], s[4:5], 0x4
	s_load_b64 s[10:11], s[0:1], 0x0
	s_add_co_i32 s6, s6, -1
	s_wait_xcnt 0x0
	s_add_nc_u64 s[4:5], s[4:5], 12
	s_cmp_lg_u32 s6, 0
	s_add_nc_u64 s[0:1], s[0:1], 8
	s_wait_kmcnt 0x0
	v_mul_hi_u32 v17, s13, v15
	s_delay_alu instid0(VALU_DEP_1) | instskip(NEXT) | instid1(VALU_DEP_1)
	v_add_nc_u32_e32 v17, v15, v17
	v_lshrrev_b32_e32 v17, s14, v17
	s_delay_alu instid0(VALU_DEP_1) | instskip(NEXT) | instid1(VALU_DEP_1)
	v_mul_lo_u32 v18, v17, s12
	v_sub_nc_u32_e32 v15, v15, v18
	s_delay_alu instid0(VALU_DEP_1)
	v_mad_u32 v13, v15, s11, v13
	v_mad_u32 v12, v15, s10, v12
	v_mov_b32_e32 v15, v17
	s_cbranch_scc1 .LBB29_96
.LBB29_97:
	s_and_not1_b32 vcc_lo, exec_lo, s8
	s_cbranch_vccnz .LBB29_100
; %bb.98:
	s_clause 0x1
	s_load_b96 s[4:6], s[2:3], 0x4
	s_load_b64 s[0:1], s[2:3], 0xc4
	s_cmp_lt_u32 s28, 2
	s_wait_kmcnt 0x0
	v_mul_hi_u32 v12, s5, v1
	s_delay_alu instid0(VALU_DEP_1) | instskip(NEXT) | instid1(VALU_DEP_1)
	v_add_nc_u32_e32 v12, v1, v12
	v_lshrrev_b32_e32 v15, s6, v12
	s_delay_alu instid0(VALU_DEP_1) | instskip(NEXT) | instid1(VALU_DEP_1)
	v_mul_lo_u32 v12, v15, s4
	v_sub_nc_u32_e32 v1, v1, v12
	s_delay_alu instid0(VALU_DEP_1)
	v_mul_lo_u32 v13, v1, s1
	v_mul_lo_u32 v12, v1, s0
	s_cbranch_scc1 .LBB29_100
; %bb.99:
	s_clause 0x1
	s_load_b96 s[4:6], s[2:3], 0x10
	s_load_b64 s[0:1], s[2:3], 0xcc
	s_wait_kmcnt 0x0
	v_mul_hi_u32 v1, s5, v15
	s_delay_alu instid0(VALU_DEP_1) | instskip(NEXT) | instid1(VALU_DEP_1)
	v_add_nc_u32_e32 v1, v15, v1
	v_lshrrev_b32_e32 v1, s6, v1
	s_delay_alu instid0(VALU_DEP_1) | instskip(NEXT) | instid1(VALU_DEP_1)
	v_mul_lo_u32 v1, v1, s4
	v_sub_nc_u32_e32 v1, v15, v1
	s_delay_alu instid0(VALU_DEP_1)
	v_mad_u32 v12, v1, s0, v12
	v_mad_u32 v13, v1, s1, v13
.LBB29_100:
	v_cmp_ne_u32_e32 vcc_lo, 1, v14
	v_add_nc_u32_e32 v15, 0x300, v0
	s_cbranch_vccnz .LBB29_106
; %bb.101:
	s_cmp_lg_u32 s28, 0
	s_mov_b32 s8, 0
	s_cbranch_scc0 .LBB29_107
; %bb.102:
	s_min_u32 s1, s29, 15
	s_delay_alu instid0(SALU_CYCLE_1)
	s_add_co_i32 s1, s1, 1
	s_cmp_eq_u32 s29, 2
	s_cbranch_scc1 .LBB29_108
; %bb.103:
	v_dual_mov_b32 v0, 0 :: v_dual_mov_b32 v1, 0
	v_mov_b32_e32 v17, v15
	s_and_b32 s0, s1, 28
	s_add_nc_u64 s[4:5], s[2:3], 0xc4
	s_mov_b32 s9, 0
	s_mov_b64 s[6:7], s[2:3]
.LBB29_104:                             ; =>This Inner Loop Header: Depth=1
	s_clause 0x1
	s_load_b256 s[12:19], s[6:7], 0x4
	s_load_b128 s[36:39], s[6:7], 0x24
	s_load_b256 s[20:27], s[4:5], 0x0
	s_add_co_i32 s9, s9, 4
	s_wait_xcnt 0x0
	s_add_nc_u64 s[6:7], s[6:7], 48
	s_cmp_lg_u32 s0, s9
	s_add_nc_u64 s[4:5], s[4:5], 32
	s_wait_kmcnt 0x0
	v_mul_hi_u32 v18, s13, v17
	s_delay_alu instid0(VALU_DEP_1) | instskip(NEXT) | instid1(VALU_DEP_1)
	v_add_nc_u32_e32 v18, v17, v18
	v_lshrrev_b32_e32 v18, s14, v18
	s_delay_alu instid0(VALU_DEP_1) | instskip(NEXT) | instid1(VALU_DEP_1)
	v_mul_hi_u32 v19, s16, v18
	v_add_nc_u32_e32 v19, v18, v19
	s_delay_alu instid0(VALU_DEP_1) | instskip(NEXT) | instid1(VALU_DEP_1)
	v_lshrrev_b32_e32 v19, s17, v19
	v_mul_hi_u32 v20, s19, v19
	s_delay_alu instid0(VALU_DEP_1) | instskip(SKIP_1) | instid1(VALU_DEP_1)
	v_add_nc_u32_e32 v20, v19, v20
	v_mul_lo_u32 v21, v18, s12
	v_sub_nc_u32_e32 v17, v17, v21
	v_mul_lo_u32 v21, v19, s15
	s_delay_alu instid0(VALU_DEP_4) | instskip(NEXT) | instid1(VALU_DEP_3)
	v_lshrrev_b32_e32 v20, s36, v20
	v_mad_u32 v1, v17, s21, v1
	v_mad_u32 v0, v17, s20, v0
	s_delay_alu instid0(VALU_DEP_4) | instskip(NEXT) | instid1(VALU_DEP_4)
	v_sub_nc_u32_e32 v17, v18, v21
	v_mul_hi_u32 v22, s38, v20
	v_mul_lo_u32 v18, v20, s18
	s_delay_alu instid0(VALU_DEP_3) | instskip(SKIP_1) | instid1(VALU_DEP_4)
	v_mad_u32 v1, v17, s23, v1
	v_mad_u32 v0, v17, s22, v0
	v_add_nc_u32_e32 v21, v20, v22
	s_delay_alu instid0(VALU_DEP_1) | instskip(NEXT) | instid1(VALU_DEP_1)
	v_dual_sub_nc_u32 v18, v19, v18 :: v_dual_lshrrev_b32 v17, s39, v21
	v_mad_u32 v1, v18, s25, v1
	s_delay_alu instid0(VALU_DEP_4) | instskip(NEXT) | instid1(VALU_DEP_3)
	v_mad_u32 v0, v18, s24, v0
	v_mul_lo_u32 v19, v17, s37
	s_delay_alu instid0(VALU_DEP_1) | instskip(NEXT) | instid1(VALU_DEP_1)
	v_sub_nc_u32_e32 v18, v20, v19
	v_mad_u32 v1, v18, s27, v1
	s_delay_alu instid0(VALU_DEP_4)
	v_mad_u32 v0, v18, s26, v0
	s_cbranch_scc1 .LBB29_104
; %bb.105:
	s_and_b32 s6, s1, 3
	s_mov_b32 s1, 0
	s_cmp_eq_u32 s6, 0
	s_cbranch_scc0 .LBB29_109
	s_branch .LBB29_111
.LBB29_106:
	s_mov_b32 s8, -1
                                        ; implicit-def: $vgpr1
	s_branch .LBB29_111
.LBB29_107:
	v_dual_mov_b32 v1, 0 :: v_dual_mov_b32 v0, 0
	s_branch .LBB29_111
.LBB29_108:
	v_mov_b64_e32 v[0:1], 0
	v_mov_b32_e32 v17, v15
	s_mov_b32 s0, 0
	s_and_b32 s6, s1, 3
	s_mov_b32 s1, 0
	s_cmp_eq_u32 s6, 0
	s_cbranch_scc1 .LBB29_111
.LBB29_109:
	s_lshl_b32 s4, s0, 3
	s_mov_b32 s5, s1
	s_mul_u64 s[10:11], s[0:1], 12
	s_add_nc_u64 s[4:5], s[2:3], s[4:5]
	s_delay_alu instid0(SALU_CYCLE_1)
	s_add_nc_u64 s[0:1], s[4:5], 0xc4
	s_add_nc_u64 s[4:5], s[2:3], s[10:11]
.LBB29_110:                             ; =>This Inner Loop Header: Depth=1
	s_load_b96 s[12:14], s[4:5], 0x4
	s_load_b64 s[10:11], s[0:1], 0x0
	s_add_co_i32 s6, s6, -1
	s_wait_xcnt 0x0
	s_add_nc_u64 s[4:5], s[4:5], 12
	s_cmp_lg_u32 s6, 0
	s_add_nc_u64 s[0:1], s[0:1], 8
	s_wait_kmcnt 0x0
	v_mul_hi_u32 v18, s13, v17
	s_delay_alu instid0(VALU_DEP_1) | instskip(NEXT) | instid1(VALU_DEP_1)
	v_add_nc_u32_e32 v18, v17, v18
	v_lshrrev_b32_e32 v18, s14, v18
	s_delay_alu instid0(VALU_DEP_1) | instskip(NEXT) | instid1(VALU_DEP_1)
	v_mul_lo_u32 v19, v18, s12
	v_sub_nc_u32_e32 v17, v17, v19
	s_delay_alu instid0(VALU_DEP_1)
	v_mad_u32 v1, v17, s11, v1
	v_mad_u32 v0, v17, s10, v0
	v_mov_b32_e32 v17, v18
	s_cbranch_scc1 .LBB29_110
.LBB29_111:
	s_and_not1_b32 vcc_lo, exec_lo, s8
	s_cbranch_vccnz .LBB29_114
; %bb.112:
	s_clause 0x1
	s_load_b96 s[4:6], s[2:3], 0x4
	s_load_b64 s[0:1], s[2:3], 0xc4
	s_cmp_lt_u32 s28, 2
	s_wait_kmcnt 0x0
	v_mul_hi_u32 v0, s5, v15
	s_delay_alu instid0(VALU_DEP_1) | instskip(NEXT) | instid1(VALU_DEP_1)
	v_add_nc_u32_e32 v0, v15, v0
	v_lshrrev_b32_e32 v17, s6, v0
	s_delay_alu instid0(VALU_DEP_1) | instskip(NEXT) | instid1(VALU_DEP_1)
	v_mul_lo_u32 v0, v17, s4
	v_sub_nc_u32_e32 v0, v15, v0
	s_delay_alu instid0(VALU_DEP_1)
	v_mul_lo_u32 v1, v0, s1
	v_mul_lo_u32 v0, v0, s0
	s_cbranch_scc1 .LBB29_114
; %bb.113:
	s_clause 0x1
	s_load_b96 s[4:6], s[2:3], 0x10
	s_load_b64 s[0:1], s[2:3], 0xcc
	s_wait_kmcnt 0x0
	v_mul_hi_u32 v15, s5, v17
	s_delay_alu instid0(VALU_DEP_1) | instskip(NEXT) | instid1(VALU_DEP_1)
	v_add_nc_u32_e32 v15, v17, v15
	v_lshrrev_b32_e32 v15, s6, v15
	s_delay_alu instid0(VALU_DEP_1) | instskip(NEXT) | instid1(VALU_DEP_1)
	v_mul_lo_u32 v15, v15, s4
	v_sub_nc_u32_e32 v15, v17, v15
	s_delay_alu instid0(VALU_DEP_1)
	v_mad_u32 v0, v15, s0, v0
	v_mad_u32 v1, v15, s1, v1
.LBB29_114:
	v_cmp_ne_u32_e32 vcc_lo, 1, v14
	s_cbranch_vccnz .LBB29_120
; %bb.115:
	s_cmp_lg_u32 s28, 0
	s_mov_b32 s8, 0
	s_cbranch_scc0 .LBB29_121
; %bb.116:
	s_min_u32 s1, s29, 15
	s_delay_alu instid0(SALU_CYCLE_1)
	s_add_co_i32 s1, s1, 1
	s_cmp_eq_u32 s29, 2
	s_cbranch_scc1 .LBB29_122
; %bb.117:
	v_dual_mov_b32 v14, 0 :: v_dual_mov_b32 v15, 0
	v_mov_b32_e32 v17, v16
	s_and_b32 s0, s1, 28
	s_add_nc_u64 s[4:5], s[2:3], 0xc4
	s_mov_b32 s9, 0
	s_mov_b64 s[6:7], s[2:3]
.LBB29_118:                             ; =>This Inner Loop Header: Depth=1
	s_clause 0x1
	s_load_b256 s[12:19], s[6:7], 0x4
	s_load_b128 s[36:39], s[6:7], 0x24
	s_load_b256 s[20:27], s[4:5], 0x0
	s_add_co_i32 s9, s9, 4
	s_wait_xcnt 0x0
	s_add_nc_u64 s[6:7], s[6:7], 48
	s_cmp_lg_u32 s0, s9
	s_add_nc_u64 s[4:5], s[4:5], 32
	s_wait_kmcnt 0x0
	v_mul_hi_u32 v18, s13, v17
	s_delay_alu instid0(VALU_DEP_1) | instskip(NEXT) | instid1(VALU_DEP_1)
	v_add_nc_u32_e32 v18, v17, v18
	v_lshrrev_b32_e32 v18, s14, v18
	s_delay_alu instid0(VALU_DEP_1) | instskip(NEXT) | instid1(VALU_DEP_1)
	v_mul_hi_u32 v19, s16, v18
	v_add_nc_u32_e32 v19, v18, v19
	s_delay_alu instid0(VALU_DEP_1) | instskip(NEXT) | instid1(VALU_DEP_1)
	v_lshrrev_b32_e32 v19, s17, v19
	v_mul_hi_u32 v20, s19, v19
	s_delay_alu instid0(VALU_DEP_1) | instskip(SKIP_1) | instid1(VALU_DEP_1)
	v_add_nc_u32_e32 v20, v19, v20
	v_mul_lo_u32 v21, v18, s12
	v_sub_nc_u32_e32 v17, v17, v21
	v_mul_lo_u32 v21, v19, s15
	s_delay_alu instid0(VALU_DEP_4) | instskip(NEXT) | instid1(VALU_DEP_3)
	v_lshrrev_b32_e32 v20, s36, v20
	v_mad_u32 v15, v17, s21, v15
	v_mad_u32 v14, v17, s20, v14
	s_delay_alu instid0(VALU_DEP_4) | instskip(NEXT) | instid1(VALU_DEP_4)
	v_sub_nc_u32_e32 v17, v18, v21
	v_mul_hi_u32 v22, s38, v20
	v_mul_lo_u32 v18, v20, s18
	s_delay_alu instid0(VALU_DEP_3) | instskip(SKIP_1) | instid1(VALU_DEP_4)
	v_mad_u32 v15, v17, s23, v15
	v_mad_u32 v14, v17, s22, v14
	v_add_nc_u32_e32 v21, v20, v22
	s_delay_alu instid0(VALU_DEP_1) | instskip(NEXT) | instid1(VALU_DEP_1)
	v_dual_sub_nc_u32 v18, v19, v18 :: v_dual_lshrrev_b32 v17, s39, v21
	v_mad_u32 v15, v18, s25, v15
	s_delay_alu instid0(VALU_DEP_4) | instskip(NEXT) | instid1(VALU_DEP_3)
	v_mad_u32 v14, v18, s24, v14
	v_mul_lo_u32 v19, v17, s37
	s_delay_alu instid0(VALU_DEP_1) | instskip(NEXT) | instid1(VALU_DEP_1)
	v_sub_nc_u32_e32 v18, v20, v19
	v_mad_u32 v15, v18, s27, v15
	s_delay_alu instid0(VALU_DEP_4)
	v_mad_u32 v14, v18, s26, v14
	s_cbranch_scc1 .LBB29_118
; %bb.119:
	s_and_b32 s6, s1, 3
	s_mov_b32 s1, 0
	s_cmp_eq_u32 s6, 0
	s_cbranch_scc0 .LBB29_123
	s_branch .LBB29_125
.LBB29_120:
	s_mov_b32 s8, -1
                                        ; implicit-def: $vgpr15
	s_branch .LBB29_125
.LBB29_121:
	v_dual_mov_b32 v15, 0 :: v_dual_mov_b32 v14, 0
	s_branch .LBB29_125
.LBB29_122:
	v_mov_b64_e32 v[14:15], 0
	v_mov_b32_e32 v17, v16
	s_mov_b32 s0, 0
	s_and_b32 s6, s1, 3
	s_mov_b32 s1, 0
	s_cmp_eq_u32 s6, 0
	s_cbranch_scc1 .LBB29_125
.LBB29_123:
	s_lshl_b32 s4, s0, 3
	s_mov_b32 s5, s1
	s_mul_u64 s[10:11], s[0:1], 12
	s_add_nc_u64 s[4:5], s[2:3], s[4:5]
	s_delay_alu instid0(SALU_CYCLE_1)
	s_add_nc_u64 s[0:1], s[4:5], 0xc4
	s_add_nc_u64 s[4:5], s[2:3], s[10:11]
.LBB29_124:                             ; =>This Inner Loop Header: Depth=1
	s_load_b96 s[12:14], s[4:5], 0x4
	s_load_b64 s[10:11], s[0:1], 0x0
	s_add_co_i32 s6, s6, -1
	s_wait_xcnt 0x0
	s_add_nc_u64 s[4:5], s[4:5], 12
	s_cmp_lg_u32 s6, 0
	s_add_nc_u64 s[0:1], s[0:1], 8
	s_wait_kmcnt 0x0
	v_mul_hi_u32 v18, s13, v17
	s_delay_alu instid0(VALU_DEP_1) | instskip(NEXT) | instid1(VALU_DEP_1)
	v_add_nc_u32_e32 v18, v17, v18
	v_lshrrev_b32_e32 v18, s14, v18
	s_delay_alu instid0(VALU_DEP_1) | instskip(NEXT) | instid1(VALU_DEP_1)
	v_mul_lo_u32 v19, v18, s12
	v_sub_nc_u32_e32 v17, v17, v19
	s_delay_alu instid0(VALU_DEP_1)
	v_mad_u32 v15, v17, s11, v15
	v_mad_u32 v14, v17, s10, v14
	v_mov_b32_e32 v17, v18
	s_cbranch_scc1 .LBB29_124
.LBB29_125:
	s_and_not1_b32 vcc_lo, exec_lo, s8
	s_cbranch_vccnz .LBB29_128
; %bb.126:
	s_clause 0x1
	s_load_b96 s[4:6], s[2:3], 0x4
	s_load_b64 s[0:1], s[2:3], 0xc4
	s_cmp_lt_u32 s28, 2
	s_wait_kmcnt 0x0
	v_mul_hi_u32 v14, s5, v16
	s_delay_alu instid0(VALU_DEP_1) | instskip(NEXT) | instid1(VALU_DEP_1)
	v_add_nc_u32_e32 v14, v16, v14
	v_lshrrev_b32_e32 v17, s6, v14
	s_delay_alu instid0(VALU_DEP_1) | instskip(NEXT) | instid1(VALU_DEP_1)
	v_mul_lo_u32 v14, v17, s4
	v_sub_nc_u32_e32 v14, v16, v14
	s_delay_alu instid0(VALU_DEP_1)
	v_mul_lo_u32 v15, v14, s1
	v_mul_lo_u32 v14, v14, s0
	s_cbranch_scc1 .LBB29_128
; %bb.127:
	s_clause 0x1
	s_load_b96 s[4:6], s[2:3], 0x10
	s_load_b64 s[0:1], s[2:3], 0xcc
	s_wait_kmcnt 0x0
	v_mul_hi_u32 v16, s5, v17
	s_delay_alu instid0(VALU_DEP_1) | instskip(NEXT) | instid1(VALU_DEP_1)
	v_add_nc_u32_e32 v16, v17, v16
	v_lshrrev_b32_e32 v16, s6, v16
	s_delay_alu instid0(VALU_DEP_1) | instskip(NEXT) | instid1(VALU_DEP_1)
	v_mul_lo_u32 v16, v16, s4
	v_sub_nc_u32_e32 v16, v17, v16
	s_delay_alu instid0(VALU_DEP_1)
	v_mad_u32 v14, v16, s0, v14
	v_mad_u32 v15, v16, s1, v15
.LBB29_128:
	s_clause 0x1
	s_load_b128 s[16:19], s[2:3], 0x148
	s_load_b32 s0, s[2:3], 0x158
	s_wait_kmcnt 0x0
	s_clause 0x7
	global_load_u16 v16, v3, s[18:19]
	global_load_u16 v17, v5, s[18:19]
	;; [unrolled: 1-line block ×8, first 2 shown]
	s_lshl_b32 s14, s0, 16
	s_delay_alu instid0(SALU_CYCLE_1) | instskip(NEXT) | instid1(SALU_CYCLE_1)
	s_xor_b32 s0, s14, 0x80000000
	s_bfe_u32 s1, s0, 0x10010
	s_delay_alu instid0(SALU_CYCLE_1) | instskip(NEXT) | instid1(SALU_CYCLE_1)
	s_add_co_i32 s0, s0, s1
	s_addk_co_i32 s0, 0x7fff
	s_delay_alu instid0(SALU_CYCLE_1)
	s_and_b32 s0, s0, 0xffff0000
	s_cmp_o_f32 s14, s14
	s_cselect_b32 s13, s0, 0x7fc00000
	s_wait_loadcnt 0x6
	s_wait_xcnt 0x1
	v_dual_lshlrev_b32 v1, 16, v16 :: v_dual_lshlrev_b32 v3, 16, v17
	s_wait_loadcnt 0x4
	v_dual_lshlrev_b32 v5, 16, v18 :: v_dual_lshlrev_b32 v7, 16, v19
	s_wait_loadcnt 0x2
	v_dual_lshlrev_b32 v9, 16, v20 :: v_dual_lshlrev_b32 v11, 16, v21
	v_cmp_nle_f32_e32 vcc_lo, s13, v1
	v_cmp_nge_f32_e64 s0, s14, v1
	v_cmp_nle_f32_e64 s1, s13, v3
	v_cmp_nge_f32_e64 s2, s14, v3
	v_cmp_nle_f32_e64 s3, s13, v5
	v_cmp_nge_f32_e64 s4, s14, v5
	s_or_b32 vcc_lo, s0, vcc_lo
	v_cmp_nle_f32_e64 s5, s13, v7
	v_cmp_nge_f32_e64 s6, s14, v7
	s_wait_loadcnt 0x0
	v_dual_lshlrev_b32 v13, 16, v22 :: v_dual_lshlrev_b32 v15, 16, v23
	v_cndmask_b32_e32 v1, 0, v16, vcc_lo
	s_or_b32 vcc_lo, s2, s1
	v_cmp_nle_f32_e64 s7, s13, v9
	v_cmp_nge_f32_e64 s8, s14, v9
	v_cndmask_b32_e32 v3, 0, v17, vcc_lo
	s_or_b32 vcc_lo, s4, s3
	v_cmp_nle_f32_e64 s9, s13, v11
	v_cmp_nge_f32_e64 s10, s14, v11
	;; [unrolled: 4-line block ×4, first 2 shown]
	v_cndmask_b32_e32 v9, 0, v20, vcc_lo
	s_or_b32 vcc_lo, s10, s9
	v_cndmask_b32_e32 v11, 0, v21, vcc_lo
	s_or_b32 vcc_lo, s12, s11
	;; [unrolled: 2-line block ×3, first 2 shown]
	v_cndmask_b32_e32 v15, 0, v23, vcc_lo
	s_clause 0x7
	global_store_b16 v2, v1, s[16:17]
	global_store_b16 v4, v3, s[16:17]
	;; [unrolled: 1-line block ×8, first 2 shown]
	s_endpgm
.LBB29_129:
	v_dual_mov_b32 v3, 0 :: v_dual_mov_b32 v2, 0
	s_branch .LBB29_135
.LBB29_130:
	v_dual_mov_b32 v3, 0 :: v_dual_mov_b32 v2, 0
	s_branch .LBB29_151
.LBB29_131:
	v_mov_b64_e32 v[2:3], 0
	v_mov_b32_e32 v1, v0
	s_mov_b32 s22, 0
.LBB29_132:
	s_and_b32 s0, s0, 3
	s_mov_b32 s23, 0
	s_cmp_eq_u32 s0, 0
	s_cbranch_scc1 .LBB29_135
; %bb.133:
	s_lshl_b32 s24, s22, 3
	s_mov_b32 s25, s23
	s_mul_u64 s[26:27], s[22:23], 12
	s_add_nc_u64 s[24:25], s[2:3], s[24:25]
	s_delay_alu instid0(SALU_CYCLE_1)
	s_add_nc_u64 s[22:23], s[24:25], 0xc4
	s_add_nc_u64 s[24:25], s[2:3], s[26:27]
.LBB29_134:                             ; =>This Inner Loop Header: Depth=1
	s_load_b96 s[40:42], s[24:25], 0x4
	s_load_b64 s[26:27], s[22:23], 0x0
	s_add_co_i32 s0, s0, -1
	s_wait_xcnt 0x0
	s_add_nc_u64 s[24:25], s[24:25], 12
	s_cmp_lg_u32 s0, 0
	s_add_nc_u64 s[22:23], s[22:23], 8
	s_wait_kmcnt 0x0
	v_mul_hi_u32 v4, s41, v1
	s_delay_alu instid0(VALU_DEP_1) | instskip(NEXT) | instid1(VALU_DEP_1)
	v_add_nc_u32_e32 v4, v1, v4
	v_lshrrev_b32_e32 v4, s42, v4
	s_delay_alu instid0(VALU_DEP_1) | instskip(NEXT) | instid1(VALU_DEP_1)
	v_mul_lo_u32 v5, v4, s40
	v_sub_nc_u32_e32 v1, v1, v5
	s_delay_alu instid0(VALU_DEP_1)
	v_mad_u32 v3, v1, s27, v3
	v_mad_u32 v2, v1, s26, v2
	v_mov_b32_e32 v1, v4
	s_cbranch_scc1 .LBB29_134
.LBB29_135:
	s_cbranch_execnz .LBB29_138
.LBB29_136:
	v_mov_b32_e32 v1, 0
	s_and_not1_b32 vcc_lo, exec_lo, s34
	s_delay_alu instid0(VALU_DEP_1) | instskip(NEXT) | instid1(VALU_DEP_1)
	v_mul_u64_e32 v[2:3], s[16:17], v[0:1]
	v_add_nc_u32_e32 v2, v0, v3
	s_delay_alu instid0(VALU_DEP_1) | instskip(NEXT) | instid1(VALU_DEP_1)
	v_lshrrev_b32_e32 v4, s10, v2
	v_mul_lo_u32 v2, v4, s8
	s_delay_alu instid0(VALU_DEP_1) | instskip(NEXT) | instid1(VALU_DEP_1)
	v_sub_nc_u32_e32 v2, v0, v2
	v_mul_lo_u32 v3, v2, s13
	v_mul_lo_u32 v2, v2, s12
	s_cbranch_vccnz .LBB29_138
; %bb.137:
	v_mov_b32_e32 v5, v1
	s_delay_alu instid0(VALU_DEP_1) | instskip(NEXT) | instid1(VALU_DEP_1)
	v_mul_u64_e32 v[6:7], s[18:19], v[4:5]
	v_add_nc_u32_e32 v1, v4, v7
	s_delay_alu instid0(VALU_DEP_1) | instskip(NEXT) | instid1(VALU_DEP_1)
	v_lshrrev_b32_e32 v1, s1, v1
	v_mul_lo_u32 v1, v1, s11
	s_delay_alu instid0(VALU_DEP_1) | instskip(NEXT) | instid1(VALU_DEP_1)
	v_sub_nc_u32_e32 v1, v4, v1
	v_mad_u32 v2, v1, s14, v2
	v_mad_u32 v3, v1, s15, v3
.LBB29_138:
	global_load_u16 v1, v3, s[6:7]
	v_add_nc_u32_e32 v0, 0x80, v0
	s_wait_loadcnt 0x0
	v_lshlrev_b32_e32 v3, 16, v1
	s_delay_alu instid0(VALU_DEP_1)
	v_cmp_nle_f32_e32 vcc_lo, s9, v3
	v_cmp_nge_f32_e64 s0, s33, v3
	s_or_b32 vcc_lo, s0, vcc_lo
	v_cndmask_b32_e32 v1, 0, v1, vcc_lo
	global_store_b16 v2, v1, s[4:5]
	s_wait_xcnt 0x0
	s_or_b32 exec_lo, exec_lo, s38
	s_delay_alu instid0(SALU_CYCLE_1)
	s_mov_b32 s38, exec_lo
	v_cmpx_gt_i32_e64 s35, v0
	s_cbranch_execnz .LBB29_15
.LBB29_139:
	s_or_b32 exec_lo, exec_lo, s38
	s_delay_alu instid0(SALU_CYCLE_1)
	s_mov_b32 s38, exec_lo
	v_cmpx_gt_i32_e64 s35, v0
	s_cbranch_execz .LBB29_155
.LBB29_140:
	s_and_not1_b32 vcc_lo, exec_lo, s30
	s_cbranch_vccnz .LBB29_145
; %bb.141:
	s_and_not1_b32 vcc_lo, exec_lo, s37
	s_cbranch_vccnz .LBB29_146
; %bb.142:
	s_add_co_i32 s0, s36, 1
	s_cmp_eq_u32 s29, 2
	s_cbranch_scc1 .LBB29_163
; %bb.143:
	v_dual_mov_b32 v2, 0 :: v_dual_mov_b32 v3, 0
	v_mov_b32_e32 v1, v0
	s_and_b32 s22, s0, 28
	s_mov_b32 s23, 0
	s_mov_b64 s[24:25], s[2:3]
	s_mov_b64 s[26:27], s[20:21]
.LBB29_144:                             ; =>This Inner Loop Header: Depth=1
	s_clause 0x1
	s_load_b256 s[40:47], s[24:25], 0x4
	s_load_b128 s[56:59], s[24:25], 0x24
	s_load_b256 s[48:55], s[26:27], 0x0
	s_add_co_i32 s23, s23, 4
	s_wait_xcnt 0x0
	s_add_nc_u64 s[24:25], s[24:25], 48
	s_cmp_eq_u32 s22, s23
	s_add_nc_u64 s[26:27], s[26:27], 32
	s_wait_kmcnt 0x0
	v_mul_hi_u32 v4, s41, v1
	s_delay_alu instid0(VALU_DEP_1) | instskip(NEXT) | instid1(VALU_DEP_1)
	v_add_nc_u32_e32 v4, v1, v4
	v_lshrrev_b32_e32 v4, s42, v4
	s_delay_alu instid0(VALU_DEP_1) | instskip(NEXT) | instid1(VALU_DEP_1)
	v_mul_hi_u32 v5, s44, v4
	v_add_nc_u32_e32 v5, v4, v5
	s_delay_alu instid0(VALU_DEP_1) | instskip(NEXT) | instid1(VALU_DEP_1)
	v_lshrrev_b32_e32 v5, s45, v5
	v_mul_hi_u32 v6, s47, v5
	s_delay_alu instid0(VALU_DEP_1) | instskip(SKIP_1) | instid1(VALU_DEP_1)
	v_add_nc_u32_e32 v6, v5, v6
	v_mul_lo_u32 v7, v4, s40
	v_sub_nc_u32_e32 v1, v1, v7
	v_mul_lo_u32 v7, v5, s43
	s_delay_alu instid0(VALU_DEP_4) | instskip(NEXT) | instid1(VALU_DEP_3)
	v_lshrrev_b32_e32 v6, s56, v6
	v_mad_u32 v3, v1, s49, v3
	v_mad_u32 v1, v1, s48, v2
	s_delay_alu instid0(VALU_DEP_4) | instskip(NEXT) | instid1(VALU_DEP_4)
	v_sub_nc_u32_e32 v2, v4, v7
	v_mul_hi_u32 v8, s58, v6
	v_mul_lo_u32 v4, v6, s46
	s_delay_alu instid0(VALU_DEP_3) | instskip(SKIP_1) | instid1(VALU_DEP_4)
	v_mad_u32 v3, v2, s51, v3
	v_mad_u32 v2, v2, s50, v1
	v_add_nc_u32_e32 v7, v6, v8
	s_delay_alu instid0(VALU_DEP_1) | instskip(NEXT) | instid1(VALU_DEP_1)
	v_dual_sub_nc_u32 v4, v5, v4 :: v_dual_lshrrev_b32 v1, s59, v7
	v_mad_u32 v3, v4, s53, v3
	s_delay_alu instid0(VALU_DEP_4) | instskip(NEXT) | instid1(VALU_DEP_3)
	v_mad_u32 v2, v4, s52, v2
	v_mul_lo_u32 v5, v1, s57
	s_delay_alu instid0(VALU_DEP_1) | instskip(NEXT) | instid1(VALU_DEP_1)
	v_sub_nc_u32_e32 v4, v6, v5
	v_mad_u32 v3, v4, s55, v3
	s_delay_alu instid0(VALU_DEP_4)
	v_mad_u32 v2, v4, s54, v2
	s_cbranch_scc0 .LBB29_144
	s_branch .LBB29_164
.LBB29_145:
                                        ; implicit-def: $vgpr3
	s_branch .LBB29_168
.LBB29_146:
	v_dual_mov_b32 v3, 0 :: v_dual_mov_b32 v2, 0
	s_branch .LBB29_167
.LBB29_147:
	v_mov_b64_e32 v[2:3], 0
	v_mov_b32_e32 v1, v0
	s_mov_b32 s22, 0
.LBB29_148:
	s_and_b32 s0, s0, 3
	s_mov_b32 s23, 0
	s_cmp_eq_u32 s0, 0
	s_cbranch_scc1 .LBB29_151
; %bb.149:
	s_lshl_b32 s24, s22, 3
	s_mov_b32 s25, s23
	s_mul_u64 s[26:27], s[22:23], 12
	s_add_nc_u64 s[24:25], s[2:3], s[24:25]
	s_delay_alu instid0(SALU_CYCLE_1)
	s_add_nc_u64 s[22:23], s[24:25], 0xc4
	s_add_nc_u64 s[24:25], s[2:3], s[26:27]
.LBB29_150:                             ; =>This Inner Loop Header: Depth=1
	s_load_b96 s[40:42], s[24:25], 0x4
	s_load_b64 s[26:27], s[22:23], 0x0
	s_add_co_i32 s0, s0, -1
	s_wait_xcnt 0x0
	s_add_nc_u64 s[24:25], s[24:25], 12
	s_cmp_lg_u32 s0, 0
	s_add_nc_u64 s[22:23], s[22:23], 8
	s_wait_kmcnt 0x0
	v_mul_hi_u32 v4, s41, v1
	s_delay_alu instid0(VALU_DEP_1) | instskip(NEXT) | instid1(VALU_DEP_1)
	v_add_nc_u32_e32 v4, v1, v4
	v_lshrrev_b32_e32 v4, s42, v4
	s_delay_alu instid0(VALU_DEP_1) | instskip(NEXT) | instid1(VALU_DEP_1)
	v_mul_lo_u32 v5, v4, s40
	v_sub_nc_u32_e32 v1, v1, v5
	s_delay_alu instid0(VALU_DEP_1)
	v_mad_u32 v3, v1, s27, v3
	v_mad_u32 v2, v1, s26, v2
	v_mov_b32_e32 v1, v4
	s_cbranch_scc1 .LBB29_150
.LBB29_151:
	s_cbranch_execnz .LBB29_154
.LBB29_152:
	v_mov_b32_e32 v1, 0
	s_and_not1_b32 vcc_lo, exec_lo, s34
	s_delay_alu instid0(VALU_DEP_1) | instskip(NEXT) | instid1(VALU_DEP_1)
	v_mul_u64_e32 v[2:3], s[16:17], v[0:1]
	v_add_nc_u32_e32 v2, v0, v3
	s_delay_alu instid0(VALU_DEP_1) | instskip(NEXT) | instid1(VALU_DEP_1)
	v_lshrrev_b32_e32 v4, s10, v2
	v_mul_lo_u32 v2, v4, s8
	s_delay_alu instid0(VALU_DEP_1) | instskip(NEXT) | instid1(VALU_DEP_1)
	v_sub_nc_u32_e32 v2, v0, v2
	v_mul_lo_u32 v3, v2, s13
	v_mul_lo_u32 v2, v2, s12
	s_cbranch_vccnz .LBB29_154
; %bb.153:
	v_mov_b32_e32 v5, v1
	s_delay_alu instid0(VALU_DEP_1) | instskip(NEXT) | instid1(VALU_DEP_1)
	v_mul_u64_e32 v[6:7], s[18:19], v[4:5]
	v_add_nc_u32_e32 v1, v4, v7
	s_delay_alu instid0(VALU_DEP_1) | instskip(NEXT) | instid1(VALU_DEP_1)
	v_lshrrev_b32_e32 v1, s1, v1
	v_mul_lo_u32 v1, v1, s11
	s_delay_alu instid0(VALU_DEP_1) | instskip(NEXT) | instid1(VALU_DEP_1)
	v_sub_nc_u32_e32 v1, v4, v1
	v_mad_u32 v2, v1, s14, v2
	v_mad_u32 v3, v1, s15, v3
.LBB29_154:
	global_load_u16 v1, v3, s[6:7]
	v_add_nc_u32_e32 v0, 0x80, v0
	s_wait_loadcnt 0x0
	v_lshlrev_b32_e32 v3, 16, v1
	s_delay_alu instid0(VALU_DEP_1)
	v_cmp_nle_f32_e32 vcc_lo, s9, v3
	v_cmp_nge_f32_e64 s0, s33, v3
	s_or_b32 vcc_lo, s0, vcc_lo
	v_cndmask_b32_e32 v1, 0, v1, vcc_lo
	global_store_b16 v2, v1, s[4:5]
	s_wait_xcnt 0x0
	s_or_b32 exec_lo, exec_lo, s38
	s_delay_alu instid0(SALU_CYCLE_1)
	s_mov_b32 s38, exec_lo
	v_cmpx_gt_i32_e64 s35, v0
	s_cbranch_execnz .LBB29_140
.LBB29_155:
	s_or_b32 exec_lo, exec_lo, s38
	s_delay_alu instid0(SALU_CYCLE_1)
	s_mov_b32 s38, exec_lo
	v_cmpx_gt_i32_e64 s35, v0
	s_cbranch_execz .LBB29_171
.LBB29_156:
	s_and_not1_b32 vcc_lo, exec_lo, s30
	s_cbranch_vccnz .LBB29_161
; %bb.157:
	s_and_not1_b32 vcc_lo, exec_lo, s37
	s_cbranch_vccnz .LBB29_162
; %bb.158:
	s_add_co_i32 s0, s36, 1
	s_cmp_eq_u32 s29, 2
	s_cbranch_scc1 .LBB29_179
; %bb.159:
	v_dual_mov_b32 v2, 0 :: v_dual_mov_b32 v3, 0
	v_mov_b32_e32 v1, v0
	s_and_b32 s22, s0, 28
	s_mov_b32 s23, 0
	s_mov_b64 s[24:25], s[2:3]
	s_mov_b64 s[26:27], s[20:21]
.LBB29_160:                             ; =>This Inner Loop Header: Depth=1
	s_clause 0x1
	s_load_b256 s[40:47], s[24:25], 0x4
	s_load_b128 s[56:59], s[24:25], 0x24
	s_load_b256 s[48:55], s[26:27], 0x0
	s_add_co_i32 s23, s23, 4
	s_wait_xcnt 0x0
	s_add_nc_u64 s[24:25], s[24:25], 48
	s_cmp_eq_u32 s22, s23
	s_add_nc_u64 s[26:27], s[26:27], 32
	s_wait_kmcnt 0x0
	v_mul_hi_u32 v4, s41, v1
	s_delay_alu instid0(VALU_DEP_1) | instskip(NEXT) | instid1(VALU_DEP_1)
	v_add_nc_u32_e32 v4, v1, v4
	v_lshrrev_b32_e32 v4, s42, v4
	s_delay_alu instid0(VALU_DEP_1) | instskip(NEXT) | instid1(VALU_DEP_1)
	v_mul_hi_u32 v5, s44, v4
	v_add_nc_u32_e32 v5, v4, v5
	s_delay_alu instid0(VALU_DEP_1) | instskip(NEXT) | instid1(VALU_DEP_1)
	v_lshrrev_b32_e32 v5, s45, v5
	v_mul_hi_u32 v6, s47, v5
	s_delay_alu instid0(VALU_DEP_1) | instskip(SKIP_1) | instid1(VALU_DEP_1)
	v_add_nc_u32_e32 v6, v5, v6
	v_mul_lo_u32 v7, v4, s40
	v_sub_nc_u32_e32 v1, v1, v7
	v_mul_lo_u32 v7, v5, s43
	s_delay_alu instid0(VALU_DEP_4) | instskip(NEXT) | instid1(VALU_DEP_3)
	v_lshrrev_b32_e32 v6, s56, v6
	v_mad_u32 v3, v1, s49, v3
	v_mad_u32 v1, v1, s48, v2
	s_delay_alu instid0(VALU_DEP_4) | instskip(NEXT) | instid1(VALU_DEP_4)
	v_sub_nc_u32_e32 v2, v4, v7
	v_mul_hi_u32 v8, s58, v6
	v_mul_lo_u32 v4, v6, s46
	s_delay_alu instid0(VALU_DEP_3) | instskip(SKIP_1) | instid1(VALU_DEP_4)
	v_mad_u32 v3, v2, s51, v3
	v_mad_u32 v2, v2, s50, v1
	v_add_nc_u32_e32 v7, v6, v8
	s_delay_alu instid0(VALU_DEP_1) | instskip(NEXT) | instid1(VALU_DEP_1)
	v_dual_sub_nc_u32 v4, v5, v4 :: v_dual_lshrrev_b32 v1, s59, v7
	v_mad_u32 v3, v4, s53, v3
	s_delay_alu instid0(VALU_DEP_4) | instskip(NEXT) | instid1(VALU_DEP_3)
	v_mad_u32 v2, v4, s52, v2
	v_mul_lo_u32 v5, v1, s57
	s_delay_alu instid0(VALU_DEP_1) | instskip(NEXT) | instid1(VALU_DEP_1)
	v_sub_nc_u32_e32 v4, v6, v5
	v_mad_u32 v3, v4, s55, v3
	s_delay_alu instid0(VALU_DEP_4)
	v_mad_u32 v2, v4, s54, v2
	s_cbranch_scc0 .LBB29_160
	s_branch .LBB29_180
.LBB29_161:
                                        ; implicit-def: $vgpr3
	s_branch .LBB29_184
.LBB29_162:
	v_dual_mov_b32 v3, 0 :: v_dual_mov_b32 v2, 0
	s_branch .LBB29_183
.LBB29_163:
	v_mov_b64_e32 v[2:3], 0
	v_mov_b32_e32 v1, v0
	s_mov_b32 s22, 0
.LBB29_164:
	s_and_b32 s0, s0, 3
	s_mov_b32 s23, 0
	s_cmp_eq_u32 s0, 0
	s_cbranch_scc1 .LBB29_167
; %bb.165:
	s_lshl_b32 s24, s22, 3
	s_mov_b32 s25, s23
	s_mul_u64 s[26:27], s[22:23], 12
	s_add_nc_u64 s[24:25], s[2:3], s[24:25]
	s_delay_alu instid0(SALU_CYCLE_1)
	s_add_nc_u64 s[22:23], s[24:25], 0xc4
	s_add_nc_u64 s[24:25], s[2:3], s[26:27]
.LBB29_166:                             ; =>This Inner Loop Header: Depth=1
	s_load_b96 s[40:42], s[24:25], 0x4
	s_load_b64 s[26:27], s[22:23], 0x0
	s_add_co_i32 s0, s0, -1
	s_wait_xcnt 0x0
	s_add_nc_u64 s[24:25], s[24:25], 12
	s_cmp_lg_u32 s0, 0
	s_add_nc_u64 s[22:23], s[22:23], 8
	s_wait_kmcnt 0x0
	v_mul_hi_u32 v4, s41, v1
	s_delay_alu instid0(VALU_DEP_1) | instskip(NEXT) | instid1(VALU_DEP_1)
	v_add_nc_u32_e32 v4, v1, v4
	v_lshrrev_b32_e32 v4, s42, v4
	s_delay_alu instid0(VALU_DEP_1) | instskip(NEXT) | instid1(VALU_DEP_1)
	v_mul_lo_u32 v5, v4, s40
	v_sub_nc_u32_e32 v1, v1, v5
	s_delay_alu instid0(VALU_DEP_1)
	v_mad_u32 v3, v1, s27, v3
	v_mad_u32 v2, v1, s26, v2
	v_mov_b32_e32 v1, v4
	s_cbranch_scc1 .LBB29_166
.LBB29_167:
	s_cbranch_execnz .LBB29_170
.LBB29_168:
	v_mov_b32_e32 v1, 0
	s_and_not1_b32 vcc_lo, exec_lo, s34
	s_delay_alu instid0(VALU_DEP_1) | instskip(NEXT) | instid1(VALU_DEP_1)
	v_mul_u64_e32 v[2:3], s[16:17], v[0:1]
	v_add_nc_u32_e32 v2, v0, v3
	s_delay_alu instid0(VALU_DEP_1) | instskip(NEXT) | instid1(VALU_DEP_1)
	v_lshrrev_b32_e32 v4, s10, v2
	v_mul_lo_u32 v2, v4, s8
	s_delay_alu instid0(VALU_DEP_1) | instskip(NEXT) | instid1(VALU_DEP_1)
	v_sub_nc_u32_e32 v2, v0, v2
	v_mul_lo_u32 v3, v2, s13
	v_mul_lo_u32 v2, v2, s12
	s_cbranch_vccnz .LBB29_170
; %bb.169:
	v_mov_b32_e32 v5, v1
	s_delay_alu instid0(VALU_DEP_1) | instskip(NEXT) | instid1(VALU_DEP_1)
	v_mul_u64_e32 v[6:7], s[18:19], v[4:5]
	v_add_nc_u32_e32 v1, v4, v7
	s_delay_alu instid0(VALU_DEP_1) | instskip(NEXT) | instid1(VALU_DEP_1)
	v_lshrrev_b32_e32 v1, s1, v1
	v_mul_lo_u32 v1, v1, s11
	s_delay_alu instid0(VALU_DEP_1) | instskip(NEXT) | instid1(VALU_DEP_1)
	v_sub_nc_u32_e32 v1, v4, v1
	v_mad_u32 v2, v1, s14, v2
	v_mad_u32 v3, v1, s15, v3
.LBB29_170:
	global_load_u16 v1, v3, s[6:7]
	v_add_nc_u32_e32 v0, 0x80, v0
	s_wait_loadcnt 0x0
	v_lshlrev_b32_e32 v3, 16, v1
	s_delay_alu instid0(VALU_DEP_1)
	v_cmp_nle_f32_e32 vcc_lo, s9, v3
	v_cmp_nge_f32_e64 s0, s33, v3
	s_or_b32 vcc_lo, s0, vcc_lo
	v_cndmask_b32_e32 v1, 0, v1, vcc_lo
	global_store_b16 v2, v1, s[4:5]
	s_wait_xcnt 0x0
	s_or_b32 exec_lo, exec_lo, s38
	s_delay_alu instid0(SALU_CYCLE_1)
	s_mov_b32 s38, exec_lo
	v_cmpx_gt_i32_e64 s35, v0
	s_cbranch_execnz .LBB29_156
.LBB29_171:
	s_or_b32 exec_lo, exec_lo, s38
	s_delay_alu instid0(SALU_CYCLE_1)
	s_mov_b32 s38, exec_lo
	v_cmpx_gt_i32_e64 s35, v0
	s_cbranch_execz .LBB29_187
.LBB29_172:
	s_and_not1_b32 vcc_lo, exec_lo, s30
	s_cbranch_vccnz .LBB29_177
; %bb.173:
	s_and_not1_b32 vcc_lo, exec_lo, s37
	s_cbranch_vccnz .LBB29_178
; %bb.174:
	s_add_co_i32 s0, s36, 1
	s_cmp_eq_u32 s29, 2
	s_cbranch_scc1 .LBB29_195
; %bb.175:
	v_dual_mov_b32 v2, 0 :: v_dual_mov_b32 v3, 0
	v_mov_b32_e32 v1, v0
	s_and_b32 s22, s0, 28
	s_mov_b32 s23, 0
	s_mov_b64 s[24:25], s[2:3]
	s_mov_b64 s[26:27], s[20:21]
.LBB29_176:                             ; =>This Inner Loop Header: Depth=1
	s_clause 0x1
	s_load_b256 s[40:47], s[24:25], 0x4
	s_load_b128 s[56:59], s[24:25], 0x24
	s_load_b256 s[48:55], s[26:27], 0x0
	s_add_co_i32 s23, s23, 4
	s_wait_xcnt 0x0
	s_add_nc_u64 s[24:25], s[24:25], 48
	s_cmp_eq_u32 s22, s23
	s_add_nc_u64 s[26:27], s[26:27], 32
	s_wait_kmcnt 0x0
	v_mul_hi_u32 v4, s41, v1
	s_delay_alu instid0(VALU_DEP_1) | instskip(NEXT) | instid1(VALU_DEP_1)
	v_add_nc_u32_e32 v4, v1, v4
	v_lshrrev_b32_e32 v4, s42, v4
	s_delay_alu instid0(VALU_DEP_1) | instskip(NEXT) | instid1(VALU_DEP_1)
	v_mul_hi_u32 v5, s44, v4
	v_add_nc_u32_e32 v5, v4, v5
	s_delay_alu instid0(VALU_DEP_1) | instskip(NEXT) | instid1(VALU_DEP_1)
	v_lshrrev_b32_e32 v5, s45, v5
	v_mul_hi_u32 v6, s47, v5
	s_delay_alu instid0(VALU_DEP_1) | instskip(SKIP_1) | instid1(VALU_DEP_1)
	v_add_nc_u32_e32 v6, v5, v6
	v_mul_lo_u32 v7, v4, s40
	v_sub_nc_u32_e32 v1, v1, v7
	v_mul_lo_u32 v7, v5, s43
	s_delay_alu instid0(VALU_DEP_4) | instskip(NEXT) | instid1(VALU_DEP_3)
	v_lshrrev_b32_e32 v6, s56, v6
	v_mad_u32 v3, v1, s49, v3
	v_mad_u32 v1, v1, s48, v2
	s_delay_alu instid0(VALU_DEP_4) | instskip(NEXT) | instid1(VALU_DEP_4)
	v_sub_nc_u32_e32 v2, v4, v7
	v_mul_hi_u32 v8, s58, v6
	v_mul_lo_u32 v4, v6, s46
	s_delay_alu instid0(VALU_DEP_3) | instskip(SKIP_1) | instid1(VALU_DEP_4)
	v_mad_u32 v3, v2, s51, v3
	v_mad_u32 v2, v2, s50, v1
	v_add_nc_u32_e32 v7, v6, v8
	s_delay_alu instid0(VALU_DEP_1) | instskip(NEXT) | instid1(VALU_DEP_1)
	v_dual_sub_nc_u32 v4, v5, v4 :: v_dual_lshrrev_b32 v1, s59, v7
	v_mad_u32 v3, v4, s53, v3
	s_delay_alu instid0(VALU_DEP_4) | instskip(NEXT) | instid1(VALU_DEP_3)
	v_mad_u32 v2, v4, s52, v2
	v_mul_lo_u32 v5, v1, s57
	s_delay_alu instid0(VALU_DEP_1) | instskip(NEXT) | instid1(VALU_DEP_1)
	v_sub_nc_u32_e32 v4, v6, v5
	v_mad_u32 v3, v4, s55, v3
	s_delay_alu instid0(VALU_DEP_4)
	v_mad_u32 v2, v4, s54, v2
	s_cbranch_scc0 .LBB29_176
	s_branch .LBB29_196
.LBB29_177:
                                        ; implicit-def: $vgpr3
	s_branch .LBB29_200
.LBB29_178:
	v_dual_mov_b32 v3, 0 :: v_dual_mov_b32 v2, 0
	s_branch .LBB29_199
.LBB29_179:
	v_mov_b64_e32 v[2:3], 0
	v_mov_b32_e32 v1, v0
	s_mov_b32 s22, 0
.LBB29_180:
	s_and_b32 s0, s0, 3
	s_mov_b32 s23, 0
	s_cmp_eq_u32 s0, 0
	s_cbranch_scc1 .LBB29_183
; %bb.181:
	s_lshl_b32 s24, s22, 3
	s_mov_b32 s25, s23
	s_mul_u64 s[26:27], s[22:23], 12
	s_add_nc_u64 s[24:25], s[2:3], s[24:25]
	s_delay_alu instid0(SALU_CYCLE_1)
	s_add_nc_u64 s[22:23], s[24:25], 0xc4
	s_add_nc_u64 s[24:25], s[2:3], s[26:27]
.LBB29_182:                             ; =>This Inner Loop Header: Depth=1
	s_load_b96 s[40:42], s[24:25], 0x4
	s_load_b64 s[26:27], s[22:23], 0x0
	s_add_co_i32 s0, s0, -1
	s_wait_xcnt 0x0
	s_add_nc_u64 s[24:25], s[24:25], 12
	s_cmp_lg_u32 s0, 0
	s_add_nc_u64 s[22:23], s[22:23], 8
	s_wait_kmcnt 0x0
	v_mul_hi_u32 v4, s41, v1
	s_delay_alu instid0(VALU_DEP_1) | instskip(NEXT) | instid1(VALU_DEP_1)
	v_add_nc_u32_e32 v4, v1, v4
	v_lshrrev_b32_e32 v4, s42, v4
	s_delay_alu instid0(VALU_DEP_1) | instskip(NEXT) | instid1(VALU_DEP_1)
	v_mul_lo_u32 v5, v4, s40
	v_sub_nc_u32_e32 v1, v1, v5
	s_delay_alu instid0(VALU_DEP_1)
	v_mad_u32 v3, v1, s27, v3
	v_mad_u32 v2, v1, s26, v2
	v_mov_b32_e32 v1, v4
	s_cbranch_scc1 .LBB29_182
.LBB29_183:
	s_cbranch_execnz .LBB29_186
.LBB29_184:
	v_mov_b32_e32 v1, 0
	s_and_not1_b32 vcc_lo, exec_lo, s34
	s_delay_alu instid0(VALU_DEP_1) | instskip(NEXT) | instid1(VALU_DEP_1)
	v_mul_u64_e32 v[2:3], s[16:17], v[0:1]
	v_add_nc_u32_e32 v2, v0, v3
	s_delay_alu instid0(VALU_DEP_1) | instskip(NEXT) | instid1(VALU_DEP_1)
	v_lshrrev_b32_e32 v4, s10, v2
	v_mul_lo_u32 v2, v4, s8
	s_delay_alu instid0(VALU_DEP_1) | instskip(NEXT) | instid1(VALU_DEP_1)
	v_sub_nc_u32_e32 v2, v0, v2
	v_mul_lo_u32 v3, v2, s13
	v_mul_lo_u32 v2, v2, s12
	s_cbranch_vccnz .LBB29_186
; %bb.185:
	v_mov_b32_e32 v5, v1
	s_delay_alu instid0(VALU_DEP_1) | instskip(NEXT) | instid1(VALU_DEP_1)
	v_mul_u64_e32 v[6:7], s[18:19], v[4:5]
	v_add_nc_u32_e32 v1, v4, v7
	s_delay_alu instid0(VALU_DEP_1) | instskip(NEXT) | instid1(VALU_DEP_1)
	v_lshrrev_b32_e32 v1, s1, v1
	v_mul_lo_u32 v1, v1, s11
	s_delay_alu instid0(VALU_DEP_1) | instskip(NEXT) | instid1(VALU_DEP_1)
	v_sub_nc_u32_e32 v1, v4, v1
	v_mad_u32 v2, v1, s14, v2
	v_mad_u32 v3, v1, s15, v3
.LBB29_186:
	global_load_u16 v1, v3, s[6:7]
	v_add_nc_u32_e32 v0, 0x80, v0
	s_wait_loadcnt 0x0
	v_lshlrev_b32_e32 v3, 16, v1
	s_delay_alu instid0(VALU_DEP_1)
	v_cmp_nle_f32_e32 vcc_lo, s9, v3
	v_cmp_nge_f32_e64 s0, s33, v3
	s_or_b32 vcc_lo, s0, vcc_lo
	v_cndmask_b32_e32 v1, 0, v1, vcc_lo
	global_store_b16 v2, v1, s[4:5]
	s_wait_xcnt 0x0
	s_or_b32 exec_lo, exec_lo, s38
	s_delay_alu instid0(SALU_CYCLE_1)
	s_mov_b32 s38, exec_lo
	v_cmpx_gt_i32_e64 s35, v0
	s_cbranch_execnz .LBB29_172
.LBB29_187:
	s_or_b32 exec_lo, exec_lo, s38
	s_delay_alu instid0(SALU_CYCLE_1)
	s_mov_b32 s38, exec_lo
	v_cmpx_gt_i32_e64 s35, v0
	s_cbranch_execz .LBB29_203
.LBB29_188:
	s_and_not1_b32 vcc_lo, exec_lo, s30
	s_cbranch_vccnz .LBB29_193
; %bb.189:
	s_and_not1_b32 vcc_lo, exec_lo, s37
	s_cbranch_vccnz .LBB29_194
; %bb.190:
	s_add_co_i32 s0, s36, 1
	s_cmp_eq_u32 s29, 2
	s_cbranch_scc1 .LBB29_211
; %bb.191:
	v_dual_mov_b32 v2, 0 :: v_dual_mov_b32 v3, 0
	v_mov_b32_e32 v1, v0
	s_and_b32 s22, s0, 28
	s_mov_b32 s23, 0
	s_mov_b64 s[24:25], s[2:3]
	s_mov_b64 s[26:27], s[20:21]
.LBB29_192:                             ; =>This Inner Loop Header: Depth=1
	s_clause 0x1
	s_load_b256 s[40:47], s[24:25], 0x4
	s_load_b128 s[56:59], s[24:25], 0x24
	s_load_b256 s[48:55], s[26:27], 0x0
	s_add_co_i32 s23, s23, 4
	s_wait_xcnt 0x0
	s_add_nc_u64 s[24:25], s[24:25], 48
	s_cmp_eq_u32 s22, s23
	s_add_nc_u64 s[26:27], s[26:27], 32
	s_wait_kmcnt 0x0
	v_mul_hi_u32 v4, s41, v1
	s_delay_alu instid0(VALU_DEP_1) | instskip(NEXT) | instid1(VALU_DEP_1)
	v_add_nc_u32_e32 v4, v1, v4
	v_lshrrev_b32_e32 v4, s42, v4
	s_delay_alu instid0(VALU_DEP_1) | instskip(NEXT) | instid1(VALU_DEP_1)
	v_mul_hi_u32 v5, s44, v4
	v_add_nc_u32_e32 v5, v4, v5
	s_delay_alu instid0(VALU_DEP_1) | instskip(NEXT) | instid1(VALU_DEP_1)
	v_lshrrev_b32_e32 v5, s45, v5
	v_mul_hi_u32 v6, s47, v5
	s_delay_alu instid0(VALU_DEP_1) | instskip(SKIP_1) | instid1(VALU_DEP_1)
	v_add_nc_u32_e32 v6, v5, v6
	v_mul_lo_u32 v7, v4, s40
	v_sub_nc_u32_e32 v1, v1, v7
	v_mul_lo_u32 v7, v5, s43
	s_delay_alu instid0(VALU_DEP_4) | instskip(NEXT) | instid1(VALU_DEP_3)
	v_lshrrev_b32_e32 v6, s56, v6
	v_mad_u32 v3, v1, s49, v3
	v_mad_u32 v1, v1, s48, v2
	s_delay_alu instid0(VALU_DEP_4) | instskip(NEXT) | instid1(VALU_DEP_4)
	v_sub_nc_u32_e32 v2, v4, v7
	v_mul_hi_u32 v8, s58, v6
	v_mul_lo_u32 v4, v6, s46
	s_delay_alu instid0(VALU_DEP_3) | instskip(SKIP_1) | instid1(VALU_DEP_4)
	v_mad_u32 v3, v2, s51, v3
	v_mad_u32 v2, v2, s50, v1
	v_add_nc_u32_e32 v7, v6, v8
	s_delay_alu instid0(VALU_DEP_1) | instskip(NEXT) | instid1(VALU_DEP_1)
	v_dual_sub_nc_u32 v4, v5, v4 :: v_dual_lshrrev_b32 v1, s59, v7
	v_mad_u32 v3, v4, s53, v3
	s_delay_alu instid0(VALU_DEP_4) | instskip(NEXT) | instid1(VALU_DEP_3)
	v_mad_u32 v2, v4, s52, v2
	v_mul_lo_u32 v5, v1, s57
	s_delay_alu instid0(VALU_DEP_1) | instskip(NEXT) | instid1(VALU_DEP_1)
	v_sub_nc_u32_e32 v4, v6, v5
	v_mad_u32 v3, v4, s55, v3
	s_delay_alu instid0(VALU_DEP_4)
	v_mad_u32 v2, v4, s54, v2
	s_cbranch_scc0 .LBB29_192
	s_branch .LBB29_212
.LBB29_193:
                                        ; implicit-def: $vgpr3
	s_branch .LBB29_216
.LBB29_194:
	v_dual_mov_b32 v3, 0 :: v_dual_mov_b32 v2, 0
	s_branch .LBB29_215
.LBB29_195:
	v_mov_b64_e32 v[2:3], 0
	v_mov_b32_e32 v1, v0
	s_mov_b32 s22, 0
.LBB29_196:
	s_and_b32 s0, s0, 3
	s_mov_b32 s23, 0
	s_cmp_eq_u32 s0, 0
	s_cbranch_scc1 .LBB29_199
; %bb.197:
	s_lshl_b32 s24, s22, 3
	s_mov_b32 s25, s23
	s_mul_u64 s[26:27], s[22:23], 12
	s_add_nc_u64 s[24:25], s[2:3], s[24:25]
	s_delay_alu instid0(SALU_CYCLE_1)
	s_add_nc_u64 s[22:23], s[24:25], 0xc4
	s_add_nc_u64 s[24:25], s[2:3], s[26:27]
.LBB29_198:                             ; =>This Inner Loop Header: Depth=1
	s_load_b96 s[40:42], s[24:25], 0x4
	s_load_b64 s[26:27], s[22:23], 0x0
	s_add_co_i32 s0, s0, -1
	s_wait_xcnt 0x0
	s_add_nc_u64 s[24:25], s[24:25], 12
	s_cmp_lg_u32 s0, 0
	s_add_nc_u64 s[22:23], s[22:23], 8
	s_wait_kmcnt 0x0
	v_mul_hi_u32 v4, s41, v1
	s_delay_alu instid0(VALU_DEP_1) | instskip(NEXT) | instid1(VALU_DEP_1)
	v_add_nc_u32_e32 v4, v1, v4
	v_lshrrev_b32_e32 v4, s42, v4
	s_delay_alu instid0(VALU_DEP_1) | instskip(NEXT) | instid1(VALU_DEP_1)
	v_mul_lo_u32 v5, v4, s40
	v_sub_nc_u32_e32 v1, v1, v5
	s_delay_alu instid0(VALU_DEP_1)
	v_mad_u32 v3, v1, s27, v3
	v_mad_u32 v2, v1, s26, v2
	v_mov_b32_e32 v1, v4
	s_cbranch_scc1 .LBB29_198
.LBB29_199:
	s_cbranch_execnz .LBB29_202
.LBB29_200:
	v_mov_b32_e32 v1, 0
	s_and_not1_b32 vcc_lo, exec_lo, s34
	s_delay_alu instid0(VALU_DEP_1) | instskip(NEXT) | instid1(VALU_DEP_1)
	v_mul_u64_e32 v[2:3], s[16:17], v[0:1]
	v_add_nc_u32_e32 v2, v0, v3
	s_delay_alu instid0(VALU_DEP_1) | instskip(NEXT) | instid1(VALU_DEP_1)
	v_lshrrev_b32_e32 v4, s10, v2
	v_mul_lo_u32 v2, v4, s8
	s_delay_alu instid0(VALU_DEP_1) | instskip(NEXT) | instid1(VALU_DEP_1)
	v_sub_nc_u32_e32 v2, v0, v2
	v_mul_lo_u32 v3, v2, s13
	v_mul_lo_u32 v2, v2, s12
	s_cbranch_vccnz .LBB29_202
; %bb.201:
	v_mov_b32_e32 v5, v1
	s_delay_alu instid0(VALU_DEP_1) | instskip(NEXT) | instid1(VALU_DEP_1)
	v_mul_u64_e32 v[6:7], s[18:19], v[4:5]
	v_add_nc_u32_e32 v1, v4, v7
	s_delay_alu instid0(VALU_DEP_1) | instskip(NEXT) | instid1(VALU_DEP_1)
	v_lshrrev_b32_e32 v1, s1, v1
	v_mul_lo_u32 v1, v1, s11
	s_delay_alu instid0(VALU_DEP_1) | instskip(NEXT) | instid1(VALU_DEP_1)
	v_sub_nc_u32_e32 v1, v4, v1
	v_mad_u32 v2, v1, s14, v2
	v_mad_u32 v3, v1, s15, v3
.LBB29_202:
	global_load_u16 v1, v3, s[6:7]
	v_add_nc_u32_e32 v0, 0x80, v0
	s_wait_loadcnt 0x0
	v_lshlrev_b32_e32 v3, 16, v1
	s_delay_alu instid0(VALU_DEP_1)
	v_cmp_nle_f32_e32 vcc_lo, s9, v3
	v_cmp_nge_f32_e64 s0, s33, v3
	s_or_b32 vcc_lo, s0, vcc_lo
	v_cndmask_b32_e32 v1, 0, v1, vcc_lo
	global_store_b16 v2, v1, s[4:5]
	s_wait_xcnt 0x0
	s_or_b32 exec_lo, exec_lo, s38
	s_delay_alu instid0(SALU_CYCLE_1)
	s_mov_b32 s38, exec_lo
	v_cmpx_gt_i32_e64 s35, v0
	s_cbranch_execnz .LBB29_188
.LBB29_203:
	s_or_b32 exec_lo, exec_lo, s38
	s_delay_alu instid0(SALU_CYCLE_1)
	s_mov_b32 s38, exec_lo
	v_cmpx_gt_i32_e64 s35, v0
	s_cbranch_execz .LBB29_219
.LBB29_204:
	s_and_not1_b32 vcc_lo, exec_lo, s30
	s_cbranch_vccnz .LBB29_209
; %bb.205:
	s_and_not1_b32 vcc_lo, exec_lo, s37
	s_cbranch_vccnz .LBB29_210
; %bb.206:
	s_add_co_i32 s0, s36, 1
	s_cmp_eq_u32 s29, 2
	s_cbranch_scc1 .LBB29_222
; %bb.207:
	v_dual_mov_b32 v2, 0 :: v_dual_mov_b32 v3, 0
	v_mov_b32_e32 v1, v0
	s_and_b32 s22, s0, 28
	s_mov_b32 s23, 0
	s_mov_b64 s[24:25], s[2:3]
	s_mov_b64 s[26:27], s[20:21]
.LBB29_208:                             ; =>This Inner Loop Header: Depth=1
	s_clause 0x1
	s_load_b256 s[40:47], s[24:25], 0x4
	s_load_b128 s[56:59], s[24:25], 0x24
	s_load_b256 s[48:55], s[26:27], 0x0
	s_add_co_i32 s23, s23, 4
	s_wait_xcnt 0x0
	s_add_nc_u64 s[24:25], s[24:25], 48
	s_cmp_eq_u32 s22, s23
	s_add_nc_u64 s[26:27], s[26:27], 32
	s_wait_kmcnt 0x0
	v_mul_hi_u32 v4, s41, v1
	s_delay_alu instid0(VALU_DEP_1) | instskip(NEXT) | instid1(VALU_DEP_1)
	v_add_nc_u32_e32 v4, v1, v4
	v_lshrrev_b32_e32 v4, s42, v4
	s_delay_alu instid0(VALU_DEP_1) | instskip(NEXT) | instid1(VALU_DEP_1)
	v_mul_hi_u32 v5, s44, v4
	v_add_nc_u32_e32 v5, v4, v5
	s_delay_alu instid0(VALU_DEP_1) | instskip(NEXT) | instid1(VALU_DEP_1)
	v_lshrrev_b32_e32 v5, s45, v5
	v_mul_hi_u32 v6, s47, v5
	s_delay_alu instid0(VALU_DEP_1) | instskip(SKIP_1) | instid1(VALU_DEP_1)
	v_add_nc_u32_e32 v6, v5, v6
	v_mul_lo_u32 v7, v4, s40
	v_sub_nc_u32_e32 v1, v1, v7
	v_mul_lo_u32 v7, v5, s43
	s_delay_alu instid0(VALU_DEP_4) | instskip(NEXT) | instid1(VALU_DEP_3)
	v_lshrrev_b32_e32 v6, s56, v6
	v_mad_u32 v3, v1, s49, v3
	v_mad_u32 v1, v1, s48, v2
	s_delay_alu instid0(VALU_DEP_4) | instskip(NEXT) | instid1(VALU_DEP_4)
	v_sub_nc_u32_e32 v2, v4, v7
	v_mul_hi_u32 v8, s58, v6
	v_mul_lo_u32 v4, v6, s46
	s_delay_alu instid0(VALU_DEP_3) | instskip(SKIP_1) | instid1(VALU_DEP_4)
	v_mad_u32 v3, v2, s51, v3
	v_mad_u32 v2, v2, s50, v1
	v_add_nc_u32_e32 v7, v6, v8
	s_delay_alu instid0(VALU_DEP_1) | instskip(NEXT) | instid1(VALU_DEP_1)
	v_dual_sub_nc_u32 v4, v5, v4 :: v_dual_lshrrev_b32 v1, s59, v7
	v_mad_u32 v3, v4, s53, v3
	s_delay_alu instid0(VALU_DEP_4) | instskip(NEXT) | instid1(VALU_DEP_3)
	v_mad_u32 v2, v4, s52, v2
	v_mul_lo_u32 v5, v1, s57
	s_delay_alu instid0(VALU_DEP_1) | instskip(NEXT) | instid1(VALU_DEP_1)
	v_sub_nc_u32_e32 v4, v6, v5
	v_mad_u32 v3, v4, s55, v3
	s_delay_alu instid0(VALU_DEP_4)
	v_mad_u32 v2, v4, s54, v2
	s_cbranch_scc0 .LBB29_208
	s_branch .LBB29_223
.LBB29_209:
                                        ; implicit-def: $vgpr3
	s_branch .LBB29_227
.LBB29_210:
	v_dual_mov_b32 v3, 0 :: v_dual_mov_b32 v2, 0
	s_branch .LBB29_226
.LBB29_211:
	v_mov_b64_e32 v[2:3], 0
	v_mov_b32_e32 v1, v0
	s_mov_b32 s22, 0
.LBB29_212:
	s_and_b32 s0, s0, 3
	s_mov_b32 s23, 0
	s_cmp_eq_u32 s0, 0
	s_cbranch_scc1 .LBB29_215
; %bb.213:
	s_lshl_b32 s24, s22, 3
	s_mov_b32 s25, s23
	s_mul_u64 s[26:27], s[22:23], 12
	s_add_nc_u64 s[24:25], s[2:3], s[24:25]
	s_delay_alu instid0(SALU_CYCLE_1)
	s_add_nc_u64 s[22:23], s[24:25], 0xc4
	s_add_nc_u64 s[24:25], s[2:3], s[26:27]
.LBB29_214:                             ; =>This Inner Loop Header: Depth=1
	s_load_b96 s[40:42], s[24:25], 0x4
	s_load_b64 s[26:27], s[22:23], 0x0
	s_add_co_i32 s0, s0, -1
	s_wait_xcnt 0x0
	s_add_nc_u64 s[24:25], s[24:25], 12
	s_cmp_lg_u32 s0, 0
	s_add_nc_u64 s[22:23], s[22:23], 8
	s_wait_kmcnt 0x0
	v_mul_hi_u32 v4, s41, v1
	s_delay_alu instid0(VALU_DEP_1) | instskip(NEXT) | instid1(VALU_DEP_1)
	v_add_nc_u32_e32 v4, v1, v4
	v_lshrrev_b32_e32 v4, s42, v4
	s_delay_alu instid0(VALU_DEP_1) | instskip(NEXT) | instid1(VALU_DEP_1)
	v_mul_lo_u32 v5, v4, s40
	v_sub_nc_u32_e32 v1, v1, v5
	s_delay_alu instid0(VALU_DEP_1)
	v_mad_u32 v3, v1, s27, v3
	v_mad_u32 v2, v1, s26, v2
	v_mov_b32_e32 v1, v4
	s_cbranch_scc1 .LBB29_214
.LBB29_215:
	s_cbranch_execnz .LBB29_218
.LBB29_216:
	v_mov_b32_e32 v1, 0
	s_and_not1_b32 vcc_lo, exec_lo, s34
	s_delay_alu instid0(VALU_DEP_1) | instskip(NEXT) | instid1(VALU_DEP_1)
	v_mul_u64_e32 v[2:3], s[16:17], v[0:1]
	v_add_nc_u32_e32 v2, v0, v3
	s_delay_alu instid0(VALU_DEP_1) | instskip(NEXT) | instid1(VALU_DEP_1)
	v_lshrrev_b32_e32 v4, s10, v2
	v_mul_lo_u32 v2, v4, s8
	s_delay_alu instid0(VALU_DEP_1) | instskip(NEXT) | instid1(VALU_DEP_1)
	v_sub_nc_u32_e32 v2, v0, v2
	v_mul_lo_u32 v3, v2, s13
	v_mul_lo_u32 v2, v2, s12
	s_cbranch_vccnz .LBB29_218
; %bb.217:
	v_mov_b32_e32 v5, v1
	s_delay_alu instid0(VALU_DEP_1) | instskip(NEXT) | instid1(VALU_DEP_1)
	v_mul_u64_e32 v[6:7], s[18:19], v[4:5]
	v_add_nc_u32_e32 v1, v4, v7
	s_delay_alu instid0(VALU_DEP_1) | instskip(NEXT) | instid1(VALU_DEP_1)
	v_lshrrev_b32_e32 v1, s1, v1
	v_mul_lo_u32 v1, v1, s11
	s_delay_alu instid0(VALU_DEP_1) | instskip(NEXT) | instid1(VALU_DEP_1)
	v_sub_nc_u32_e32 v1, v4, v1
	v_mad_u32 v2, v1, s14, v2
	v_mad_u32 v3, v1, s15, v3
.LBB29_218:
	global_load_u16 v1, v3, s[6:7]
	v_add_nc_u32_e32 v0, 0x80, v0
	s_wait_loadcnt 0x0
	v_lshlrev_b32_e32 v3, 16, v1
	s_delay_alu instid0(VALU_DEP_1)
	v_cmp_nle_f32_e32 vcc_lo, s9, v3
	v_cmp_nge_f32_e64 s0, s33, v3
	s_or_b32 vcc_lo, s0, vcc_lo
	v_cndmask_b32_e32 v1, 0, v1, vcc_lo
	global_store_b16 v2, v1, s[4:5]
	s_wait_xcnt 0x0
	s_or_b32 exec_lo, exec_lo, s38
	s_delay_alu instid0(SALU_CYCLE_1)
	s_mov_b32 s38, exec_lo
	v_cmpx_gt_i32_e64 s35, v0
	s_cbranch_execnz .LBB29_204
.LBB29_219:
	s_or_b32 exec_lo, exec_lo, s38
	s_delay_alu instid0(SALU_CYCLE_1)
	s_mov_b32 s26, exec_lo
	v_cmpx_gt_i32_e64 s35, v0
	s_cbranch_execnz .LBB29_230
.LBB29_220:
	s_or_b32 exec_lo, exec_lo, s26
                                        ; implicit-def: $vgpr16
                                        ; implicit-def: $vgpr0
	s_and_not1_saveexec_b32 s0, s31
	s_cbranch_execnz .LBB29_8
.LBB29_221:
	s_endpgm
.LBB29_222:
	v_mov_b64_e32 v[2:3], 0
	v_mov_b32_e32 v1, v0
	s_mov_b32 s22, 0
.LBB29_223:
	s_and_b32 s0, s0, 3
	s_mov_b32 s23, 0
	s_cmp_eq_u32 s0, 0
	s_cbranch_scc1 .LBB29_226
; %bb.224:
	s_lshl_b32 s24, s22, 3
	s_mov_b32 s25, s23
	s_mul_u64 s[26:27], s[22:23], 12
	s_add_nc_u64 s[24:25], s[2:3], s[24:25]
	s_delay_alu instid0(SALU_CYCLE_1)
	s_add_nc_u64 s[22:23], s[24:25], 0xc4
	s_add_nc_u64 s[24:25], s[2:3], s[26:27]
.LBB29_225:                             ; =>This Inner Loop Header: Depth=1
	s_load_b96 s[40:42], s[24:25], 0x4
	s_load_b64 s[26:27], s[22:23], 0x0
	s_add_co_i32 s0, s0, -1
	s_wait_xcnt 0x0
	s_add_nc_u64 s[24:25], s[24:25], 12
	s_cmp_lg_u32 s0, 0
	s_add_nc_u64 s[22:23], s[22:23], 8
	s_wait_kmcnt 0x0
	v_mul_hi_u32 v4, s41, v1
	s_delay_alu instid0(VALU_DEP_1) | instskip(NEXT) | instid1(VALU_DEP_1)
	v_add_nc_u32_e32 v4, v1, v4
	v_lshrrev_b32_e32 v4, s42, v4
	s_delay_alu instid0(VALU_DEP_1) | instskip(NEXT) | instid1(VALU_DEP_1)
	v_mul_lo_u32 v5, v4, s40
	v_sub_nc_u32_e32 v1, v1, v5
	s_delay_alu instid0(VALU_DEP_1)
	v_mad_u32 v3, v1, s27, v3
	v_mad_u32 v2, v1, s26, v2
	v_mov_b32_e32 v1, v4
	s_cbranch_scc1 .LBB29_225
.LBB29_226:
	s_cbranch_execnz .LBB29_229
.LBB29_227:
	v_mov_b32_e32 v1, 0
	s_and_not1_b32 vcc_lo, exec_lo, s34
	s_delay_alu instid0(VALU_DEP_1) | instskip(NEXT) | instid1(VALU_DEP_1)
	v_mul_u64_e32 v[2:3], s[16:17], v[0:1]
	v_add_nc_u32_e32 v2, v0, v3
	s_delay_alu instid0(VALU_DEP_1) | instskip(NEXT) | instid1(VALU_DEP_1)
	v_lshrrev_b32_e32 v4, s10, v2
	v_mul_lo_u32 v2, v4, s8
	s_delay_alu instid0(VALU_DEP_1) | instskip(NEXT) | instid1(VALU_DEP_1)
	v_sub_nc_u32_e32 v2, v0, v2
	v_mul_lo_u32 v3, v2, s13
	v_mul_lo_u32 v2, v2, s12
	s_cbranch_vccnz .LBB29_229
; %bb.228:
	v_mov_b32_e32 v5, v1
	s_delay_alu instid0(VALU_DEP_1) | instskip(NEXT) | instid1(VALU_DEP_1)
	v_mul_u64_e32 v[6:7], s[18:19], v[4:5]
	v_add_nc_u32_e32 v1, v4, v7
	s_delay_alu instid0(VALU_DEP_1) | instskip(NEXT) | instid1(VALU_DEP_1)
	v_lshrrev_b32_e32 v1, s1, v1
	v_mul_lo_u32 v1, v1, s11
	s_delay_alu instid0(VALU_DEP_1) | instskip(NEXT) | instid1(VALU_DEP_1)
	v_sub_nc_u32_e32 v1, v4, v1
	v_mad_u32 v2, v1, s14, v2
	v_mad_u32 v3, v1, s15, v3
.LBB29_229:
	global_load_u16 v1, v3, s[6:7]
	v_add_nc_u32_e32 v0, 0x80, v0
	s_wait_loadcnt 0x0
	v_lshlrev_b32_e32 v3, 16, v1
	s_delay_alu instid0(VALU_DEP_1)
	v_cmp_nle_f32_e32 vcc_lo, s9, v3
	v_cmp_nge_f32_e64 s0, s33, v3
	s_or_b32 vcc_lo, s0, vcc_lo
	v_cndmask_b32_e32 v1, 0, v1, vcc_lo
	global_store_b16 v2, v1, s[4:5]
	s_wait_xcnt 0x0
	s_or_b32 exec_lo, exec_lo, s38
	s_delay_alu instid0(SALU_CYCLE_1)
	s_mov_b32 s26, exec_lo
	v_cmpx_gt_i32_e64 s35, v0
	s_cbranch_execz .LBB29_220
.LBB29_230:
	s_and_not1_b32 vcc_lo, exec_lo, s30
	s_cbranch_vccnz .LBB29_235
; %bb.231:
	s_and_not1_b32 vcc_lo, exec_lo, s37
	s_cbranch_vccnz .LBB29_236
; %bb.232:
	s_add_co_i32 s36, s36, 1
	s_cmp_eq_u32 s29, 2
	s_cbranch_scc1 .LBB29_237
; %bb.233:
	v_dual_mov_b32 v2, 0 :: v_dual_mov_b32 v3, 0
	v_mov_b32_e32 v1, v0
	s_and_b32 s22, s36, 28
	s_mov_b32 s0, 0
	s_mov_b64 s[24:25], s[2:3]
.LBB29_234:                             ; =>This Inner Loop Header: Depth=1
	s_clause 0x1
	s_load_b256 s[40:47], s[24:25], 0x4
	s_load_b128 s[56:59], s[24:25], 0x24
	s_load_b256 s[48:55], s[20:21], 0x0
	s_add_co_i32 s0, s0, 4
	s_wait_xcnt 0x0
	s_add_nc_u64 s[24:25], s[24:25], 48
	s_cmp_eq_u32 s22, s0
	s_add_nc_u64 s[20:21], s[20:21], 32
	s_wait_kmcnt 0x0
	v_mul_hi_u32 v4, s41, v1
	s_delay_alu instid0(VALU_DEP_1) | instskip(NEXT) | instid1(VALU_DEP_1)
	v_add_nc_u32_e32 v4, v1, v4
	v_lshrrev_b32_e32 v4, s42, v4
	s_delay_alu instid0(VALU_DEP_1) | instskip(NEXT) | instid1(VALU_DEP_1)
	v_mul_hi_u32 v5, s44, v4
	v_add_nc_u32_e32 v5, v4, v5
	s_delay_alu instid0(VALU_DEP_1) | instskip(NEXT) | instid1(VALU_DEP_1)
	v_lshrrev_b32_e32 v5, s45, v5
	v_mul_hi_u32 v6, s47, v5
	s_delay_alu instid0(VALU_DEP_1) | instskip(SKIP_1) | instid1(VALU_DEP_1)
	v_add_nc_u32_e32 v6, v5, v6
	v_mul_lo_u32 v7, v4, s40
	v_sub_nc_u32_e32 v1, v1, v7
	v_mul_lo_u32 v7, v5, s43
	s_delay_alu instid0(VALU_DEP_4) | instskip(NEXT) | instid1(VALU_DEP_3)
	v_lshrrev_b32_e32 v6, s56, v6
	v_mad_u32 v3, v1, s49, v3
	v_mad_u32 v1, v1, s48, v2
	s_delay_alu instid0(VALU_DEP_4) | instskip(NEXT) | instid1(VALU_DEP_4)
	v_sub_nc_u32_e32 v2, v4, v7
	v_mul_hi_u32 v8, s58, v6
	v_mul_lo_u32 v4, v6, s46
	s_delay_alu instid0(VALU_DEP_3) | instskip(SKIP_1) | instid1(VALU_DEP_4)
	v_mad_u32 v3, v2, s51, v3
	v_mad_u32 v2, v2, s50, v1
	v_add_nc_u32_e32 v7, v6, v8
	s_delay_alu instid0(VALU_DEP_1) | instskip(NEXT) | instid1(VALU_DEP_1)
	v_dual_sub_nc_u32 v4, v5, v4 :: v_dual_lshrrev_b32 v1, s59, v7
	v_mad_u32 v3, v4, s53, v3
	s_delay_alu instid0(VALU_DEP_4) | instskip(NEXT) | instid1(VALU_DEP_3)
	v_mad_u32 v2, v4, s52, v2
	v_mul_lo_u32 v5, v1, s57
	s_delay_alu instid0(VALU_DEP_1) | instskip(NEXT) | instid1(VALU_DEP_1)
	v_sub_nc_u32_e32 v4, v6, v5
	v_mad_u32 v3, v4, s55, v3
	s_delay_alu instid0(VALU_DEP_4)
	v_mad_u32 v2, v4, s54, v2
	s_cbranch_scc0 .LBB29_234
	s_branch .LBB29_238
.LBB29_235:
                                        ; implicit-def: $vgpr3
	s_branch .LBB29_242
.LBB29_236:
	v_dual_mov_b32 v3, 0 :: v_dual_mov_b32 v2, 0
	s_branch .LBB29_241
.LBB29_237:
	v_mov_b64_e32 v[2:3], 0
	v_mov_b32_e32 v1, v0
	s_mov_b32 s22, 0
.LBB29_238:
	s_and_b32 s0, s36, 3
	s_mov_b32 s23, 0
	s_cmp_eq_u32 s0, 0
	s_cbranch_scc1 .LBB29_241
; %bb.239:
	s_lshl_b32 s20, s22, 3
	s_mov_b32 s21, s23
	s_mul_u64 s[22:23], s[22:23], 12
	s_add_nc_u64 s[20:21], s[2:3], s[20:21]
	s_add_nc_u64 s[22:23], s[2:3], s[22:23]
	;; [unrolled: 1-line block ×3, first 2 shown]
.LBB29_240:                             ; =>This Inner Loop Header: Depth=1
	s_load_b96 s[36:38], s[22:23], 0x4
	s_load_b64 s[24:25], s[20:21], 0x0
	s_add_co_i32 s0, s0, -1
	s_wait_xcnt 0x0
	s_add_nc_u64 s[22:23], s[22:23], 12
	s_cmp_lg_u32 s0, 0
	s_add_nc_u64 s[20:21], s[20:21], 8
	s_wait_kmcnt 0x0
	v_mul_hi_u32 v4, s37, v1
	s_delay_alu instid0(VALU_DEP_1) | instskip(NEXT) | instid1(VALU_DEP_1)
	v_add_nc_u32_e32 v4, v1, v4
	v_lshrrev_b32_e32 v4, s38, v4
	s_delay_alu instid0(VALU_DEP_1) | instskip(NEXT) | instid1(VALU_DEP_1)
	v_mul_lo_u32 v5, v4, s36
	v_sub_nc_u32_e32 v1, v1, v5
	s_delay_alu instid0(VALU_DEP_1)
	v_mad_u32 v3, v1, s25, v3
	v_mad_u32 v2, v1, s24, v2
	v_mov_b32_e32 v1, v4
	s_cbranch_scc1 .LBB29_240
.LBB29_241:
	s_cbranch_execnz .LBB29_244
.LBB29_242:
	v_mov_b32_e32 v1, 0
	s_and_not1_b32 vcc_lo, exec_lo, s34
	s_delay_alu instid0(VALU_DEP_1) | instskip(NEXT) | instid1(VALU_DEP_1)
	v_mul_u64_e32 v[2:3], s[16:17], v[0:1]
	v_add_nc_u32_e32 v2, v0, v3
	s_delay_alu instid0(VALU_DEP_1) | instskip(NEXT) | instid1(VALU_DEP_1)
	v_lshrrev_b32_e32 v4, s10, v2
	v_mul_lo_u32 v2, v4, s8
	s_delay_alu instid0(VALU_DEP_1) | instskip(NEXT) | instid1(VALU_DEP_1)
	v_sub_nc_u32_e32 v0, v0, v2
	v_mul_lo_u32 v3, v0, s13
	v_mul_lo_u32 v2, v0, s12
	s_cbranch_vccnz .LBB29_244
; %bb.243:
	v_mov_b32_e32 v5, v1
	s_delay_alu instid0(VALU_DEP_1) | instskip(NEXT) | instid1(VALU_DEP_1)
	v_mul_u64_e32 v[0:1], s[18:19], v[4:5]
	v_add_nc_u32_e32 v0, v4, v1
	s_delay_alu instid0(VALU_DEP_1) | instskip(NEXT) | instid1(VALU_DEP_1)
	v_lshrrev_b32_e32 v0, s1, v0
	v_mul_lo_u32 v0, v0, s11
	s_delay_alu instid0(VALU_DEP_1) | instskip(NEXT) | instid1(VALU_DEP_1)
	v_sub_nc_u32_e32 v0, v4, v0
	v_mad_u32 v2, v0, s14, v2
	v_mad_u32 v3, v0, s15, v3
.LBB29_244:
	global_load_u16 v0, v3, s[6:7]
	s_wait_loadcnt 0x0
	v_lshlrev_b32_e32 v1, 16, v0
	s_delay_alu instid0(VALU_DEP_1)
	v_cmp_nle_f32_e32 vcc_lo, s9, v1
	v_cmp_nge_f32_e64 s0, s33, v1
	s_or_b32 vcc_lo, s0, vcc_lo
	v_cndmask_b32_e32 v0, 0, v0, vcc_lo
	global_store_b16 v2, v0, s[4:5]
	s_wait_xcnt 0x0
	s_or_b32 exec_lo, exec_lo, s26
                                        ; implicit-def: $vgpr16
                                        ; implicit-def: $vgpr0
	s_and_not1_saveexec_b32 s0, s31
	s_cbranch_execz .LBB29_221
	s_branch .LBB29_8
	.section	.rodata,"a",@progbits
	.p2align	6, 0x0
	.amdhsa_kernel _ZN2at6native32elementwise_kernel_manual_unrollILi128ELi8EZNS0_22gpu_kernel_impl_nocastIZZZNS0_12_GLOBAL__N_117hardshrink_kernelERNS_18TensorIteratorBaseERKN3c106ScalarEENKUlvE_clEvENKUlvE2_clEvEUlNS6_8BFloat16EE_EEvS5_RKT_EUlibE_EEviT1_
		.amdhsa_group_segment_fixed_size 0
		.amdhsa_private_segment_fixed_size 0
		.amdhsa_kernarg_size 360
		.amdhsa_user_sgpr_count 2
		.amdhsa_user_sgpr_dispatch_ptr 0
		.amdhsa_user_sgpr_queue_ptr 0
		.amdhsa_user_sgpr_kernarg_segment_ptr 1
		.amdhsa_user_sgpr_dispatch_id 0
		.amdhsa_user_sgpr_kernarg_preload_length 0
		.amdhsa_user_sgpr_kernarg_preload_offset 0
		.amdhsa_user_sgpr_private_segment_size 0
		.amdhsa_wavefront_size32 1
		.amdhsa_uses_dynamic_stack 0
		.amdhsa_enable_private_segment 0
		.amdhsa_system_sgpr_workgroup_id_x 1
		.amdhsa_system_sgpr_workgroup_id_y 0
		.amdhsa_system_sgpr_workgroup_id_z 0
		.amdhsa_system_sgpr_workgroup_info 0
		.amdhsa_system_vgpr_workitem_id 0
		.amdhsa_next_free_vgpr 24
		.amdhsa_next_free_sgpr 60
		.amdhsa_named_barrier_count 0
		.amdhsa_reserve_vcc 1
		.amdhsa_float_round_mode_32 0
		.amdhsa_float_round_mode_16_64 0
		.amdhsa_float_denorm_mode_32 3
		.amdhsa_float_denorm_mode_16_64 3
		.amdhsa_fp16_overflow 0
		.amdhsa_memory_ordered 1
		.amdhsa_forward_progress 1
		.amdhsa_inst_pref_size 101
		.amdhsa_round_robin_scheduling 0
		.amdhsa_exception_fp_ieee_invalid_op 0
		.amdhsa_exception_fp_denorm_src 0
		.amdhsa_exception_fp_ieee_div_zero 0
		.amdhsa_exception_fp_ieee_overflow 0
		.amdhsa_exception_fp_ieee_underflow 0
		.amdhsa_exception_fp_ieee_inexact 0
		.amdhsa_exception_int_div_zero 0
	.end_amdhsa_kernel
	.section	.text._ZN2at6native32elementwise_kernel_manual_unrollILi128ELi8EZNS0_22gpu_kernel_impl_nocastIZZZNS0_12_GLOBAL__N_117hardshrink_kernelERNS_18TensorIteratorBaseERKN3c106ScalarEENKUlvE_clEvENKUlvE2_clEvEUlNS6_8BFloat16EE_EEvS5_RKT_EUlibE_EEviT1_,"axG",@progbits,_ZN2at6native32elementwise_kernel_manual_unrollILi128ELi8EZNS0_22gpu_kernel_impl_nocastIZZZNS0_12_GLOBAL__N_117hardshrink_kernelERNS_18TensorIteratorBaseERKN3c106ScalarEENKUlvE_clEvENKUlvE2_clEvEUlNS6_8BFloat16EE_EEvS5_RKT_EUlibE_EEviT1_,comdat
.Lfunc_end29:
	.size	_ZN2at6native32elementwise_kernel_manual_unrollILi128ELi8EZNS0_22gpu_kernel_impl_nocastIZZZNS0_12_GLOBAL__N_117hardshrink_kernelERNS_18TensorIteratorBaseERKN3c106ScalarEENKUlvE_clEvENKUlvE2_clEvEUlNS6_8BFloat16EE_EEvS5_RKT_EUlibE_EEviT1_, .Lfunc_end29-_ZN2at6native32elementwise_kernel_manual_unrollILi128ELi8EZNS0_22gpu_kernel_impl_nocastIZZZNS0_12_GLOBAL__N_117hardshrink_kernelERNS_18TensorIteratorBaseERKN3c106ScalarEENKUlvE_clEvENKUlvE2_clEvEUlNS6_8BFloat16EE_EEvS5_RKT_EUlibE_EEviT1_
                                        ; -- End function
	.set _ZN2at6native32elementwise_kernel_manual_unrollILi128ELi8EZNS0_22gpu_kernel_impl_nocastIZZZNS0_12_GLOBAL__N_117hardshrink_kernelERNS_18TensorIteratorBaseERKN3c106ScalarEENKUlvE_clEvENKUlvE2_clEvEUlNS6_8BFloat16EE_EEvS5_RKT_EUlibE_EEviT1_.num_vgpr, 24
	.set _ZN2at6native32elementwise_kernel_manual_unrollILi128ELi8EZNS0_22gpu_kernel_impl_nocastIZZZNS0_12_GLOBAL__N_117hardshrink_kernelERNS_18TensorIteratorBaseERKN3c106ScalarEENKUlvE_clEvENKUlvE2_clEvEUlNS6_8BFloat16EE_EEvS5_RKT_EUlibE_EEviT1_.num_agpr, 0
	.set _ZN2at6native32elementwise_kernel_manual_unrollILi128ELi8EZNS0_22gpu_kernel_impl_nocastIZZZNS0_12_GLOBAL__N_117hardshrink_kernelERNS_18TensorIteratorBaseERKN3c106ScalarEENKUlvE_clEvENKUlvE2_clEvEUlNS6_8BFloat16EE_EEvS5_RKT_EUlibE_EEviT1_.numbered_sgpr, 60
	.set _ZN2at6native32elementwise_kernel_manual_unrollILi128ELi8EZNS0_22gpu_kernel_impl_nocastIZZZNS0_12_GLOBAL__N_117hardshrink_kernelERNS_18TensorIteratorBaseERKN3c106ScalarEENKUlvE_clEvENKUlvE2_clEvEUlNS6_8BFloat16EE_EEvS5_RKT_EUlibE_EEviT1_.num_named_barrier, 0
	.set _ZN2at6native32elementwise_kernel_manual_unrollILi128ELi8EZNS0_22gpu_kernel_impl_nocastIZZZNS0_12_GLOBAL__N_117hardshrink_kernelERNS_18TensorIteratorBaseERKN3c106ScalarEENKUlvE_clEvENKUlvE2_clEvEUlNS6_8BFloat16EE_EEvS5_RKT_EUlibE_EEviT1_.private_seg_size, 0
	.set _ZN2at6native32elementwise_kernel_manual_unrollILi128ELi8EZNS0_22gpu_kernel_impl_nocastIZZZNS0_12_GLOBAL__N_117hardshrink_kernelERNS_18TensorIteratorBaseERKN3c106ScalarEENKUlvE_clEvENKUlvE2_clEvEUlNS6_8BFloat16EE_EEvS5_RKT_EUlibE_EEviT1_.uses_vcc, 1
	.set _ZN2at6native32elementwise_kernel_manual_unrollILi128ELi8EZNS0_22gpu_kernel_impl_nocastIZZZNS0_12_GLOBAL__N_117hardshrink_kernelERNS_18TensorIteratorBaseERKN3c106ScalarEENKUlvE_clEvENKUlvE2_clEvEUlNS6_8BFloat16EE_EEvS5_RKT_EUlibE_EEviT1_.uses_flat_scratch, 0
	.set _ZN2at6native32elementwise_kernel_manual_unrollILi128ELi8EZNS0_22gpu_kernel_impl_nocastIZZZNS0_12_GLOBAL__N_117hardshrink_kernelERNS_18TensorIteratorBaseERKN3c106ScalarEENKUlvE_clEvENKUlvE2_clEvEUlNS6_8BFloat16EE_EEvS5_RKT_EUlibE_EEviT1_.has_dyn_sized_stack, 0
	.set _ZN2at6native32elementwise_kernel_manual_unrollILi128ELi8EZNS0_22gpu_kernel_impl_nocastIZZZNS0_12_GLOBAL__N_117hardshrink_kernelERNS_18TensorIteratorBaseERKN3c106ScalarEENKUlvE_clEvENKUlvE2_clEvEUlNS6_8BFloat16EE_EEvS5_RKT_EUlibE_EEviT1_.has_recursion, 0
	.set _ZN2at6native32elementwise_kernel_manual_unrollILi128ELi8EZNS0_22gpu_kernel_impl_nocastIZZZNS0_12_GLOBAL__N_117hardshrink_kernelERNS_18TensorIteratorBaseERKN3c106ScalarEENKUlvE_clEvENKUlvE2_clEvEUlNS6_8BFloat16EE_EEvS5_RKT_EUlibE_EEviT1_.has_indirect_call, 0
	.section	.AMDGPU.csdata,"",@progbits
; Kernel info:
; codeLenInByte = 12808
; TotalNumSgprs: 62
; NumVgprs: 24
; ScratchSize: 0
; MemoryBound: 0
; FloatMode: 240
; IeeeMode: 1
; LDSByteSize: 0 bytes/workgroup (compile time only)
; SGPRBlocks: 0
; VGPRBlocks: 1
; NumSGPRsForWavesPerEU: 62
; NumVGPRsForWavesPerEU: 24
; NamedBarCnt: 0
; Occupancy: 16
; WaveLimiterHint : 1
; COMPUTE_PGM_RSRC2:SCRATCH_EN: 0
; COMPUTE_PGM_RSRC2:USER_SGPR: 2
; COMPUTE_PGM_RSRC2:TRAP_HANDLER: 0
; COMPUTE_PGM_RSRC2:TGID_X_EN: 1
; COMPUTE_PGM_RSRC2:TGID_Y_EN: 0
; COMPUTE_PGM_RSRC2:TGID_Z_EN: 0
; COMPUTE_PGM_RSRC2:TIDIG_COMP_CNT: 0
	.section	.text._ZN2at6native32elementwise_kernel_manual_unrollILi128ELi4EZNS0_15gpu_kernel_implIZZZNS0_12_GLOBAL__N_117hardshrink_kernelERNS_18TensorIteratorBaseERKN3c106ScalarEENKUlvE_clEvENKUlvE2_clEvEUlNS6_8BFloat16EE_EEvS5_RKT_EUlibE_EEviT1_,"axG",@progbits,_ZN2at6native32elementwise_kernel_manual_unrollILi128ELi4EZNS0_15gpu_kernel_implIZZZNS0_12_GLOBAL__N_117hardshrink_kernelERNS_18TensorIteratorBaseERKN3c106ScalarEENKUlvE_clEvENKUlvE2_clEvEUlNS6_8BFloat16EE_EEvS5_RKT_EUlibE_EEviT1_,comdat
	.globl	_ZN2at6native32elementwise_kernel_manual_unrollILi128ELi4EZNS0_15gpu_kernel_implIZZZNS0_12_GLOBAL__N_117hardshrink_kernelERNS_18TensorIteratorBaseERKN3c106ScalarEENKUlvE_clEvENKUlvE2_clEvEUlNS6_8BFloat16EE_EEvS5_RKT_EUlibE_EEviT1_ ; -- Begin function _ZN2at6native32elementwise_kernel_manual_unrollILi128ELi4EZNS0_15gpu_kernel_implIZZZNS0_12_GLOBAL__N_117hardshrink_kernelERNS_18TensorIteratorBaseERKN3c106ScalarEENKUlvE_clEvENKUlvE2_clEvEUlNS6_8BFloat16EE_EEvS5_RKT_EUlibE_EEviT1_
	.p2align	8
	.type	_ZN2at6native32elementwise_kernel_manual_unrollILi128ELi4EZNS0_15gpu_kernel_implIZZZNS0_12_GLOBAL__N_117hardshrink_kernelERNS_18TensorIteratorBaseERKN3c106ScalarEENKUlvE_clEvENKUlvE2_clEvEUlNS6_8BFloat16EE_EEvS5_RKT_EUlibE_EEviT1_,@function
_ZN2at6native32elementwise_kernel_manual_unrollILi128ELi4EZNS0_15gpu_kernel_implIZZZNS0_12_GLOBAL__N_117hardshrink_kernelERNS_18TensorIteratorBaseERKN3c106ScalarEENKUlvE_clEvENKUlvE2_clEvEUlNS6_8BFloat16EE_EEvS5_RKT_EUlibE_EEviT1_: ; @_ZN2at6native32elementwise_kernel_manual_unrollILi128ELi4EZNS0_15gpu_kernel_implIZZZNS0_12_GLOBAL__N_117hardshrink_kernelERNS_18TensorIteratorBaseERKN3c106ScalarEENKUlvE_clEvENKUlvE2_clEvEUlNS6_8BFloat16EE_EEvS5_RKT_EUlibE_EEviT1_
; %bb.0:
	v_mov_b32_e32 v1, 0
	s_bfe_u32 s4, ttmp6, 0x4000c
	s_and_b32 s3, ttmp6, 15
	s_add_co_i32 s12, s4, 1
	s_clause 0x1
	s_load_b32 s14, s[0:1], 0x0
	s_load_b128 s[4:7], s[0:1], 0x8
	global_load_u16 v1, v1, s[0:1] offset:34
	s_load_b96 s[8:10], s[0:1], 0x18
	s_wait_xcnt 0x0
	s_mul_i32 s0, ttmp9, s12
	s_getreg_b32 s11, hwreg(HW_REG_IB_STS2, 6, 4)
	s_add_co_i32 s3, s3, s0
	s_wait_kmcnt 0x0
	s_and_b32 s1, s10, 0xffff
	s_wait_loadcnt 0x0
	v_readfirstlane_b32 s2, v1
	s_and_b32 s12, 0xffff, s2
	s_delay_alu instid0(SALU_CYCLE_1)
	s_lshr_b32 s10, s12, 8
	s_cmp_eq_u32 s11, 0
	s_mov_b32 s12, 0
	s_cselect_b32 s0, ttmp9, s3
	s_mov_b32 s3, 0
	v_lshl_or_b32 v4, s0, 9, v0
	s_mov_b32 s0, exec_lo
	s_delay_alu instid0(VALU_DEP_1) | instskip(NEXT) | instid1(VALU_DEP_1)
	v_or_b32_e32 v0, 0x180, v4
	v_cmpx_le_i32_e64 s14, v0
	s_xor_b32 s11, exec_lo, s0
	s_cbranch_execz .LBB30_1028
; %bb.1:
	s_lshl_b32 s12, s1, 16
	s_mov_b32 s20, -1
	s_xor_b32 s0, s12, 0x80000000
	s_mov_b32 s18, 0
	s_bfe_u32 s13, s0, 0x10010
	s_mov_b32 s16, 0
	s_add_co_i32 s0, s0, s13
	s_mov_b32 s15, 0
	s_addk_co_i32 s0, 0x7fff
	s_mov_b32 s17, exec_lo
	s_and_b32 s0, s0, 0xffff0000
	s_cmp_o_f32 s12, s12
	s_cselect_b32 s13, s0, 0x7fc00000
	v_cmpx_gt_i32_e64 s14, v4
	s_cbranch_execz .LBB30_252
; %bb.2:
	v_mul_lo_u32 v0, v4, s9
	s_and_b32 s0, 0xffff, s10
	s_delay_alu instid0(SALU_CYCLE_1) | instskip(NEXT) | instid1(VALU_DEP_1)
	s_cmp_lt_i32 s0, 11
	v_ashrrev_i32_e32 v1, 31, v0
	s_delay_alu instid0(VALU_DEP_1)
	v_add_nc_u64_e32 v[0:1], s[6:7], v[0:1]
	s_cbranch_scc1 .LBB30_9
; %bb.3:
	s_cmp_gt_i32 s0, 25
	s_cbranch_scc0 .LBB30_57
; %bb.4:
	s_cmp_gt_i32 s0, 28
	s_cbranch_scc0 .LBB30_58
	;; [unrolled: 3-line block ×4, first 2 shown]
; %bb.7:
	s_cmp_eq_u32 s0, 46
	s_mov_b32 s19, 0
	s_cbranch_scc0 .LBB30_64
; %bb.8:
	global_load_b32 v2, v[0:1], off
	s_mov_b32 s15, -1
	s_branch .LBB30_66
.LBB30_9:
                                        ; implicit-def: $vgpr2
	s_cbranch_execnz .LBB30_202
.LBB30_10:
	s_and_not1_b32 vcc_lo, exec_lo, s15
	s_cbranch_vccnz .LBB30_249
.LBB30_11:
	s_wait_xcnt 0x0
	v_mul_lo_u32 v0, v4, s8
	s_wait_loadcnt 0x0
	v_lshlrev_b32_e32 v3, 16, v2
	s_and_b32 s19, s2, 0xff
	s_mov_b32 s15, 0
	s_mov_b32 s20, -1
	s_delay_alu instid0(VALU_DEP_2) | instskip(SKIP_2) | instid1(VALU_DEP_3)
	v_ashrrev_i32_e32 v1, 31, v0
	v_cmp_nle_f32_e32 vcc_lo, s13, v3
	v_cmp_nge_f32_e64 s0, s12, v3
	v_add_nc_u64_e32 v[0:1], s[4:5], v[0:1]
	s_or_b32 vcc_lo, s0, vcc_lo
	s_cmp_lt_i32 s19, 11
	v_cndmask_b32_e32 v2, 0, v2, vcc_lo
	s_mov_b32 s0, 0
	s_cbranch_scc1 .LBB30_18
; %bb.12:
	s_and_b32 s20, 0xffff, s19
	s_delay_alu instid0(SALU_CYCLE_1)
	s_cmp_gt_i32 s20, 25
	s_cbranch_scc0 .LBB30_59
; %bb.13:
	s_cmp_gt_i32 s20, 28
	s_cbranch_scc0 .LBB30_61
; %bb.14:
	s_cmp_gt_i32 s20, 43
	s_cbranch_scc0 .LBB30_63
; %bb.15:
	s_cmp_gt_i32 s20, 45
	s_cbranch_scc0 .LBB30_69
; %bb.16:
	s_mov_b32 s21, 0
	s_mov_b32 s15, -1
	s_cmp_eq_u32 s20, 46
	s_cbranch_scc0 .LBB30_70
; %bb.17:
	v_and_b32_e32 v3, 0xffff, v2
	s_mov_b32 s0, -1
	s_mov_b32 s15, 0
	global_store_b32 v[0:1], v3, off
	s_branch .LBB30_70
.LBB30_18:
	s_and_b32 vcc_lo, exec_lo, s20
	s_cbranch_vccz .LBB30_139
; %bb.19:
	s_and_b32 s0, 0xffff, s19
	s_mov_b32 s19, -1
	s_cmp_lt_i32 s0, 5
	s_cbranch_scc1 .LBB30_40
; %bb.20:
	s_cmp_lt_i32 s0, 8
	s_cbranch_scc1 .LBB30_30
; %bb.21:
	;; [unrolled: 3-line block ×3, first 2 shown]
	s_cmp_gt_i32 s0, 9
	s_cbranch_scc0 .LBB30_24
; %bb.23:
	s_wait_xcnt 0x0
	v_dual_mov_b32 v8, 0 :: v_dual_lshlrev_b32 v3, 16, v2
	s_mov_b32 s19, 0
	s_delay_alu instid0(VALU_DEP_1) | instskip(NEXT) | instid1(VALU_DEP_2)
	v_cvt_f64_f32_e32 v[6:7], v3
	v_mov_b32_e32 v9, v8
	global_store_b128 v[0:1], v[6:9], off
.LBB30_24:
	s_and_not1_b32 vcc_lo, exec_lo, s19
	s_cbranch_vccnz .LBB30_26
; %bb.25:
	s_wait_xcnt 0x0
	v_dual_mov_b32 v7, 0 :: v_dual_lshlrev_b32 v6, 16, v2
	global_store_b64 v[0:1], v[6:7], off
.LBB30_26:
	s_mov_b32 s19, 0
.LBB30_27:
	s_delay_alu instid0(SALU_CYCLE_1)
	s_and_not1_b32 vcc_lo, exec_lo, s19
	s_cbranch_vccnz .LBB30_29
; %bb.28:
	s_wait_xcnt 0x0
	v_lshlrev_b32_e32 v3, 16, v2
	s_delay_alu instid0(VALU_DEP_1) | instskip(NEXT) | instid1(VALU_DEP_1)
	v_cvt_f16_f32_e32 v3, v3
	v_and_b32_e32 v3, 0xffff, v3
	global_store_b32 v[0:1], v3, off
.LBB30_29:
	s_mov_b32 s19, 0
.LBB30_30:
	s_delay_alu instid0(SALU_CYCLE_1)
	s_and_not1_b32 vcc_lo, exec_lo, s19
	s_cbranch_vccnz .LBB30_39
; %bb.31:
	s_cmp_lt_i32 s0, 6
	s_mov_b32 s19, -1
	s_cbranch_scc1 .LBB30_37
; %bb.32:
	s_cmp_gt_i32 s0, 6
	s_cbranch_scc0 .LBB30_34
; %bb.33:
	s_wait_xcnt 0x0
	v_lshlrev_b32_e32 v3, 16, v2
	s_mov_b32 s19, 0
	s_delay_alu instid0(VALU_DEP_1)
	v_cvt_f64_f32_e32 v[6:7], v3
	global_store_b64 v[0:1], v[6:7], off
.LBB30_34:
	s_and_not1_b32 vcc_lo, exec_lo, s19
	s_cbranch_vccnz .LBB30_36
; %bb.35:
	s_wait_xcnt 0x0
	v_lshlrev_b32_e32 v3, 16, v2
	global_store_b32 v[0:1], v3, off
.LBB30_36:
	s_mov_b32 s19, 0
.LBB30_37:
	s_delay_alu instid0(SALU_CYCLE_1)
	s_and_not1_b32 vcc_lo, exec_lo, s19
	s_cbranch_vccnz .LBB30_39
; %bb.38:
	s_wait_xcnt 0x0
	v_lshlrev_b32_e32 v3, 16, v2
	s_delay_alu instid0(VALU_DEP_1)
	v_cvt_f16_f32_e32 v3, v3
	global_store_b16 v[0:1], v3, off
.LBB30_39:
	s_mov_b32 s19, 0
.LBB30_40:
	s_delay_alu instid0(SALU_CYCLE_1)
	s_and_not1_b32 vcc_lo, exec_lo, s19
	s_cbranch_vccnz .LBB30_56
; %bb.41:
	s_cmp_lt_i32 s0, 2
	s_mov_b32 s19, -1
	s_cbranch_scc1 .LBB30_51
; %bb.42:
	s_cmp_lt_i32 s0, 3
	s_cbranch_scc1 .LBB30_48
; %bb.43:
	s_cmp_gt_i32 s0, 3
	s_cbranch_scc0 .LBB30_45
; %bb.44:
	s_wait_xcnt 0x0
	v_lshlrev_b32_e32 v3, 16, v2
	s_mov_b32 s19, 0
	s_delay_alu instid0(VALU_DEP_1) | instskip(NEXT) | instid1(VALU_DEP_1)
	v_trunc_f32_e32 v3, v3
	v_mul_f32_e64 v5, 0x2f800000, |v3|
	v_ashrrev_i32_e32 v6, 31, v3
	s_delay_alu instid0(VALU_DEP_2) | instskip(NEXT) | instid1(VALU_DEP_1)
	v_floor_f32_e32 v5, v5
	v_fma_f32 v7, 0xcf800000, v5, |v3|
	v_cvt_u32_f32_e32 v3, v5
	s_delay_alu instid0(VALU_DEP_2) | instskip(NEXT) | instid1(VALU_DEP_2)
	v_cvt_u32_f32_e32 v5, v7
	v_dual_mov_b32 v7, v6 :: v_dual_bitop2_b32 v9, v3, v6 bitop3:0x14
	s_delay_alu instid0(VALU_DEP_2) | instskip(NEXT) | instid1(VALU_DEP_1)
	v_xor_b32_e32 v8, v5, v6
	v_sub_nc_u64_e32 v[6:7], v[8:9], v[6:7]
	global_store_b64 v[0:1], v[6:7], off
.LBB30_45:
	s_and_not1_b32 vcc_lo, exec_lo, s19
	s_cbranch_vccnz .LBB30_47
; %bb.46:
	s_wait_xcnt 0x0
	v_lshlrev_b32_e32 v3, 16, v2
	s_delay_alu instid0(VALU_DEP_1)
	v_cvt_i32_f32_e32 v3, v3
	global_store_b32 v[0:1], v3, off
.LBB30_47:
	s_mov_b32 s19, 0
.LBB30_48:
	s_delay_alu instid0(SALU_CYCLE_1)
	s_and_not1_b32 vcc_lo, exec_lo, s19
	s_cbranch_vccnz .LBB30_50
; %bb.49:
	s_wait_xcnt 0x0
	v_lshlrev_b32_e32 v3, 16, v2
	s_delay_alu instid0(VALU_DEP_1)
	v_cvt_i32_f32_e32 v3, v3
	global_store_b16 v[0:1], v3, off
.LBB30_50:
	s_mov_b32 s19, 0
.LBB30_51:
	s_delay_alu instid0(SALU_CYCLE_1)
	s_and_not1_b32 vcc_lo, exec_lo, s19
	s_cbranch_vccnz .LBB30_56
; %bb.52:
	s_wait_xcnt 0x0
	v_lshlrev_b32_e32 v2, 16, v2
	s_cmp_gt_i32 s0, 0
	s_mov_b32 s0, -1
	s_cbranch_scc0 .LBB30_54
; %bb.53:
	s_delay_alu instid0(VALU_DEP_1)
	v_cvt_i32_f32_e32 v3, v2
	s_mov_b32 s0, 0
	global_store_b8 v[0:1], v3, off
.LBB30_54:
	s_and_not1_b32 vcc_lo, exec_lo, s0
	s_cbranch_vccnz .LBB30_56
; %bb.55:
	v_trunc_f32_e32 v2, v2
	s_wait_xcnt 0x0
	s_delay_alu instid0(VALU_DEP_1) | instskip(NEXT) | instid1(VALU_DEP_1)
	v_mul_f32_e64 v3, 0x2f800000, |v2|
	v_floor_f32_e32 v3, v3
	s_delay_alu instid0(VALU_DEP_1) | instskip(SKIP_1) | instid1(VALU_DEP_2)
	v_fma_f32 v3, 0xcf800000, v3, |v2|
	v_ashrrev_i32_e32 v2, 31, v2
	v_cvt_u32_f32_e32 v3, v3
	s_delay_alu instid0(VALU_DEP_1) | instskip(NEXT) | instid1(VALU_DEP_1)
	v_xor_b32_e32 v3, v3, v2
	v_sub_nc_u32_e32 v2, v3, v2
	global_store_b8 v[0:1], v2, off
.LBB30_56:
	s_branch .LBB30_140
.LBB30_57:
                                        ; implicit-def: $vgpr2
	s_cbranch_execnz .LBB30_167
	s_branch .LBB30_201
.LBB30_58:
	s_mov_b32 s19, -1
                                        ; implicit-def: $vgpr2
	s_branch .LBB30_148
.LBB30_59:
	s_mov_b32 s21, -1
	s_branch .LBB30_97
.LBB30_60:
	s_mov_b32 s19, -1
                                        ; implicit-def: $vgpr2
	s_branch .LBB30_143
.LBB30_61:
	s_mov_b32 s21, -1
	s_branch .LBB30_80
.LBB30_62:
	s_mov_b32 s19, -1
	s_branch .LBB30_65
.LBB30_63:
	s_mov_b32 s21, -1
	s_branch .LBB30_76
.LBB30_64:
	s_mov_b32 s16, -1
.LBB30_65:
                                        ; implicit-def: $vgpr2
.LBB30_66:
	s_and_b32 vcc_lo, exec_lo, s19
	s_cbranch_vccz .LBB30_142
; %bb.67:
	s_cmp_eq_u32 s0, 44
	s_cbranch_scc0 .LBB30_141
; %bb.68:
	s_wait_loadcnt 0x0
	global_load_u8 v2, v[0:1], off
	s_mov_b32 s16, 0
	s_mov_b32 s15, -1
	s_wait_loadcnt 0x0
	v_lshlrev_b32_e32 v3, 23, v2
	v_cmp_ne_u32_e32 vcc_lo, 0xff, v2
	s_delay_alu instid0(VALU_DEP_2) | instskip(SKIP_1) | instid1(VALU_DEP_2)
	v_cndmask_b32_e32 v3, 0x7f800001, v3, vcc_lo
	v_cmp_ne_u32_e32 vcc_lo, 0, v2
	v_cndmask_b32_e32 v2, 0x400000, v3, vcc_lo
	s_delay_alu instid0(VALU_DEP_1) | instskip(NEXT) | instid1(VALU_DEP_1)
	v_add_nc_u32_e32 v3, 0x7fff, v2
	v_lshrrev_b32_e32 v3, 16, v3
	v_cmp_o_f32_e32 vcc_lo, v2, v2
	s_delay_alu instid0(VALU_DEP_2)
	v_cndmask_b32_e32 v2, 0x7fc0, v3, vcc_lo
	s_branch .LBB30_142
.LBB30_69:
	s_mov_b32 s21, -1
.LBB30_70:
	s_delay_alu instid0(SALU_CYCLE_1)
	s_and_b32 vcc_lo, exec_lo, s21
	s_cbranch_vccz .LBB30_75
; %bb.71:
	s_cmp_eq_u32 s20, 44
	s_mov_b32 s15, -1
	s_cbranch_scc0 .LBB30_75
; %bb.72:
	s_wait_xcnt 0x0
	v_and_b32_e32 v3, 0xffff, v2
	v_mov_b32_e32 v5, 0xff
	s_mov_b32 s15, exec_lo
	s_delay_alu instid0(VALU_DEP_2) | instskip(NEXT) | instid1(VALU_DEP_1)
	v_bfe_u32 v6, v3, 7, 8
	v_cmpx_ne_u32_e32 0xff, v6
	s_cbranch_execz .LBB30_74
; %bb.73:
	v_dual_lshlrev_b32 v5, 16, v3 :: v_dual_bitop2_b32 v7, 64, v3 bitop3:0x40
	v_lshrrev_b32_e32 v3, 7, v3
	s_delay_alu instid0(VALU_DEP_2) | instskip(NEXT) | instid1(VALU_DEP_3)
	v_and_or_b32 v5, 0x3f0000, v5, v6
	v_cmp_ne_u32_e32 vcc_lo, 0, v7
	s_delay_alu instid0(VALU_DEP_2) | instskip(SKIP_1) | instid1(SALU_CYCLE_1)
	v_cmp_ne_u32_e64 s0, 0, v5
	s_and_b32 s0, vcc_lo, s0
	v_cndmask_b32_e64 v5, 0, 1, s0
	s_delay_alu instid0(VALU_DEP_1)
	v_add_nc_u32_e32 v5, v3, v5
.LBB30_74:
	s_or_b32 exec_lo, exec_lo, s15
	s_mov_b32 s0, -1
	s_mov_b32 s15, 0
	global_store_b8 v[0:1], v5, off
.LBB30_75:
	s_mov_b32 s21, 0
.LBB30_76:
	s_delay_alu instid0(SALU_CYCLE_1)
	s_and_b32 vcc_lo, exec_lo, s21
	s_cbranch_vccz .LBB30_79
; %bb.77:
	s_cmp_eq_u32 s20, 29
	s_mov_b32 s15, -1
	s_cbranch_scc0 .LBB30_79
; %bb.78:
	s_wait_xcnt 0x0
	v_lshlrev_b32_e32 v3, 16, v2
	s_mov_b32 s0, -1
	s_mov_b32 s15, 0
	s_mov_b32 s21, 0
	s_delay_alu instid0(VALU_DEP_1) | instskip(NEXT) | instid1(VALU_DEP_1)
	v_trunc_f32_e32 v3, v3
	v_mul_f32_e32 v5, 0x2f800000, v3
	s_delay_alu instid0(VALU_DEP_1) | instskip(NEXT) | instid1(VALU_DEP_1)
	v_floor_f32_e32 v5, v5
	v_fmamk_f32 v3, v5, 0xcf800000, v3
	v_cvt_u32_f32_e32 v7, v5
	s_delay_alu instid0(VALU_DEP_2)
	v_cvt_u32_f32_e32 v6, v3
	global_store_b64 v[0:1], v[6:7], off
	s_branch .LBB30_80
.LBB30_79:
	s_mov_b32 s21, 0
.LBB30_80:
	s_delay_alu instid0(SALU_CYCLE_1)
	s_and_b32 vcc_lo, exec_lo, s21
	s_cbranch_vccz .LBB30_96
; %bb.81:
	s_cmp_lt_i32 s20, 27
	s_mov_b32 s0, -1
	s_cbranch_scc1 .LBB30_87
; %bb.82:
	s_cmp_gt_i32 s20, 27
	s_cbranch_scc0 .LBB30_84
; %bb.83:
	s_wait_xcnt 0x0
	v_lshlrev_b32_e32 v3, 16, v2
	s_mov_b32 s0, 0
	s_delay_alu instid0(VALU_DEP_1)
	v_cvt_u32_f32_e32 v3, v3
	global_store_b32 v[0:1], v3, off
.LBB30_84:
	s_and_not1_b32 vcc_lo, exec_lo, s0
	s_cbranch_vccnz .LBB30_86
; %bb.85:
	s_wait_xcnt 0x0
	v_lshlrev_b32_e32 v3, 16, v2
	s_delay_alu instid0(VALU_DEP_1)
	v_cvt_u32_f32_e32 v3, v3
	global_store_b16 v[0:1], v3, off
.LBB30_86:
	s_mov_b32 s0, 0
.LBB30_87:
	s_delay_alu instid0(SALU_CYCLE_1)
	s_and_not1_b32 vcc_lo, exec_lo, s0
	s_cbranch_vccnz .LBB30_95
; %bb.88:
	s_wait_xcnt 0x0
	v_dual_mov_b32 v7, 0x80 :: v_dual_lshlrev_b32 v6, 16, v2
	s_mov_b32 s0, exec_lo
	s_delay_alu instid0(VALU_DEP_1) | instskip(NEXT) | instid1(VALU_DEP_1)
	v_and_b32_e32 v5, 0x7fffffff, v6
	v_cmpx_gt_u32_e32 0x43800000, v5
	s_cbranch_execz .LBB30_94
; %bb.89:
	v_and_b32_e32 v3, 0xffff, v2
	v_cmp_lt_u32_e32 vcc_lo, 0x3bffffff, v5
	s_mov_b32 s21, 0
                                        ; implicit-def: $vgpr5
	s_and_saveexec_b32 s22, vcc_lo
	s_delay_alu instid0(SALU_CYCLE_1)
	s_xor_b32 s22, exec_lo, s22
	s_cbranch_execz .LBB30_318
; %bb.90:
	v_bfe_u32 v5, v3, 4, 1
	s_mov_b32 s21, exec_lo
	s_delay_alu instid0(VALU_DEP_1) | instskip(NEXT) | instid1(VALU_DEP_1)
	v_add3_u32 v5, v6, v5, 0x487ffff
                                        ; implicit-def: $vgpr6
	v_lshrrev_b32_e32 v5, 20, v5
	s_and_not1_saveexec_b32 s22, s22
	s_cbranch_execnz .LBB30_319
.LBB30_91:
	s_or_b32 exec_lo, exec_lo, s22
	v_mov_b32_e32 v7, 0
	s_and_saveexec_b32 s22, s21
.LBB30_92:
	v_lshrrev_b32_e32 v3, 8, v3
	s_delay_alu instid0(VALU_DEP_1)
	v_and_or_b32 v7, 0x80, v3, v5
.LBB30_93:
	s_or_b32 exec_lo, exec_lo, s22
.LBB30_94:
	s_delay_alu instid0(SALU_CYCLE_1)
	s_or_b32 exec_lo, exec_lo, s0
	global_store_b8 v[0:1], v7, off
.LBB30_95:
	s_mov_b32 s0, -1
.LBB30_96:
	s_mov_b32 s21, 0
.LBB30_97:
	s_delay_alu instid0(SALU_CYCLE_1)
	s_and_b32 vcc_lo, exec_lo, s21
	s_cbranch_vccz .LBB30_138
; %bb.98:
	s_cmp_gt_i32 s20, 22
	s_mov_b32 s21, -1
	s_cbranch_scc0 .LBB30_130
; %bb.99:
	s_cmp_lt_i32 s20, 24
	s_mov_b32 s0, -1
	s_cbranch_scc1 .LBB30_119
; %bb.100:
	s_cmp_gt_i32 s20, 24
	s_cbranch_scc0 .LBB30_108
; %bb.101:
	s_wait_xcnt 0x0
	v_dual_mov_b32 v7, 0x80 :: v_dual_lshlrev_b32 v6, 16, v2
	s_mov_b32 s0, exec_lo
	s_delay_alu instid0(VALU_DEP_1) | instskip(NEXT) | instid1(VALU_DEP_1)
	v_and_b32_e32 v5, 0x7fffffff, v6
	v_cmpx_gt_u32_e32 0x47800000, v5
	s_cbranch_execz .LBB30_107
; %bb.102:
	v_and_b32_e32 v3, 0xffff, v2
	v_cmp_lt_u32_e32 vcc_lo, 0x37ffffff, v5
	s_mov_b32 s21, 0
                                        ; implicit-def: $vgpr5
	s_and_saveexec_b32 s22, vcc_lo
	s_delay_alu instid0(SALU_CYCLE_1)
	s_xor_b32 s22, exec_lo, s22
	s_cbranch_execz .LBB30_322
; %bb.103:
	v_bfe_u32 v5, v3, 5, 1
	s_mov_b32 s21, exec_lo
	s_delay_alu instid0(VALU_DEP_1) | instskip(NEXT) | instid1(VALU_DEP_1)
	v_add3_u32 v5, v6, v5, 0x88fffff
                                        ; implicit-def: $vgpr6
	v_lshrrev_b32_e32 v5, 21, v5
	s_and_not1_saveexec_b32 s22, s22
	s_cbranch_execnz .LBB30_323
.LBB30_104:
	s_or_b32 exec_lo, exec_lo, s22
	v_mov_b32_e32 v7, 0
	s_and_saveexec_b32 s22, s21
.LBB30_105:
	v_lshrrev_b32_e32 v3, 8, v3
	s_delay_alu instid0(VALU_DEP_1)
	v_and_or_b32 v7, 0x80, v3, v5
.LBB30_106:
	s_or_b32 exec_lo, exec_lo, s22
.LBB30_107:
	s_delay_alu instid0(SALU_CYCLE_1)
	s_or_b32 exec_lo, exec_lo, s0
	s_mov_b32 s0, 0
	global_store_b8 v[0:1], v7, off
.LBB30_108:
	s_and_b32 vcc_lo, exec_lo, s0
	s_cbranch_vccz .LBB30_118
; %bb.109:
	s_wait_xcnt 0x0
	v_lshlrev_b32_e32 v6, 16, v2
	v_and_b32_e32 v3, 0xffff, v2
	s_mov_b32 s0, exec_lo
                                        ; implicit-def: $vgpr5
	s_delay_alu instid0(VALU_DEP_2) | instskip(NEXT) | instid1(VALU_DEP_1)
	v_and_b32_e32 v7, 0x7fffffff, v6
	v_cmpx_gt_u32_e32 0x43f00000, v7
	s_xor_b32 s0, exec_lo, s0
	s_cbranch_execz .LBB30_115
; %bb.110:
	s_mov_b32 s21, exec_lo
                                        ; implicit-def: $vgpr5
	v_cmpx_lt_u32_e32 0x3c7fffff, v7
	s_xor_b32 s21, exec_lo, s21
; %bb.111:
	v_bfe_u32 v5, v3, 4, 1
	s_delay_alu instid0(VALU_DEP_1) | instskip(NEXT) | instid1(VALU_DEP_1)
	v_add3_u32 v5, v6, v5, 0x407ffff
	v_and_b32_e32 v6, 0xff00000, v5
	v_lshrrev_b32_e32 v5, 20, v5
	s_delay_alu instid0(VALU_DEP_2) | instskip(NEXT) | instid1(VALU_DEP_2)
	v_cmp_ne_u32_e32 vcc_lo, 0x7f00000, v6
                                        ; implicit-def: $vgpr6
	v_cndmask_b32_e32 v5, 0x7e, v5, vcc_lo
; %bb.112:
	s_and_not1_saveexec_b32 s21, s21
; %bb.113:
	v_add_f32_e64 v5, 0x46800000, |v6|
; %bb.114:
	s_or_b32 exec_lo, exec_lo, s21
                                        ; implicit-def: $vgpr7
.LBB30_115:
	s_and_not1_saveexec_b32 s0, s0
; %bb.116:
	v_mov_b32_e32 v5, 0x7f
	v_cmp_lt_u32_e32 vcc_lo, 0x7f800000, v7
	s_delay_alu instid0(VALU_DEP_2)
	v_cndmask_b32_e32 v5, 0x7e, v5, vcc_lo
; %bb.117:
	s_or_b32 exec_lo, exec_lo, s0
	v_lshrrev_b32_e32 v3, 8, v3
	s_delay_alu instid0(VALU_DEP_1)
	v_and_or_b32 v3, 0x80, v3, v5
	global_store_b8 v[0:1], v3, off
.LBB30_118:
	s_mov_b32 s0, 0
.LBB30_119:
	s_delay_alu instid0(SALU_CYCLE_1)
	s_and_not1_b32 vcc_lo, exec_lo, s0
	s_cbranch_vccnz .LBB30_129
; %bb.120:
	s_wait_xcnt 0x0
	v_lshlrev_b32_e32 v6, 16, v2
	v_and_b32_e32 v3, 0xffff, v2
	s_mov_b32 s0, exec_lo
                                        ; implicit-def: $vgpr5
	s_delay_alu instid0(VALU_DEP_2) | instskip(NEXT) | instid1(VALU_DEP_1)
	v_and_b32_e32 v7, 0x7fffffff, v6
	v_cmpx_gt_u32_e32 0x47800000, v7
	s_xor_b32 s0, exec_lo, s0
	s_cbranch_execz .LBB30_126
; %bb.121:
	s_mov_b32 s21, exec_lo
                                        ; implicit-def: $vgpr5
	v_cmpx_lt_u32_e32 0x387fffff, v7
	s_xor_b32 s21, exec_lo, s21
; %bb.122:
	v_bfe_u32 v5, v3, 5, 1
	s_delay_alu instid0(VALU_DEP_1) | instskip(NEXT) | instid1(VALU_DEP_1)
	v_add3_u32 v5, v6, v5, 0x80fffff
                                        ; implicit-def: $vgpr6
	v_lshrrev_b32_e32 v5, 21, v5
; %bb.123:
	s_and_not1_saveexec_b32 s21, s21
; %bb.124:
	v_add_f32_e64 v5, 0x43000000, |v6|
; %bb.125:
	s_or_b32 exec_lo, exec_lo, s21
                                        ; implicit-def: $vgpr7
.LBB30_126:
	s_and_not1_saveexec_b32 s0, s0
; %bb.127:
	v_mov_b32_e32 v5, 0x7f
	v_cmp_lt_u32_e32 vcc_lo, 0x7f800000, v7
	s_delay_alu instid0(VALU_DEP_2)
	v_cndmask_b32_e32 v5, 0x7c, v5, vcc_lo
; %bb.128:
	s_or_b32 exec_lo, exec_lo, s0
	v_lshrrev_b32_e32 v3, 8, v3
	s_delay_alu instid0(VALU_DEP_1)
	v_and_or_b32 v3, 0x80, v3, v5
	global_store_b8 v[0:1], v3, off
.LBB30_129:
	s_mov_b32 s21, 0
	s_mov_b32 s0, -1
.LBB30_130:
	s_and_not1_b32 vcc_lo, exec_lo, s21
	s_cbranch_vccnz .LBB30_138
; %bb.131:
	s_cmp_gt_i32 s20, 14
	s_mov_b32 s21, -1
	s_cbranch_scc0 .LBB30_135
; %bb.132:
	s_cmp_eq_u32 s20, 15
	s_mov_b32 s15, -1
	s_cbranch_scc0 .LBB30_134
; %bb.133:
	s_mov_b32 s0, -1
	s_mov_b32 s15, 0
	global_store_b16 v[0:1], v2, off
.LBB30_134:
	s_mov_b32 s21, 0
.LBB30_135:
	s_delay_alu instid0(SALU_CYCLE_1)
	s_and_b32 vcc_lo, exec_lo, s21
	s_cbranch_vccz .LBB30_138
; %bb.136:
	s_cmp_eq_u32 s20, 11
	s_mov_b32 s15, -1
	s_cbranch_scc0 .LBB30_138
; %bb.137:
	s_wait_xcnt 0x0
	v_and_b32_e32 v3, 0x7fff, v2
	s_mov_b32 s15, 0
	s_mov_b32 s0, -1
	s_delay_alu instid0(VALU_DEP_1)
	v_cmp_ne_u16_e32 vcc_lo, 0, v3
	v_cndmask_b32_e64 v3, 0, 1, vcc_lo
	global_store_b8 v[0:1], v3, off
.LBB30_138:
.LBB30_139:
	s_and_not1_b32 vcc_lo, exec_lo, s0
	s_cbranch_vccnz .LBB30_250
.LBB30_140:
	v_add_nc_u32_e32 v4, 0x80, v4
	s_mov_b32 s0, -1
	s_branch .LBB30_251
.LBB30_141:
	s_mov_b32 s16, -1
                                        ; implicit-def: $vgpr2
.LBB30_142:
	s_mov_b32 s19, 0
.LBB30_143:
	s_delay_alu instid0(SALU_CYCLE_1)
	s_and_b32 vcc_lo, exec_lo, s19
	s_cbranch_vccz .LBB30_147
; %bb.144:
	s_cmp_eq_u32 s0, 29
	s_cbranch_scc0 .LBB30_146
; %bb.145:
	s_wait_loadcnt 0x0
	global_load_b64 v[2:3], v[0:1], off
	s_mov_b32 s15, -1
	s_mov_b32 s16, 0
	s_mov_b32 s19, 0
	s_wait_loadcnt 0x0
	v_clz_i32_u32_e32 v5, v3
	s_delay_alu instid0(VALU_DEP_1) | instskip(NEXT) | instid1(VALU_DEP_1)
	v_min_u32_e32 v5, 32, v5
	v_lshlrev_b64_e32 v[2:3], v5, v[2:3]
	s_delay_alu instid0(VALU_DEP_1) | instskip(NEXT) | instid1(VALU_DEP_1)
	v_min_u32_e32 v2, 1, v2
	v_dual_sub_nc_u32 v3, 32, v5 :: v_dual_bitop2_b32 v2, v3, v2 bitop3:0x54
	s_delay_alu instid0(VALU_DEP_1) | instskip(NEXT) | instid1(VALU_DEP_1)
	v_cvt_f32_u32_e32 v2, v2
	v_ldexp_f32 v2, v2, v3
	s_delay_alu instid0(VALU_DEP_1) | instskip(NEXT) | instid1(VALU_DEP_1)
	v_bfe_u32 v3, v2, 16, 1
	v_add3_u32 v2, v2, v3, 0x7fff
	s_delay_alu instid0(VALU_DEP_1)
	v_lshrrev_b32_e32 v2, 16, v2
	s_branch .LBB30_148
.LBB30_146:
	s_mov_b32 s16, -1
                                        ; implicit-def: $vgpr2
.LBB30_147:
	s_mov_b32 s19, 0
.LBB30_148:
	s_delay_alu instid0(SALU_CYCLE_1)
	s_and_b32 vcc_lo, exec_lo, s19
	s_cbranch_vccz .LBB30_166
; %bb.149:
	s_cmp_lt_i32 s0, 27
	s_cbranch_scc1 .LBB30_152
; %bb.150:
	s_cmp_gt_i32 s0, 27
	s_cbranch_scc0 .LBB30_153
; %bb.151:
	s_wait_loadcnt 0x0
	global_load_b32 v2, v[0:1], off
	s_mov_b32 s15, 0
	s_wait_loadcnt 0x0
	v_cvt_f32_u32_e32 v2, v2
	s_delay_alu instid0(VALU_DEP_1) | instskip(NEXT) | instid1(VALU_DEP_1)
	v_bfe_u32 v3, v2, 16, 1
	v_add3_u32 v2, v2, v3, 0x7fff
	s_delay_alu instid0(VALU_DEP_1)
	v_lshrrev_b32_e32 v2, 16, v2
	s_branch .LBB30_154
.LBB30_152:
	s_mov_b32 s15, -1
                                        ; implicit-def: $vgpr2
	s_branch .LBB30_157
.LBB30_153:
	s_mov_b32 s15, -1
                                        ; implicit-def: $vgpr2
.LBB30_154:
	s_delay_alu instid0(SALU_CYCLE_1)
	s_and_not1_b32 vcc_lo, exec_lo, s15
	s_cbranch_vccnz .LBB30_156
; %bb.155:
	s_wait_loadcnt 0x0
	global_load_u16 v2, v[0:1], off
	s_wait_loadcnt 0x0
	v_cvt_f32_u32_e32 v2, v2
	s_delay_alu instid0(VALU_DEP_1) | instskip(NEXT) | instid1(VALU_DEP_1)
	v_bfe_u32 v3, v2, 16, 1
	v_add3_u32 v2, v2, v3, 0x7fff
	s_delay_alu instid0(VALU_DEP_1)
	v_lshrrev_b32_e32 v2, 16, v2
.LBB30_156:
	s_mov_b32 s15, 0
.LBB30_157:
	s_delay_alu instid0(SALU_CYCLE_1)
	s_and_not1_b32 vcc_lo, exec_lo, s15
	s_cbranch_vccnz .LBB30_165
; %bb.158:
	s_wait_loadcnt 0x0
	global_load_u8 v2, v[0:1], off
	s_mov_b32 s15, 0
	s_mov_b32 s19, exec_lo
	s_wait_loadcnt 0x0
	v_cmpx_lt_i16_e32 0x7f, v2
	s_xor_b32 s19, exec_lo, s19
	s_cbranch_execz .LBB30_178
; %bb.159:
	s_mov_b32 s15, -1
	s_mov_b32 s20, exec_lo
	v_cmpx_eq_u16_e32 0x80, v2
; %bb.160:
	s_xor_b32 s15, exec_lo, -1
; %bb.161:
	s_or_b32 exec_lo, exec_lo, s20
	s_delay_alu instid0(SALU_CYCLE_1)
	s_and_b32 s15, s15, exec_lo
	s_or_saveexec_b32 s19, s19
	v_mov_b32_e32 v3, 0x7f800001
	s_xor_b32 exec_lo, exec_lo, s19
	s_cbranch_execnz .LBB30_179
.LBB30_162:
	s_or_b32 exec_lo, exec_lo, s19
	s_and_saveexec_b32 s19, s15
	s_cbranch_execz .LBB30_164
.LBB30_163:
	v_and_b32_e32 v3, 0xffff, v2
	s_delay_alu instid0(VALU_DEP_1) | instskip(SKIP_1) | instid1(VALU_DEP_2)
	v_and_b32_e32 v5, 7, v3
	v_bfe_u32 v8, v3, 3, 4
	v_clz_i32_u32_e32 v6, v5
	s_delay_alu instid0(VALU_DEP_2) | instskip(NEXT) | instid1(VALU_DEP_2)
	v_cmp_eq_u32_e32 vcc_lo, 0, v8
	v_min_u32_e32 v6, 32, v6
	s_delay_alu instid0(VALU_DEP_1) | instskip(NEXT) | instid1(VALU_DEP_1)
	v_subrev_nc_u32_e32 v7, 28, v6
	v_dual_lshlrev_b32 v3, v7, v3 :: v_dual_sub_nc_u32 v6, 29, v6
	s_delay_alu instid0(VALU_DEP_1) | instskip(NEXT) | instid1(VALU_DEP_1)
	v_dual_lshlrev_b32 v2, 24, v2 :: v_dual_bitop2_b32 v3, 7, v3 bitop3:0x40
	v_dual_cndmask_b32 v3, v5, v3 :: v_dual_cndmask_b32 v6, v8, v6
	s_delay_alu instid0(VALU_DEP_2) | instskip(NEXT) | instid1(VALU_DEP_2)
	v_and_b32_e32 v2, 0x80000000, v2
	v_lshlrev_b32_e32 v3, 20, v3
	s_delay_alu instid0(VALU_DEP_3) | instskip(NEXT) | instid1(VALU_DEP_1)
	v_lshl_add_u32 v5, v6, 23, 0x3b800000
	v_or3_b32 v3, v2, v5, v3
.LBB30_164:
	s_or_b32 exec_lo, exec_lo, s19
	s_delay_alu instid0(VALU_DEP_1) | instskip(SKIP_1) | instid1(VALU_DEP_2)
	v_bfe_u32 v2, v3, 16, 1
	v_cmp_o_f32_e32 vcc_lo, v3, v3
	v_add3_u32 v2, v3, v2, 0x7fff
	s_delay_alu instid0(VALU_DEP_1) | instskip(NEXT) | instid1(VALU_DEP_1)
	v_lshrrev_b32_e32 v2, 16, v2
	v_cndmask_b32_e32 v2, 0x7fc0, v2, vcc_lo
.LBB30_165:
	s_mov_b32 s15, -1
.LBB30_166:
	s_branch .LBB30_201
.LBB30_167:
	s_cmp_gt_i32 s0, 22
	s_cbranch_scc0 .LBB30_177
; %bb.168:
	s_cmp_lt_i32 s0, 24
	s_cbranch_scc1 .LBB30_180
; %bb.169:
	s_cmp_gt_i32 s0, 24
	s_cbranch_scc0 .LBB30_181
; %bb.170:
	s_wait_loadcnt 0x0
	global_load_u8 v2, v[0:1], off
	s_mov_b32 s15, 0
	s_mov_b32 s19, exec_lo
	s_wait_loadcnt 0x0
	v_cmpx_lt_i16_e32 0x7f, v2
	s_xor_b32 s19, exec_lo, s19
	s_cbranch_execz .LBB30_193
; %bb.171:
	s_mov_b32 s15, -1
	s_mov_b32 s20, exec_lo
	v_cmpx_eq_u16_e32 0x80, v2
; %bb.172:
	s_xor_b32 s15, exec_lo, -1
; %bb.173:
	s_or_b32 exec_lo, exec_lo, s20
	s_delay_alu instid0(SALU_CYCLE_1)
	s_and_b32 s15, s15, exec_lo
	s_or_saveexec_b32 s19, s19
	v_mov_b32_e32 v3, 0x7f800001
	s_xor_b32 exec_lo, exec_lo, s19
	s_cbranch_execnz .LBB30_194
.LBB30_174:
	s_or_b32 exec_lo, exec_lo, s19
	s_and_saveexec_b32 s19, s15
	s_cbranch_execz .LBB30_176
.LBB30_175:
	v_and_b32_e32 v3, 0xffff, v2
	s_delay_alu instid0(VALU_DEP_1) | instskip(SKIP_1) | instid1(VALU_DEP_2)
	v_and_b32_e32 v5, 3, v3
	v_bfe_u32 v8, v3, 2, 5
	v_clz_i32_u32_e32 v6, v5
	s_delay_alu instid0(VALU_DEP_2) | instskip(NEXT) | instid1(VALU_DEP_2)
	v_cmp_eq_u32_e32 vcc_lo, 0, v8
	v_min_u32_e32 v6, 32, v6
	s_delay_alu instid0(VALU_DEP_1) | instskip(NEXT) | instid1(VALU_DEP_1)
	v_subrev_nc_u32_e32 v7, 29, v6
	v_dual_lshlrev_b32 v3, v7, v3 :: v_dual_sub_nc_u32 v6, 30, v6
	s_delay_alu instid0(VALU_DEP_1) | instskip(NEXT) | instid1(VALU_DEP_1)
	v_dual_lshlrev_b32 v2, 24, v2 :: v_dual_bitop2_b32 v3, 3, v3 bitop3:0x40
	v_dual_cndmask_b32 v3, v5, v3 :: v_dual_cndmask_b32 v6, v8, v6
	s_delay_alu instid0(VALU_DEP_2) | instskip(NEXT) | instid1(VALU_DEP_2)
	v_and_b32_e32 v2, 0x80000000, v2
	v_lshlrev_b32_e32 v3, 21, v3
	s_delay_alu instid0(VALU_DEP_3) | instskip(NEXT) | instid1(VALU_DEP_1)
	v_lshl_add_u32 v5, v6, 23, 0x37800000
	v_or3_b32 v3, v2, v5, v3
.LBB30_176:
	s_or_b32 exec_lo, exec_lo, s19
	s_delay_alu instid0(VALU_DEP_1) | instskip(SKIP_2) | instid1(VALU_DEP_2)
	v_bfe_u32 v2, v3, 16, 1
	v_cmp_o_f32_e32 vcc_lo, v3, v3
	s_mov_b32 s15, 0
	v_add3_u32 v2, v3, v2, 0x7fff
	s_delay_alu instid0(VALU_DEP_1) | instskip(NEXT) | instid1(VALU_DEP_1)
	v_lshrrev_b32_e32 v2, 16, v2
	v_cndmask_b32_e32 v2, 0x7fc0, v2, vcc_lo
	s_branch .LBB30_182
.LBB30_177:
	s_mov_b32 s19, -1
                                        ; implicit-def: $vgpr2
	s_branch .LBB30_188
.LBB30_178:
	s_or_saveexec_b32 s19, s19
	v_mov_b32_e32 v3, 0x7f800001
	s_xor_b32 exec_lo, exec_lo, s19
	s_cbranch_execz .LBB30_162
.LBB30_179:
	v_cmp_ne_u16_e32 vcc_lo, 0, v2
	v_mov_b32_e32 v3, 0
	s_and_not1_b32 s15, s15, exec_lo
	s_and_b32 s20, vcc_lo, exec_lo
	s_delay_alu instid0(SALU_CYCLE_1)
	s_or_b32 s15, s15, s20
	s_or_b32 exec_lo, exec_lo, s19
	s_and_saveexec_b32 s19, s15
	s_cbranch_execnz .LBB30_163
	s_branch .LBB30_164
.LBB30_180:
	s_mov_b32 s15, -1
                                        ; implicit-def: $vgpr2
	s_branch .LBB30_185
.LBB30_181:
	s_mov_b32 s15, -1
                                        ; implicit-def: $vgpr2
.LBB30_182:
	s_delay_alu instid0(SALU_CYCLE_1)
	s_and_b32 vcc_lo, exec_lo, s15
	s_cbranch_vccz .LBB30_184
; %bb.183:
	s_wait_loadcnt 0x0
	global_load_u8 v2, v[0:1], off
	s_wait_loadcnt 0x0
	v_lshlrev_b32_e32 v2, 24, v2
	s_delay_alu instid0(VALU_DEP_1) | instskip(NEXT) | instid1(VALU_DEP_1)
	v_and_b32_e32 v3, 0x7f000000, v2
	v_clz_i32_u32_e32 v5, v3
	v_add_nc_u32_e32 v7, 0x1000000, v3
	v_cmp_ne_u32_e32 vcc_lo, 0, v3
	s_delay_alu instid0(VALU_DEP_3) | instskip(NEXT) | instid1(VALU_DEP_1)
	v_min_u32_e32 v5, 32, v5
	v_sub_nc_u32_e64 v5, v5, 4 clamp
	s_delay_alu instid0(VALU_DEP_1) | instskip(NEXT) | instid1(VALU_DEP_1)
	v_dual_lshlrev_b32 v6, v5, v3 :: v_dual_lshlrev_b32 v5, 23, v5
	v_lshrrev_b32_e32 v6, 4, v6
	s_delay_alu instid0(VALU_DEP_1) | instskip(NEXT) | instid1(VALU_DEP_1)
	v_dual_sub_nc_u32 v5, v6, v5 :: v_dual_ashrrev_i32 v6, 8, v7
	v_add_nc_u32_e32 v5, 0x3c000000, v5
	s_delay_alu instid0(VALU_DEP_1) | instskip(NEXT) | instid1(VALU_DEP_1)
	v_and_or_b32 v5, 0x7f800000, v6, v5
	v_cndmask_b32_e32 v3, 0, v5, vcc_lo
	s_delay_alu instid0(VALU_DEP_1) | instskip(SKIP_1) | instid1(VALU_DEP_2)
	v_and_or_b32 v2, 0x80000000, v2, v3
	v_bfe_u32 v3, v3, 16, 1
	v_cmp_o_f32_e32 vcc_lo, v2, v2
	s_delay_alu instid0(VALU_DEP_2) | instskip(NEXT) | instid1(VALU_DEP_1)
	v_add3_u32 v3, v2, v3, 0x7fff
	v_lshrrev_b32_e32 v3, 16, v3
	s_delay_alu instid0(VALU_DEP_1)
	v_cndmask_b32_e32 v2, 0x7fc0, v3, vcc_lo
.LBB30_184:
	s_mov_b32 s15, 0
.LBB30_185:
	s_delay_alu instid0(SALU_CYCLE_1)
	s_and_not1_b32 vcc_lo, exec_lo, s15
	s_cbranch_vccnz .LBB30_187
; %bb.186:
	s_wait_loadcnt 0x0
	global_load_u8 v2, v[0:1], off
	s_wait_loadcnt 0x0
	v_lshlrev_b32_e32 v3, 25, v2
	v_lshlrev_b16 v2, 8, v2
	s_delay_alu instid0(VALU_DEP_2) | instskip(NEXT) | instid1(VALU_DEP_2)
	v_cmp_gt_u32_e32 vcc_lo, 0x8000000, v3
	v_and_or_b32 v6, 0x7f00, v2, 0.5
	v_lshrrev_b32_e32 v5, 4, v3
	v_bfe_i32 v2, v2, 0, 16
	s_delay_alu instid0(VALU_DEP_3) | instskip(NEXT) | instid1(VALU_DEP_3)
	v_add_f32_e32 v6, -0.5, v6
	v_or_b32_e32 v5, 0x70000000, v5
	s_delay_alu instid0(VALU_DEP_1) | instskip(NEXT) | instid1(VALU_DEP_1)
	v_mul_f32_e32 v5, 0x7800000, v5
	v_cndmask_b32_e32 v3, v5, v6, vcc_lo
	s_delay_alu instid0(VALU_DEP_1) | instskip(SKIP_1) | instid1(VALU_DEP_2)
	v_and_or_b32 v2, 0x80000000, v2, v3
	v_bfe_u32 v3, v3, 16, 1
	v_cmp_o_f32_e32 vcc_lo, v2, v2
	s_delay_alu instid0(VALU_DEP_2) | instskip(NEXT) | instid1(VALU_DEP_1)
	v_add3_u32 v3, v2, v3, 0x7fff
	v_lshrrev_b32_e32 v3, 16, v3
	s_delay_alu instid0(VALU_DEP_1)
	v_cndmask_b32_e32 v2, 0x7fc0, v3, vcc_lo
.LBB30_187:
	s_mov_b32 s19, 0
	s_mov_b32 s15, -1
.LBB30_188:
	s_and_not1_b32 vcc_lo, exec_lo, s19
	s_cbranch_vccnz .LBB30_201
; %bb.189:
	s_cmp_gt_i32 s0, 14
	s_cbranch_scc0 .LBB30_192
; %bb.190:
	s_cmp_eq_u32 s0, 15
	s_cbranch_scc0 .LBB30_195
; %bb.191:
	s_wait_loadcnt 0x0
	global_load_u16 v2, v[0:1], off
	s_mov_b32 s15, -1
	s_mov_b32 s16, 0
	s_branch .LBB30_196
.LBB30_192:
	s_mov_b32 s19, -1
                                        ; implicit-def: $vgpr2
	s_branch .LBB30_197
.LBB30_193:
	s_or_saveexec_b32 s19, s19
	v_mov_b32_e32 v3, 0x7f800001
	s_xor_b32 exec_lo, exec_lo, s19
	s_cbranch_execz .LBB30_174
.LBB30_194:
	v_cmp_ne_u16_e32 vcc_lo, 0, v2
	v_mov_b32_e32 v3, 0
	s_and_not1_b32 s15, s15, exec_lo
	s_and_b32 s20, vcc_lo, exec_lo
	s_delay_alu instid0(SALU_CYCLE_1)
	s_or_b32 s15, s15, s20
	s_or_b32 exec_lo, exec_lo, s19
	s_and_saveexec_b32 s19, s15
	s_cbranch_execnz .LBB30_175
	s_branch .LBB30_176
.LBB30_195:
	s_mov_b32 s16, -1
                                        ; implicit-def: $vgpr2
.LBB30_196:
	s_mov_b32 s19, 0
.LBB30_197:
	s_delay_alu instid0(SALU_CYCLE_1)
	s_and_b32 vcc_lo, exec_lo, s19
	s_cbranch_vccz .LBB30_201
; %bb.198:
	s_cmp_eq_u32 s0, 11
	s_cbranch_scc0 .LBB30_200
; %bb.199:
	s_wait_loadcnt 0x0
	global_load_u8 v2, v[0:1], off
	s_mov_b32 s16, 0
	s_mov_b32 s15, -1
	s_wait_loadcnt 0x0
	v_cmp_ne_u16_e32 vcc_lo, 0, v2
	v_cndmask_b32_e64 v2, 0, 1.0, vcc_lo
	s_delay_alu instid0(VALU_DEP_1)
	v_lshrrev_b32_e32 v2, 16, v2
	s_branch .LBB30_201
.LBB30_200:
	s_mov_b32 s16, -1
                                        ; implicit-def: $vgpr2
.LBB30_201:
	s_branch .LBB30_10
.LBB30_202:
	s_cmp_lt_i32 s0, 5
	s_cbranch_scc1 .LBB30_207
; %bb.203:
	s_cmp_lt_i32 s0, 8
	s_cbranch_scc1 .LBB30_208
; %bb.204:
	;; [unrolled: 3-line block ×3, first 2 shown]
	s_cmp_gt_i32 s0, 9
	s_cbranch_scc0 .LBB30_210
; %bb.206:
	s_wait_loadcnt 0x0
	global_load_b64 v[2:3], v[0:1], off
	s_mov_b32 s15, 0
	s_wait_loadcnt 0x0
	v_cvt_f32_f64_e32 v2, v[2:3]
	s_delay_alu instid0(VALU_DEP_1) | instskip(SKIP_1) | instid1(VALU_DEP_2)
	v_bfe_u32 v3, v2, 16, 1
	v_cmp_o_f32_e32 vcc_lo, v2, v2
	v_add3_u32 v3, v2, v3, 0x7fff
	s_delay_alu instid0(VALU_DEP_1) | instskip(NEXT) | instid1(VALU_DEP_1)
	v_lshrrev_b32_e32 v3, 16, v3
	v_cndmask_b32_e32 v2, 0x7fc0, v3, vcc_lo
	s_branch .LBB30_211
.LBB30_207:
                                        ; implicit-def: $vgpr2
	s_branch .LBB30_229
.LBB30_208:
	s_mov_b32 s15, -1
                                        ; implicit-def: $vgpr2
	s_branch .LBB30_217
.LBB30_209:
	s_mov_b32 s15, -1
                                        ; implicit-def: $vgpr2
	s_branch .LBB30_214
.LBB30_210:
	s_mov_b32 s15, -1
                                        ; implicit-def: $vgpr2
.LBB30_211:
	s_delay_alu instid0(SALU_CYCLE_1)
	s_and_not1_b32 vcc_lo, exec_lo, s15
	s_cbranch_vccnz .LBB30_213
; %bb.212:
	s_wait_loadcnt 0x0
	global_load_b32 v2, v[0:1], off
	s_wait_loadcnt 0x0
	v_bfe_u32 v3, v2, 16, 1
	v_cmp_o_f32_e32 vcc_lo, v2, v2
	s_delay_alu instid0(VALU_DEP_2) | instskip(NEXT) | instid1(VALU_DEP_1)
	v_add3_u32 v3, v2, v3, 0x7fff
	v_lshrrev_b32_e32 v3, 16, v3
	s_delay_alu instid0(VALU_DEP_1)
	v_cndmask_b32_e32 v2, 0x7fc0, v3, vcc_lo
.LBB30_213:
	s_mov_b32 s15, 0
.LBB30_214:
	s_delay_alu instid0(SALU_CYCLE_1)
	s_and_not1_b32 vcc_lo, exec_lo, s15
	s_cbranch_vccnz .LBB30_216
; %bb.215:
	s_wait_loadcnt 0x0
	global_load_b32 v2, v[0:1], off
	s_wait_loadcnt 0x0
	v_cvt_f32_f16_e32 v3, v2
	v_cmp_o_f16_e32 vcc_lo, v2, v2
	s_delay_alu instid0(VALU_DEP_2) | instskip(NEXT) | instid1(VALU_DEP_1)
	v_bfe_u32 v5, v3, 16, 1
	v_add3_u32 v3, v3, v5, 0x7fff
	s_delay_alu instid0(VALU_DEP_1) | instskip(NEXT) | instid1(VALU_DEP_1)
	v_lshrrev_b32_e32 v3, 16, v3
	v_cndmask_b32_e32 v2, 0x7fc0, v3, vcc_lo
.LBB30_216:
	s_mov_b32 s15, 0
.LBB30_217:
	s_delay_alu instid0(SALU_CYCLE_1)
	s_and_not1_b32 vcc_lo, exec_lo, s15
	s_cbranch_vccnz .LBB30_228
; %bb.218:
	s_cmp_lt_i32 s0, 6
	s_cbranch_scc1 .LBB30_221
; %bb.219:
	s_cmp_gt_i32 s0, 6
	s_cbranch_scc0 .LBB30_222
; %bb.220:
	s_wait_loadcnt 0x0
	global_load_b64 v[2:3], v[0:1], off
	s_mov_b32 s15, 0
	s_wait_loadcnt 0x0
	v_cvt_f32_f64_e32 v2, v[2:3]
	s_delay_alu instid0(VALU_DEP_1) | instskip(SKIP_1) | instid1(VALU_DEP_2)
	v_bfe_u32 v3, v2, 16, 1
	v_cmp_o_f32_e32 vcc_lo, v2, v2
	v_add3_u32 v3, v2, v3, 0x7fff
	s_delay_alu instid0(VALU_DEP_1) | instskip(NEXT) | instid1(VALU_DEP_1)
	v_lshrrev_b32_e32 v3, 16, v3
	v_cndmask_b32_e32 v2, 0x7fc0, v3, vcc_lo
	s_branch .LBB30_223
.LBB30_221:
	s_mov_b32 s15, -1
                                        ; implicit-def: $vgpr2
	s_branch .LBB30_226
.LBB30_222:
	s_mov_b32 s15, -1
                                        ; implicit-def: $vgpr2
.LBB30_223:
	s_delay_alu instid0(SALU_CYCLE_1)
	s_and_not1_b32 vcc_lo, exec_lo, s15
	s_cbranch_vccnz .LBB30_225
; %bb.224:
	s_wait_loadcnt 0x0
	global_load_b32 v2, v[0:1], off
	s_wait_loadcnt 0x0
	v_bfe_u32 v3, v2, 16, 1
	v_cmp_o_f32_e32 vcc_lo, v2, v2
	s_delay_alu instid0(VALU_DEP_2) | instskip(NEXT) | instid1(VALU_DEP_1)
	v_add3_u32 v3, v2, v3, 0x7fff
	v_lshrrev_b32_e32 v3, 16, v3
	s_delay_alu instid0(VALU_DEP_1)
	v_cndmask_b32_e32 v2, 0x7fc0, v3, vcc_lo
.LBB30_225:
	s_mov_b32 s15, 0
.LBB30_226:
	s_delay_alu instid0(SALU_CYCLE_1)
	s_and_not1_b32 vcc_lo, exec_lo, s15
	s_cbranch_vccnz .LBB30_228
; %bb.227:
	s_wait_loadcnt 0x0
	global_load_u16 v2, v[0:1], off
	s_wait_loadcnt 0x0
	v_cvt_f32_f16_e32 v3, v2
	v_cmp_o_f16_e32 vcc_lo, v2, v2
	s_delay_alu instid0(VALU_DEP_2) | instskip(NEXT) | instid1(VALU_DEP_1)
	v_bfe_u32 v5, v3, 16, 1
	v_add3_u32 v3, v3, v5, 0x7fff
	s_delay_alu instid0(VALU_DEP_1) | instskip(NEXT) | instid1(VALU_DEP_1)
	v_lshrrev_b32_e32 v3, 16, v3
	v_cndmask_b32_e32 v2, 0x7fc0, v3, vcc_lo
.LBB30_228:
	s_cbranch_execnz .LBB30_248
.LBB30_229:
	s_cmp_lt_i32 s0, 2
	s_cbranch_scc1 .LBB30_233
; %bb.230:
	s_cmp_lt_i32 s0, 3
	s_cbranch_scc1 .LBB30_234
; %bb.231:
	s_cmp_gt_i32 s0, 3
	s_cbranch_scc0 .LBB30_235
; %bb.232:
	s_wait_loadcnt 0x0
	global_load_b64 v[2:3], v[0:1], off
	s_mov_b32 s15, 0
	s_wait_loadcnt 0x0
	v_xor_b32_e32 v5, v2, v3
	v_cls_i32_e32 v6, v3
	s_delay_alu instid0(VALU_DEP_2) | instskip(NEXT) | instid1(VALU_DEP_1)
	v_ashrrev_i32_e32 v5, 31, v5
	v_add_nc_u32_e32 v5, 32, v5
	s_delay_alu instid0(VALU_DEP_1) | instskip(NEXT) | instid1(VALU_DEP_1)
	v_add_min_u32_e64 v5, v6, -1, v5
	v_lshlrev_b64_e32 v[2:3], v5, v[2:3]
	s_delay_alu instid0(VALU_DEP_1) | instskip(NEXT) | instid1(VALU_DEP_1)
	v_min_u32_e32 v2, 1, v2
	v_dual_sub_nc_u32 v3, 32, v5 :: v_dual_bitop2_b32 v2, v3, v2 bitop3:0x54
	s_delay_alu instid0(VALU_DEP_1) | instskip(NEXT) | instid1(VALU_DEP_1)
	v_cvt_f32_i32_e32 v2, v2
	v_ldexp_f32 v2, v2, v3
	s_delay_alu instid0(VALU_DEP_1) | instskip(NEXT) | instid1(VALU_DEP_1)
	v_bfe_u32 v3, v2, 16, 1
	v_add3_u32 v2, v2, v3, 0x7fff
	s_delay_alu instid0(VALU_DEP_1)
	v_lshrrev_b32_e32 v2, 16, v2
	s_branch .LBB30_236
.LBB30_233:
	s_mov_b32 s15, -1
                                        ; implicit-def: $vgpr2
	s_branch .LBB30_242
.LBB30_234:
	s_mov_b32 s15, -1
                                        ; implicit-def: $vgpr2
	s_branch .LBB30_239
.LBB30_235:
	s_mov_b32 s15, -1
                                        ; implicit-def: $vgpr2
.LBB30_236:
	s_delay_alu instid0(SALU_CYCLE_1)
	s_and_not1_b32 vcc_lo, exec_lo, s15
	s_cbranch_vccnz .LBB30_238
; %bb.237:
	s_wait_loadcnt 0x0
	global_load_b32 v2, v[0:1], off
	s_wait_loadcnt 0x0
	v_cvt_f32_i32_e32 v2, v2
	s_delay_alu instid0(VALU_DEP_1) | instskip(NEXT) | instid1(VALU_DEP_1)
	v_bfe_u32 v3, v2, 16, 1
	v_add3_u32 v2, v2, v3, 0x7fff
	s_delay_alu instid0(VALU_DEP_1)
	v_lshrrev_b32_e32 v2, 16, v2
.LBB30_238:
	s_mov_b32 s15, 0
.LBB30_239:
	s_delay_alu instid0(SALU_CYCLE_1)
	s_and_not1_b32 vcc_lo, exec_lo, s15
	s_cbranch_vccnz .LBB30_241
; %bb.240:
	s_wait_loadcnt 0x0
	global_load_i16 v2, v[0:1], off
	s_wait_loadcnt 0x0
	v_cvt_f32_i32_e32 v2, v2
	s_delay_alu instid0(VALU_DEP_1) | instskip(NEXT) | instid1(VALU_DEP_1)
	v_bfe_u32 v3, v2, 16, 1
	v_add3_u32 v2, v2, v3, 0x7fff
	s_delay_alu instid0(VALU_DEP_1)
	v_lshrrev_b32_e32 v2, 16, v2
.LBB30_241:
	s_mov_b32 s15, 0
.LBB30_242:
	s_delay_alu instid0(SALU_CYCLE_1)
	s_and_not1_b32 vcc_lo, exec_lo, s15
	s_cbranch_vccnz .LBB30_248
; %bb.243:
	s_cmp_gt_i32 s0, 0
	s_mov_b32 s0, 0
	s_cbranch_scc0 .LBB30_245
; %bb.244:
	s_wait_loadcnt 0x0
	global_load_i8 v2, v[0:1], off
	s_wait_loadcnt 0x0
	v_cvt_f32_i32_e32 v2, v2
	s_delay_alu instid0(VALU_DEP_1) | instskip(NEXT) | instid1(VALU_DEP_1)
	v_bfe_u32 v3, v2, 16, 1
	v_add3_u32 v2, v2, v3, 0x7fff
	s_delay_alu instid0(VALU_DEP_1)
	v_lshrrev_b32_e32 v2, 16, v2
	s_branch .LBB30_246
.LBB30_245:
	s_mov_b32 s0, -1
                                        ; implicit-def: $vgpr2
.LBB30_246:
	s_delay_alu instid0(SALU_CYCLE_1)
	s_and_not1_b32 vcc_lo, exec_lo, s0
	s_cbranch_vccnz .LBB30_248
; %bb.247:
	global_load_u8 v0, v[0:1], off
	s_wait_loadcnt 0x0
	v_cvt_f32_ubyte0_e32 v0, v0
	s_delay_alu instid0(VALU_DEP_1) | instskip(NEXT) | instid1(VALU_DEP_1)
	v_bfe_u32 v1, v0, 16, 1
	v_add3_u32 v0, v0, v1, 0x7fff
	s_delay_alu instid0(VALU_DEP_1)
	v_lshrrev_b32_e32 v2, 16, v0
.LBB30_248:
	s_branch .LBB30_11
.LBB30_249:
	s_mov_b32 s15, 0
.LBB30_250:
	s_mov_b32 s0, 0
                                        ; implicit-def: $vgpr4
.LBB30_251:
	s_and_b32 s15, s15, exec_lo
	s_and_b32 s16, s16, exec_lo
	s_or_not1_b32 s20, s0, exec_lo
.LBB30_252:
	s_wait_xcnt 0x0
	s_or_b32 exec_lo, exec_lo, s17
	s_mov_b32 s19, 0
	s_mov_b32 s0, 0
                                        ; implicit-def: $vgpr0_vgpr1
                                        ; implicit-def: $vgpr3
	s_and_saveexec_b32 s17, s20
	s_cbranch_execz .LBB30_261
; %bb.253:
	s_mov_b32 s0, -1
	s_mov_b32 s18, s16
	s_mov_b32 s19, s15
	s_mov_b32 s20, exec_lo
	v_cmpx_gt_i32_e64 s14, v4
	s_cbranch_execz .LBB30_514
; %bb.254:
	v_mul_lo_u32 v0, v4, s9
	s_and_b32 s0, 0xffff, s10
	s_delay_alu instid0(SALU_CYCLE_1) | instskip(NEXT) | instid1(VALU_DEP_1)
	s_cmp_lt_i32 s0, 11
	v_ashrrev_i32_e32 v1, 31, v0
	s_delay_alu instid0(VALU_DEP_1)
	v_add_nc_u64_e32 v[0:1], s[6:7], v[0:1]
	s_cbranch_scc1 .LBB30_264
; %bb.255:
	s_cmp_gt_i32 s0, 25
	s_cbranch_scc0 .LBB30_313
; %bb.256:
	s_cmp_gt_i32 s0, 28
	s_cbranch_scc0 .LBB30_314
	;; [unrolled: 3-line block ×4, first 2 shown]
; %bb.259:
	s_cmp_eq_u32 s0, 46
	s_mov_b32 s21, 0
	s_cbranch_scc0 .LBB30_324
; %bb.260:
	s_wait_loadcnt 0x0
	global_load_b32 v2, v[0:1], off
	s_mov_b32 s19, -1
	s_mov_b32 s18, 0
	s_branch .LBB30_326
.LBB30_261:
	s_or_b32 exec_lo, exec_lo, s17
	s_mov_b32 s14, 0
	s_and_saveexec_b32 s17, s16
	s_cbranch_execnz .LBB30_861
.LBB30_262:
	s_or_b32 exec_lo, exec_lo, s17
	s_and_saveexec_b32 s16, s18
	s_delay_alu instid0(SALU_CYCLE_1)
	s_xor_b32 s16, exec_lo, s16
	s_cbranch_execz .LBB30_862
.LBB30_263:
	s_wait_loadcnt 0x0
	global_load_u8 v2, v[0:1], off
	s_or_b32 s0, s0, exec_lo
	s_wait_loadcnt 0x0
	v_cmp_ne_u16_e32 vcc_lo, 0, v2
	v_cndmask_b32_e64 v2, 0, 1.0, vcc_lo
	s_delay_alu instid0(VALU_DEP_1)
	v_lshrrev_b32_e32 v3, 16, v2
	s_wait_xcnt 0x0
	s_or_b32 exec_lo, exec_lo, s16
	s_and_saveexec_b32 s16, s19
	s_cbranch_execz .LBB30_908
	s_branch .LBB30_863
.LBB30_264:
	s_mov_b32 s19, 0
	s_mov_b32 s18, s16
                                        ; implicit-def: $vgpr2
	s_cbranch_execnz .LBB30_463
.LBB30_265:
	s_and_not1_b32 vcc_lo, exec_lo, s19
	s_cbranch_vccnz .LBB30_511
.LBB30_266:
	s_wait_xcnt 0x0
	v_mul_lo_u32 v0, v4, s8
	s_wait_loadcnt 0x0
	v_lshlrev_b32_e32 v3, 16, v2
	s_and_b32 s19, s2, 0xff
	s_mov_b32 s22, 0
	s_mov_b32 s21, -1
	s_delay_alu instid0(VALU_DEP_2) | instskip(SKIP_2) | instid1(VALU_DEP_3)
	v_ashrrev_i32_e32 v1, 31, v0
	v_cmp_nle_f32_e32 vcc_lo, s13, v3
	v_cmp_nge_f32_e64 s0, s12, v3
	v_add_nc_u64_e32 v[0:1], s[4:5], v[0:1]
	s_or_b32 vcc_lo, s0, vcc_lo
	s_cmp_lt_i32 s19, 11
	v_cndmask_b32_e32 v2, 0, v2, vcc_lo
	s_mov_b32 s0, s15
	s_cbranch_scc1 .LBB30_273
; %bb.267:
	s_and_b32 s21, 0xffff, s19
	s_delay_alu instid0(SALU_CYCLE_1)
	s_cmp_gt_i32 s21, 25
	s_cbranch_scc0 .LBB30_315
; %bb.268:
	s_cmp_gt_i32 s21, 28
	s_cbranch_scc0 .LBB30_317
; %bb.269:
	;; [unrolled: 3-line block ×4, first 2 shown]
	s_mov_b32 s23, 0
	s_mov_b32 s0, -1
	s_cmp_eq_u32 s21, 46
	s_cbranch_scc0 .LBB30_330
; %bb.272:
	v_and_b32_e32 v3, 0xffff, v2
	s_mov_b32 s22, -1
	s_mov_b32 s0, 0
	global_store_b32 v[0:1], v3, off
	s_branch .LBB30_330
.LBB30_273:
	s_and_b32 vcc_lo, exec_lo, s21
	s_cbranch_vccz .LBB30_399
; %bb.274:
	s_and_b32 s19, 0xffff, s19
	s_mov_b32 s21, -1
	s_cmp_lt_i32 s19, 5
	s_cbranch_scc1 .LBB30_295
; %bb.275:
	s_cmp_lt_i32 s19, 8
	s_cbranch_scc1 .LBB30_285
; %bb.276:
	;; [unrolled: 3-line block ×3, first 2 shown]
	s_cmp_gt_i32 s19, 9
	s_cbranch_scc0 .LBB30_279
; %bb.278:
	s_wait_xcnt 0x0
	v_dual_mov_b32 v8, 0 :: v_dual_lshlrev_b32 v3, 16, v2
	s_mov_b32 s21, 0
	s_delay_alu instid0(VALU_DEP_1) | instskip(NEXT) | instid1(VALU_DEP_2)
	v_cvt_f64_f32_e32 v[6:7], v3
	v_mov_b32_e32 v9, v8
	global_store_b128 v[0:1], v[6:9], off
.LBB30_279:
	s_and_not1_b32 vcc_lo, exec_lo, s21
	s_cbranch_vccnz .LBB30_281
; %bb.280:
	s_wait_xcnt 0x0
	v_dual_mov_b32 v7, 0 :: v_dual_lshlrev_b32 v6, 16, v2
	global_store_b64 v[0:1], v[6:7], off
.LBB30_281:
	s_mov_b32 s21, 0
.LBB30_282:
	s_delay_alu instid0(SALU_CYCLE_1)
	s_and_not1_b32 vcc_lo, exec_lo, s21
	s_cbranch_vccnz .LBB30_284
; %bb.283:
	s_wait_xcnt 0x0
	v_lshlrev_b32_e32 v3, 16, v2
	s_delay_alu instid0(VALU_DEP_1) | instskip(NEXT) | instid1(VALU_DEP_1)
	v_cvt_f16_f32_e32 v3, v3
	v_and_b32_e32 v3, 0xffff, v3
	global_store_b32 v[0:1], v3, off
.LBB30_284:
	s_mov_b32 s21, 0
.LBB30_285:
	s_delay_alu instid0(SALU_CYCLE_1)
	s_and_not1_b32 vcc_lo, exec_lo, s21
	s_cbranch_vccnz .LBB30_294
; %bb.286:
	s_cmp_lt_i32 s19, 6
	s_mov_b32 s21, -1
	s_cbranch_scc1 .LBB30_292
; %bb.287:
	s_cmp_gt_i32 s19, 6
	s_cbranch_scc0 .LBB30_289
; %bb.288:
	s_wait_xcnt 0x0
	v_lshlrev_b32_e32 v3, 16, v2
	s_mov_b32 s21, 0
	s_delay_alu instid0(VALU_DEP_1)
	v_cvt_f64_f32_e32 v[6:7], v3
	global_store_b64 v[0:1], v[6:7], off
.LBB30_289:
	s_and_not1_b32 vcc_lo, exec_lo, s21
	s_cbranch_vccnz .LBB30_291
; %bb.290:
	s_wait_xcnt 0x0
	v_lshlrev_b32_e32 v3, 16, v2
	global_store_b32 v[0:1], v3, off
.LBB30_291:
	s_mov_b32 s21, 0
.LBB30_292:
	s_delay_alu instid0(SALU_CYCLE_1)
	s_and_not1_b32 vcc_lo, exec_lo, s21
	s_cbranch_vccnz .LBB30_294
; %bb.293:
	s_wait_xcnt 0x0
	v_lshlrev_b32_e32 v3, 16, v2
	s_delay_alu instid0(VALU_DEP_1)
	v_cvt_f16_f32_e32 v3, v3
	global_store_b16 v[0:1], v3, off
.LBB30_294:
	s_mov_b32 s21, 0
.LBB30_295:
	s_delay_alu instid0(SALU_CYCLE_1)
	s_and_not1_b32 vcc_lo, exec_lo, s21
	s_cbranch_vccnz .LBB30_311
; %bb.296:
	s_cmp_lt_i32 s19, 2
	s_mov_b32 s21, -1
	s_cbranch_scc1 .LBB30_306
; %bb.297:
	s_cmp_lt_i32 s19, 3
	s_cbranch_scc1 .LBB30_303
; %bb.298:
	s_cmp_gt_i32 s19, 3
	s_cbranch_scc0 .LBB30_300
; %bb.299:
	s_wait_xcnt 0x0
	v_lshlrev_b32_e32 v3, 16, v2
	s_mov_b32 s21, 0
	s_delay_alu instid0(VALU_DEP_1) | instskip(NEXT) | instid1(VALU_DEP_1)
	v_trunc_f32_e32 v3, v3
	v_mul_f32_e64 v5, 0x2f800000, |v3|
	v_ashrrev_i32_e32 v6, 31, v3
	s_delay_alu instid0(VALU_DEP_2) | instskip(NEXT) | instid1(VALU_DEP_1)
	v_floor_f32_e32 v5, v5
	v_fma_f32 v7, 0xcf800000, v5, |v3|
	v_cvt_u32_f32_e32 v3, v5
	s_delay_alu instid0(VALU_DEP_2) | instskip(NEXT) | instid1(VALU_DEP_2)
	v_cvt_u32_f32_e32 v5, v7
	v_dual_mov_b32 v7, v6 :: v_dual_bitop2_b32 v9, v3, v6 bitop3:0x14
	s_delay_alu instid0(VALU_DEP_2) | instskip(NEXT) | instid1(VALU_DEP_1)
	v_xor_b32_e32 v8, v5, v6
	v_sub_nc_u64_e32 v[6:7], v[8:9], v[6:7]
	global_store_b64 v[0:1], v[6:7], off
.LBB30_300:
	s_and_not1_b32 vcc_lo, exec_lo, s21
	s_cbranch_vccnz .LBB30_302
; %bb.301:
	s_wait_xcnt 0x0
	v_lshlrev_b32_e32 v3, 16, v2
	s_delay_alu instid0(VALU_DEP_1)
	v_cvt_i32_f32_e32 v3, v3
	global_store_b32 v[0:1], v3, off
.LBB30_302:
	s_mov_b32 s21, 0
.LBB30_303:
	s_delay_alu instid0(SALU_CYCLE_1)
	s_and_not1_b32 vcc_lo, exec_lo, s21
	s_cbranch_vccnz .LBB30_305
; %bb.304:
	s_wait_xcnt 0x0
	v_lshlrev_b32_e32 v3, 16, v2
	s_delay_alu instid0(VALU_DEP_1)
	v_cvt_i32_f32_e32 v3, v3
	global_store_b16 v[0:1], v3, off
.LBB30_305:
	s_mov_b32 s21, 0
.LBB30_306:
	s_delay_alu instid0(SALU_CYCLE_1)
	s_and_not1_b32 vcc_lo, exec_lo, s21
	s_cbranch_vccnz .LBB30_311
; %bb.307:
	s_wait_xcnt 0x0
	v_lshlrev_b32_e32 v2, 16, v2
	s_cmp_gt_i32 s19, 0
	s_mov_b32 s19, -1
	s_cbranch_scc0 .LBB30_309
; %bb.308:
	s_delay_alu instid0(VALU_DEP_1)
	v_cvt_i32_f32_e32 v3, v2
	s_mov_b32 s19, 0
	global_store_b8 v[0:1], v3, off
.LBB30_309:
	s_and_not1_b32 vcc_lo, exec_lo, s19
	s_cbranch_vccnz .LBB30_311
; %bb.310:
	v_trunc_f32_e32 v2, v2
	s_wait_xcnt 0x0
	s_delay_alu instid0(VALU_DEP_1) | instskip(NEXT) | instid1(VALU_DEP_1)
	v_mul_f32_e64 v3, 0x2f800000, |v2|
	v_floor_f32_e32 v3, v3
	s_delay_alu instid0(VALU_DEP_1) | instskip(SKIP_1) | instid1(VALU_DEP_2)
	v_fma_f32 v3, 0xcf800000, v3, |v2|
	v_ashrrev_i32_e32 v2, 31, v2
	v_cvt_u32_f32_e32 v3, v3
	s_delay_alu instid0(VALU_DEP_1) | instskip(NEXT) | instid1(VALU_DEP_1)
	v_xor_b32_e32 v3, v3, v2
	v_sub_nc_u32_e32 v2, v3, v2
	global_store_b8 v[0:1], v2, off
.LBB30_311:
	s_branch .LBB30_400
.LBB30_312:
	s_mov_b32 s21, 0
	s_branch .LBB30_512
.LBB30_313:
	s_mov_b32 s21, -1
	s_mov_b32 s19, 0
	s_mov_b32 s18, s16
                                        ; implicit-def: $vgpr2
	s_branch .LBB30_427
.LBB30_314:
	s_mov_b32 s21, -1
	s_mov_b32 s19, 0
	s_mov_b32 s18, s16
                                        ; implicit-def: $vgpr2
	s_branch .LBB30_408
.LBB30_315:
	s_mov_b32 s23, -1
	s_mov_b32 s0, s15
	s_branch .LBB30_357
.LBB30_316:
	s_mov_b32 s21, -1
	s_mov_b32 s19, 0
	s_mov_b32 s18, s16
                                        ; implicit-def: $vgpr2
	s_branch .LBB30_403
.LBB30_317:
	s_mov_b32 s23, -1
	s_mov_b32 s0, s15
	s_branch .LBB30_340
.LBB30_318:
	s_and_not1_saveexec_b32 s22, s22
	s_cbranch_execz .LBB30_91
.LBB30_319:
	v_add_f32_e64 v5, 0x46000000, |v6|
	s_and_not1_b32 s21, s21, exec_lo
	s_delay_alu instid0(VALU_DEP_1) | instskip(NEXT) | instid1(VALU_DEP_1)
	v_and_b32_e32 v5, 0xff, v5
	v_cmp_ne_u32_e32 vcc_lo, 0, v5
	s_and_b32 s23, vcc_lo, exec_lo
	s_delay_alu instid0(SALU_CYCLE_1)
	s_or_b32 s21, s21, s23
	s_or_b32 exec_lo, exec_lo, s22
	v_mov_b32_e32 v7, 0
	s_and_saveexec_b32 s22, s21
	s_cbranch_execnz .LBB30_92
	s_branch .LBB30_93
.LBB30_320:
	s_mov_b32 s21, -1
	s_mov_b32 s19, 0
	s_mov_b32 s18, s16
	s_branch .LBB30_325
.LBB30_321:
	s_mov_b32 s23, -1
	s_mov_b32 s0, s15
	s_branch .LBB30_336
.LBB30_322:
	s_and_not1_saveexec_b32 s22, s22
	s_cbranch_execz .LBB30_104
.LBB30_323:
	v_add_f32_e64 v5, 0x42800000, |v6|
	s_and_not1_b32 s21, s21, exec_lo
	s_delay_alu instid0(VALU_DEP_1) | instskip(NEXT) | instid1(VALU_DEP_1)
	v_and_b32_e32 v5, 0xff, v5
	v_cmp_ne_u32_e32 vcc_lo, 0, v5
	s_and_b32 s23, vcc_lo, exec_lo
	s_delay_alu instid0(SALU_CYCLE_1)
	s_or_b32 s21, s21, s23
	s_or_b32 exec_lo, exec_lo, s22
	v_mov_b32_e32 v7, 0
	s_and_saveexec_b32 s22, s21
	s_cbranch_execnz .LBB30_105
	s_branch .LBB30_106
.LBB30_324:
	s_mov_b32 s18, -1
	s_mov_b32 s19, 0
.LBB30_325:
                                        ; implicit-def: $vgpr2
.LBB30_326:
	s_and_b32 vcc_lo, exec_lo, s21
	s_cbranch_vccz .LBB30_402
; %bb.327:
	s_cmp_eq_u32 s0, 44
	s_cbranch_scc0 .LBB30_401
; %bb.328:
	s_wait_loadcnt 0x0
	global_load_u8 v2, v[0:1], off
	s_mov_b32 s18, 0
	s_mov_b32 s19, -1
	s_wait_loadcnt 0x0
	v_lshlrev_b32_e32 v3, 23, v2
	v_cmp_ne_u32_e32 vcc_lo, 0xff, v2
	s_delay_alu instid0(VALU_DEP_2) | instskip(SKIP_1) | instid1(VALU_DEP_2)
	v_cndmask_b32_e32 v3, 0x7f800001, v3, vcc_lo
	v_cmp_ne_u32_e32 vcc_lo, 0, v2
	v_cndmask_b32_e32 v2, 0x400000, v3, vcc_lo
	s_delay_alu instid0(VALU_DEP_1) | instskip(NEXT) | instid1(VALU_DEP_1)
	v_add_nc_u32_e32 v3, 0x7fff, v2
	v_lshrrev_b32_e32 v3, 16, v3
	v_cmp_o_f32_e32 vcc_lo, v2, v2
	s_delay_alu instid0(VALU_DEP_2)
	v_cndmask_b32_e32 v2, 0x7fc0, v3, vcc_lo
	s_branch .LBB30_402
.LBB30_329:
	s_mov_b32 s23, -1
	s_mov_b32 s0, s15
.LBB30_330:
	s_and_b32 vcc_lo, exec_lo, s23
	s_cbranch_vccz .LBB30_335
; %bb.331:
	s_cmp_eq_u32 s21, 44
	s_mov_b32 s0, -1
	s_cbranch_scc0 .LBB30_335
; %bb.332:
	s_wait_xcnt 0x0
	v_and_b32_e32 v3, 0xffff, v2
	v_mov_b32_e32 v5, 0xff
	s_mov_b32 s22, exec_lo
	s_delay_alu instid0(VALU_DEP_2) | instskip(NEXT) | instid1(VALU_DEP_1)
	v_bfe_u32 v6, v3, 7, 8
	v_cmpx_ne_u32_e32 0xff, v6
	s_cbranch_execz .LBB30_334
; %bb.333:
	v_dual_lshlrev_b32 v5, 16, v3 :: v_dual_bitop2_b32 v7, 64, v3 bitop3:0x40
	v_lshrrev_b32_e32 v3, 7, v3
	s_delay_alu instid0(VALU_DEP_2) | instskip(NEXT) | instid1(VALU_DEP_3)
	v_and_or_b32 v5, 0x3f0000, v5, v6
	v_cmp_ne_u32_e32 vcc_lo, 0, v7
	s_delay_alu instid0(VALU_DEP_2) | instskip(SKIP_1) | instid1(SALU_CYCLE_1)
	v_cmp_ne_u32_e64 s0, 0, v5
	s_and_b32 s0, vcc_lo, s0
	v_cndmask_b32_e64 v5, 0, 1, s0
	s_delay_alu instid0(VALU_DEP_1)
	v_add_nc_u32_e32 v5, v3, v5
.LBB30_334:
	s_or_b32 exec_lo, exec_lo, s22
	s_mov_b32 s22, -1
	s_mov_b32 s0, 0
	global_store_b8 v[0:1], v5, off
.LBB30_335:
	s_mov_b32 s23, 0
.LBB30_336:
	s_delay_alu instid0(SALU_CYCLE_1)
	s_and_b32 vcc_lo, exec_lo, s23
	s_cbranch_vccz .LBB30_339
; %bb.337:
	s_cmp_eq_u32 s21, 29
	s_mov_b32 s0, -1
	s_cbranch_scc0 .LBB30_339
; %bb.338:
	s_wait_xcnt 0x0
	v_lshlrev_b32_e32 v3, 16, v2
	s_mov_b32 s22, -1
	s_mov_b32 s0, 0
	s_mov_b32 s23, 0
	s_delay_alu instid0(VALU_DEP_1) | instskip(NEXT) | instid1(VALU_DEP_1)
	v_trunc_f32_e32 v3, v3
	v_mul_f32_e32 v5, 0x2f800000, v3
	s_delay_alu instid0(VALU_DEP_1) | instskip(NEXT) | instid1(VALU_DEP_1)
	v_floor_f32_e32 v5, v5
	v_fmamk_f32 v3, v5, 0xcf800000, v3
	v_cvt_u32_f32_e32 v7, v5
	s_delay_alu instid0(VALU_DEP_2)
	v_cvt_u32_f32_e32 v6, v3
	global_store_b64 v[0:1], v[6:7], off
	s_branch .LBB30_340
.LBB30_339:
	s_mov_b32 s23, 0
.LBB30_340:
	s_delay_alu instid0(SALU_CYCLE_1)
	s_and_b32 vcc_lo, exec_lo, s23
	s_cbranch_vccz .LBB30_356
; %bb.341:
	s_cmp_lt_i32 s21, 27
	s_mov_b32 s22, -1
	s_cbranch_scc1 .LBB30_347
; %bb.342:
	s_cmp_gt_i32 s21, 27
	s_cbranch_scc0 .LBB30_344
; %bb.343:
	s_wait_xcnt 0x0
	v_lshlrev_b32_e32 v3, 16, v2
	s_mov_b32 s22, 0
	s_delay_alu instid0(VALU_DEP_1)
	v_cvt_u32_f32_e32 v3, v3
	global_store_b32 v[0:1], v3, off
.LBB30_344:
	s_and_not1_b32 vcc_lo, exec_lo, s22
	s_cbranch_vccnz .LBB30_346
; %bb.345:
	s_wait_xcnt 0x0
	v_lshlrev_b32_e32 v3, 16, v2
	s_delay_alu instid0(VALU_DEP_1)
	v_cvt_u32_f32_e32 v3, v3
	global_store_b16 v[0:1], v3, off
.LBB30_346:
	s_mov_b32 s22, 0
.LBB30_347:
	s_delay_alu instid0(SALU_CYCLE_1)
	s_and_not1_b32 vcc_lo, exec_lo, s22
	s_cbranch_vccnz .LBB30_355
; %bb.348:
	s_wait_xcnt 0x0
	v_dual_mov_b32 v7, 0x80 :: v_dual_lshlrev_b32 v6, 16, v2
	s_mov_b32 s22, exec_lo
	s_delay_alu instid0(VALU_DEP_1) | instskip(NEXT) | instid1(VALU_DEP_1)
	v_and_b32_e32 v5, 0x7fffffff, v6
	v_cmpx_gt_u32_e32 0x43800000, v5
	s_cbranch_execz .LBB30_354
; %bb.349:
	v_and_b32_e32 v3, 0xffff, v2
	v_cmp_lt_u32_e32 vcc_lo, 0x3bffffff, v5
	s_mov_b32 s23, 0
                                        ; implicit-def: $vgpr5
	s_and_saveexec_b32 s24, vcc_lo
	s_delay_alu instid0(SALU_CYCLE_1)
	s_xor_b32 s24, exec_lo, s24
	s_cbranch_execz .LBB30_527
; %bb.350:
	v_bfe_u32 v5, v3, 4, 1
	s_mov_b32 s23, exec_lo
	s_delay_alu instid0(VALU_DEP_1) | instskip(NEXT) | instid1(VALU_DEP_1)
	v_add3_u32 v5, v6, v5, 0x487ffff
                                        ; implicit-def: $vgpr6
	v_lshrrev_b32_e32 v5, 20, v5
	s_and_not1_saveexec_b32 s24, s24
	s_cbranch_execnz .LBB30_528
.LBB30_351:
	s_or_b32 exec_lo, exec_lo, s24
	v_mov_b32_e32 v7, 0
	s_and_saveexec_b32 s24, s23
.LBB30_352:
	v_lshrrev_b32_e32 v3, 8, v3
	s_delay_alu instid0(VALU_DEP_1)
	v_and_or_b32 v7, 0x80, v3, v5
.LBB30_353:
	s_or_b32 exec_lo, exec_lo, s24
.LBB30_354:
	s_delay_alu instid0(SALU_CYCLE_1)
	s_or_b32 exec_lo, exec_lo, s22
	global_store_b8 v[0:1], v7, off
.LBB30_355:
	s_mov_b32 s22, -1
.LBB30_356:
	s_mov_b32 s23, 0
.LBB30_357:
	s_delay_alu instid0(SALU_CYCLE_1)
	s_and_b32 vcc_lo, exec_lo, s23
	s_cbranch_vccz .LBB30_398
; %bb.358:
	s_cmp_gt_i32 s21, 22
	s_mov_b32 s23, -1
	s_cbranch_scc0 .LBB30_390
; %bb.359:
	s_cmp_lt_i32 s21, 24
	s_mov_b32 s22, -1
	s_cbranch_scc1 .LBB30_379
; %bb.360:
	s_cmp_gt_i32 s21, 24
	s_cbranch_scc0 .LBB30_368
; %bb.361:
	s_wait_xcnt 0x0
	v_dual_mov_b32 v7, 0x80 :: v_dual_lshlrev_b32 v6, 16, v2
	s_mov_b32 s22, exec_lo
	s_delay_alu instid0(VALU_DEP_1) | instskip(NEXT) | instid1(VALU_DEP_1)
	v_and_b32_e32 v5, 0x7fffffff, v6
	v_cmpx_gt_u32_e32 0x47800000, v5
	s_cbranch_execz .LBB30_367
; %bb.362:
	v_and_b32_e32 v3, 0xffff, v2
	v_cmp_lt_u32_e32 vcc_lo, 0x37ffffff, v5
	s_mov_b32 s23, 0
                                        ; implicit-def: $vgpr5
	s_and_saveexec_b32 s24, vcc_lo
	s_delay_alu instid0(SALU_CYCLE_1)
	s_xor_b32 s24, exec_lo, s24
	s_cbranch_execz .LBB30_530
; %bb.363:
	v_bfe_u32 v5, v3, 5, 1
	s_mov_b32 s23, exec_lo
	s_delay_alu instid0(VALU_DEP_1) | instskip(NEXT) | instid1(VALU_DEP_1)
	v_add3_u32 v5, v6, v5, 0x88fffff
                                        ; implicit-def: $vgpr6
	v_lshrrev_b32_e32 v5, 21, v5
	s_and_not1_saveexec_b32 s24, s24
	s_cbranch_execnz .LBB30_531
.LBB30_364:
	s_or_b32 exec_lo, exec_lo, s24
	v_mov_b32_e32 v7, 0
	s_and_saveexec_b32 s24, s23
.LBB30_365:
	v_lshrrev_b32_e32 v3, 8, v3
	s_delay_alu instid0(VALU_DEP_1)
	v_and_or_b32 v7, 0x80, v3, v5
.LBB30_366:
	s_or_b32 exec_lo, exec_lo, s24
.LBB30_367:
	s_delay_alu instid0(SALU_CYCLE_1)
	s_or_b32 exec_lo, exec_lo, s22
	s_mov_b32 s22, 0
	global_store_b8 v[0:1], v7, off
.LBB30_368:
	s_and_b32 vcc_lo, exec_lo, s22
	s_cbranch_vccz .LBB30_378
; %bb.369:
	s_wait_xcnt 0x0
	v_lshlrev_b32_e32 v6, 16, v2
	v_and_b32_e32 v3, 0xffff, v2
	s_mov_b32 s22, exec_lo
                                        ; implicit-def: $vgpr5
	s_delay_alu instid0(VALU_DEP_2) | instskip(NEXT) | instid1(VALU_DEP_1)
	v_and_b32_e32 v7, 0x7fffffff, v6
	v_cmpx_gt_u32_e32 0x43f00000, v7
	s_xor_b32 s22, exec_lo, s22
	s_cbranch_execz .LBB30_375
; %bb.370:
	s_mov_b32 s23, exec_lo
                                        ; implicit-def: $vgpr5
	v_cmpx_lt_u32_e32 0x3c7fffff, v7
	s_xor_b32 s23, exec_lo, s23
; %bb.371:
	v_bfe_u32 v5, v3, 4, 1
	s_delay_alu instid0(VALU_DEP_1) | instskip(NEXT) | instid1(VALU_DEP_1)
	v_add3_u32 v5, v6, v5, 0x407ffff
	v_and_b32_e32 v6, 0xff00000, v5
	v_lshrrev_b32_e32 v5, 20, v5
	s_delay_alu instid0(VALU_DEP_2) | instskip(NEXT) | instid1(VALU_DEP_2)
	v_cmp_ne_u32_e32 vcc_lo, 0x7f00000, v6
                                        ; implicit-def: $vgpr6
	v_cndmask_b32_e32 v5, 0x7e, v5, vcc_lo
; %bb.372:
	s_and_not1_saveexec_b32 s23, s23
; %bb.373:
	v_add_f32_e64 v5, 0x46800000, |v6|
; %bb.374:
	s_or_b32 exec_lo, exec_lo, s23
                                        ; implicit-def: $vgpr7
.LBB30_375:
	s_and_not1_saveexec_b32 s22, s22
; %bb.376:
	v_mov_b32_e32 v5, 0x7f
	v_cmp_lt_u32_e32 vcc_lo, 0x7f800000, v7
	s_delay_alu instid0(VALU_DEP_2)
	v_cndmask_b32_e32 v5, 0x7e, v5, vcc_lo
; %bb.377:
	s_or_b32 exec_lo, exec_lo, s22
	v_lshrrev_b32_e32 v3, 8, v3
	s_delay_alu instid0(VALU_DEP_1)
	v_and_or_b32 v3, 0x80, v3, v5
	global_store_b8 v[0:1], v3, off
.LBB30_378:
	s_mov_b32 s22, 0
.LBB30_379:
	s_delay_alu instid0(SALU_CYCLE_1)
	s_and_not1_b32 vcc_lo, exec_lo, s22
	s_cbranch_vccnz .LBB30_389
; %bb.380:
	s_wait_xcnt 0x0
	v_lshlrev_b32_e32 v6, 16, v2
	v_and_b32_e32 v3, 0xffff, v2
	s_mov_b32 s22, exec_lo
                                        ; implicit-def: $vgpr5
	s_delay_alu instid0(VALU_DEP_2) | instskip(NEXT) | instid1(VALU_DEP_1)
	v_and_b32_e32 v7, 0x7fffffff, v6
	v_cmpx_gt_u32_e32 0x47800000, v7
	s_xor_b32 s22, exec_lo, s22
	s_cbranch_execz .LBB30_386
; %bb.381:
	s_mov_b32 s23, exec_lo
                                        ; implicit-def: $vgpr5
	v_cmpx_lt_u32_e32 0x387fffff, v7
	s_xor_b32 s23, exec_lo, s23
; %bb.382:
	v_bfe_u32 v5, v3, 5, 1
	s_delay_alu instid0(VALU_DEP_1) | instskip(NEXT) | instid1(VALU_DEP_1)
	v_add3_u32 v5, v6, v5, 0x80fffff
                                        ; implicit-def: $vgpr6
	v_lshrrev_b32_e32 v5, 21, v5
; %bb.383:
	s_and_not1_saveexec_b32 s23, s23
; %bb.384:
	v_add_f32_e64 v5, 0x43000000, |v6|
; %bb.385:
	s_or_b32 exec_lo, exec_lo, s23
                                        ; implicit-def: $vgpr7
.LBB30_386:
	s_and_not1_saveexec_b32 s22, s22
; %bb.387:
	v_mov_b32_e32 v5, 0x7f
	v_cmp_lt_u32_e32 vcc_lo, 0x7f800000, v7
	s_delay_alu instid0(VALU_DEP_2)
	v_cndmask_b32_e32 v5, 0x7c, v5, vcc_lo
; %bb.388:
	s_or_b32 exec_lo, exec_lo, s22
	v_lshrrev_b32_e32 v3, 8, v3
	s_delay_alu instid0(VALU_DEP_1)
	v_and_or_b32 v3, 0x80, v3, v5
	global_store_b8 v[0:1], v3, off
.LBB30_389:
	s_mov_b32 s23, 0
	s_mov_b32 s22, -1
.LBB30_390:
	s_and_not1_b32 vcc_lo, exec_lo, s23
	s_cbranch_vccnz .LBB30_398
; %bb.391:
	s_cmp_gt_i32 s21, 14
	s_mov_b32 s23, -1
	s_cbranch_scc0 .LBB30_395
; %bb.392:
	s_cmp_eq_u32 s21, 15
	s_mov_b32 s0, -1
	s_cbranch_scc0 .LBB30_394
; %bb.393:
	s_mov_b32 s22, -1
	s_mov_b32 s0, 0
	global_store_b16 v[0:1], v2, off
.LBB30_394:
	s_mov_b32 s23, 0
.LBB30_395:
	s_delay_alu instid0(SALU_CYCLE_1)
	s_and_b32 vcc_lo, exec_lo, s23
	s_cbranch_vccz .LBB30_398
; %bb.396:
	s_cmp_eq_u32 s21, 11
	s_mov_b32 s0, -1
	s_cbranch_scc0 .LBB30_398
; %bb.397:
	s_wait_xcnt 0x0
	v_and_b32_e32 v3, 0x7fff, v2
	s_mov_b32 s0, 0
	s_mov_b32 s22, -1
	s_delay_alu instid0(VALU_DEP_1)
	v_cmp_ne_u16_e32 vcc_lo, 0, v3
	v_cndmask_b32_e64 v3, 0, 1, vcc_lo
	global_store_b8 v[0:1], v3, off
.LBB30_398:
.LBB30_399:
	s_and_not1_b32 vcc_lo, exec_lo, s22
	s_cbranch_vccnz .LBB30_312
.LBB30_400:
	v_add_nc_u32_e32 v4, 0x80, v4
	s_mov_b32 s21, -1
	s_branch .LBB30_513
.LBB30_401:
	s_mov_b32 s18, -1
                                        ; implicit-def: $vgpr2
.LBB30_402:
	s_mov_b32 s21, 0
.LBB30_403:
	s_delay_alu instid0(SALU_CYCLE_1)
	s_and_b32 vcc_lo, exec_lo, s21
	s_cbranch_vccz .LBB30_407
; %bb.404:
	s_cmp_eq_u32 s0, 29
	s_cbranch_scc0 .LBB30_406
; %bb.405:
	s_wait_loadcnt 0x0
	global_load_b64 v[2:3], v[0:1], off
	s_mov_b32 s19, -1
	s_mov_b32 s18, 0
	s_mov_b32 s21, 0
	s_wait_loadcnt 0x0
	v_clz_i32_u32_e32 v5, v3
	s_delay_alu instid0(VALU_DEP_1) | instskip(NEXT) | instid1(VALU_DEP_1)
	v_min_u32_e32 v5, 32, v5
	v_lshlrev_b64_e32 v[2:3], v5, v[2:3]
	s_delay_alu instid0(VALU_DEP_1) | instskip(NEXT) | instid1(VALU_DEP_1)
	v_min_u32_e32 v2, 1, v2
	v_dual_sub_nc_u32 v3, 32, v5 :: v_dual_bitop2_b32 v2, v3, v2 bitop3:0x54
	s_delay_alu instid0(VALU_DEP_1) | instskip(NEXT) | instid1(VALU_DEP_1)
	v_cvt_f32_u32_e32 v2, v2
	v_ldexp_f32 v2, v2, v3
	s_delay_alu instid0(VALU_DEP_1) | instskip(NEXT) | instid1(VALU_DEP_1)
	v_bfe_u32 v3, v2, 16, 1
	v_add3_u32 v2, v2, v3, 0x7fff
	s_delay_alu instid0(VALU_DEP_1)
	v_lshrrev_b32_e32 v2, 16, v2
	s_branch .LBB30_408
.LBB30_406:
	s_mov_b32 s18, -1
                                        ; implicit-def: $vgpr2
.LBB30_407:
	s_mov_b32 s21, 0
.LBB30_408:
	s_delay_alu instid0(SALU_CYCLE_1)
	s_and_b32 vcc_lo, exec_lo, s21
	s_cbranch_vccz .LBB30_426
; %bb.409:
	s_cmp_lt_i32 s0, 27
	s_cbranch_scc1 .LBB30_412
; %bb.410:
	s_cmp_gt_i32 s0, 27
	s_cbranch_scc0 .LBB30_413
; %bb.411:
	s_wait_loadcnt 0x0
	global_load_b32 v2, v[0:1], off
	s_mov_b32 s19, 0
	s_wait_loadcnt 0x0
	v_cvt_f32_u32_e32 v2, v2
	s_delay_alu instid0(VALU_DEP_1) | instskip(NEXT) | instid1(VALU_DEP_1)
	v_bfe_u32 v3, v2, 16, 1
	v_add3_u32 v2, v2, v3, 0x7fff
	s_delay_alu instid0(VALU_DEP_1)
	v_lshrrev_b32_e32 v2, 16, v2
	s_branch .LBB30_414
.LBB30_412:
	s_mov_b32 s19, -1
                                        ; implicit-def: $vgpr2
	s_branch .LBB30_417
.LBB30_413:
	s_mov_b32 s19, -1
                                        ; implicit-def: $vgpr2
.LBB30_414:
	s_delay_alu instid0(SALU_CYCLE_1)
	s_and_not1_b32 vcc_lo, exec_lo, s19
	s_cbranch_vccnz .LBB30_416
; %bb.415:
	s_wait_loadcnt 0x0
	global_load_u16 v2, v[0:1], off
	s_wait_loadcnt 0x0
	v_cvt_f32_u32_e32 v2, v2
	s_delay_alu instid0(VALU_DEP_1) | instskip(NEXT) | instid1(VALU_DEP_1)
	v_bfe_u32 v3, v2, 16, 1
	v_add3_u32 v2, v2, v3, 0x7fff
	s_delay_alu instid0(VALU_DEP_1)
	v_lshrrev_b32_e32 v2, 16, v2
.LBB30_416:
	s_mov_b32 s19, 0
.LBB30_417:
	s_delay_alu instid0(SALU_CYCLE_1)
	s_and_not1_b32 vcc_lo, exec_lo, s19
	s_cbranch_vccnz .LBB30_425
; %bb.418:
	s_wait_loadcnt 0x0
	global_load_u8 v2, v[0:1], off
	s_mov_b32 s19, 0
	s_mov_b32 s21, exec_lo
	s_wait_loadcnt 0x0
	v_cmpx_lt_i16_e32 0x7f, v2
	s_xor_b32 s21, exec_lo, s21
	s_cbranch_execz .LBB30_439
; %bb.419:
	s_mov_b32 s19, -1
	s_mov_b32 s22, exec_lo
	v_cmpx_eq_u16_e32 0x80, v2
; %bb.420:
	s_xor_b32 s19, exec_lo, -1
; %bb.421:
	s_or_b32 exec_lo, exec_lo, s22
	s_delay_alu instid0(SALU_CYCLE_1)
	s_and_b32 s19, s19, exec_lo
	s_or_saveexec_b32 s21, s21
	v_mov_b32_e32 v3, 0x7f800001
	s_xor_b32 exec_lo, exec_lo, s21
	s_cbranch_execnz .LBB30_440
.LBB30_422:
	s_or_b32 exec_lo, exec_lo, s21
	s_and_saveexec_b32 s21, s19
	s_cbranch_execz .LBB30_424
.LBB30_423:
	v_and_b32_e32 v3, 0xffff, v2
	s_delay_alu instid0(VALU_DEP_1) | instskip(SKIP_1) | instid1(VALU_DEP_2)
	v_and_b32_e32 v5, 7, v3
	v_bfe_u32 v8, v3, 3, 4
	v_clz_i32_u32_e32 v6, v5
	s_delay_alu instid0(VALU_DEP_2) | instskip(NEXT) | instid1(VALU_DEP_2)
	v_cmp_eq_u32_e32 vcc_lo, 0, v8
	v_min_u32_e32 v6, 32, v6
	s_delay_alu instid0(VALU_DEP_1) | instskip(NEXT) | instid1(VALU_DEP_1)
	v_subrev_nc_u32_e32 v7, 28, v6
	v_dual_lshlrev_b32 v3, v7, v3 :: v_dual_sub_nc_u32 v6, 29, v6
	s_delay_alu instid0(VALU_DEP_1) | instskip(NEXT) | instid1(VALU_DEP_1)
	v_dual_lshlrev_b32 v2, 24, v2 :: v_dual_bitop2_b32 v3, 7, v3 bitop3:0x40
	v_dual_cndmask_b32 v3, v5, v3 :: v_dual_cndmask_b32 v6, v8, v6
	s_delay_alu instid0(VALU_DEP_2) | instskip(NEXT) | instid1(VALU_DEP_2)
	v_and_b32_e32 v2, 0x80000000, v2
	v_lshlrev_b32_e32 v3, 20, v3
	s_delay_alu instid0(VALU_DEP_3) | instskip(NEXT) | instid1(VALU_DEP_1)
	v_lshl_add_u32 v5, v6, 23, 0x3b800000
	v_or3_b32 v3, v2, v5, v3
.LBB30_424:
	s_or_b32 exec_lo, exec_lo, s21
	s_delay_alu instid0(VALU_DEP_1) | instskip(SKIP_1) | instid1(VALU_DEP_2)
	v_bfe_u32 v2, v3, 16, 1
	v_cmp_o_f32_e32 vcc_lo, v3, v3
	v_add3_u32 v2, v3, v2, 0x7fff
	s_delay_alu instid0(VALU_DEP_1) | instskip(NEXT) | instid1(VALU_DEP_1)
	v_lshrrev_b32_e32 v2, 16, v2
	v_cndmask_b32_e32 v2, 0x7fc0, v2, vcc_lo
.LBB30_425:
	s_mov_b32 s19, -1
.LBB30_426:
	s_mov_b32 s21, 0
.LBB30_427:
	s_delay_alu instid0(SALU_CYCLE_1)
	s_and_b32 vcc_lo, exec_lo, s21
	s_cbranch_vccz .LBB30_462
; %bb.428:
	s_cmp_gt_i32 s0, 22
	s_cbranch_scc0 .LBB30_438
; %bb.429:
	s_cmp_lt_i32 s0, 24
	s_cbranch_scc1 .LBB30_441
; %bb.430:
	s_cmp_gt_i32 s0, 24
	s_cbranch_scc0 .LBB30_442
; %bb.431:
	s_wait_loadcnt 0x0
	global_load_u8 v2, v[0:1], off
	s_mov_b32 s19, 0
	s_mov_b32 s21, exec_lo
	s_wait_loadcnt 0x0
	v_cmpx_lt_i16_e32 0x7f, v2
	s_xor_b32 s21, exec_lo, s21
	s_cbranch_execz .LBB30_454
; %bb.432:
	s_mov_b32 s19, -1
	s_mov_b32 s22, exec_lo
	v_cmpx_eq_u16_e32 0x80, v2
; %bb.433:
	s_xor_b32 s19, exec_lo, -1
; %bb.434:
	s_or_b32 exec_lo, exec_lo, s22
	s_delay_alu instid0(SALU_CYCLE_1)
	s_and_b32 s19, s19, exec_lo
	s_or_saveexec_b32 s21, s21
	v_mov_b32_e32 v3, 0x7f800001
	s_xor_b32 exec_lo, exec_lo, s21
	s_cbranch_execnz .LBB30_455
.LBB30_435:
	s_or_b32 exec_lo, exec_lo, s21
	s_and_saveexec_b32 s21, s19
	s_cbranch_execz .LBB30_437
.LBB30_436:
	v_and_b32_e32 v3, 0xffff, v2
	s_delay_alu instid0(VALU_DEP_1) | instskip(SKIP_1) | instid1(VALU_DEP_2)
	v_and_b32_e32 v5, 3, v3
	v_bfe_u32 v8, v3, 2, 5
	v_clz_i32_u32_e32 v6, v5
	s_delay_alu instid0(VALU_DEP_2) | instskip(NEXT) | instid1(VALU_DEP_2)
	v_cmp_eq_u32_e32 vcc_lo, 0, v8
	v_min_u32_e32 v6, 32, v6
	s_delay_alu instid0(VALU_DEP_1) | instskip(NEXT) | instid1(VALU_DEP_1)
	v_subrev_nc_u32_e32 v7, 29, v6
	v_dual_lshlrev_b32 v3, v7, v3 :: v_dual_sub_nc_u32 v6, 30, v6
	s_delay_alu instid0(VALU_DEP_1) | instskip(NEXT) | instid1(VALU_DEP_1)
	v_dual_lshlrev_b32 v2, 24, v2 :: v_dual_bitop2_b32 v3, 3, v3 bitop3:0x40
	v_dual_cndmask_b32 v3, v5, v3 :: v_dual_cndmask_b32 v6, v8, v6
	s_delay_alu instid0(VALU_DEP_2) | instskip(NEXT) | instid1(VALU_DEP_2)
	v_and_b32_e32 v2, 0x80000000, v2
	v_lshlrev_b32_e32 v3, 21, v3
	s_delay_alu instid0(VALU_DEP_3) | instskip(NEXT) | instid1(VALU_DEP_1)
	v_lshl_add_u32 v5, v6, 23, 0x37800000
	v_or3_b32 v3, v2, v5, v3
.LBB30_437:
	s_or_b32 exec_lo, exec_lo, s21
	s_delay_alu instid0(VALU_DEP_1) | instskip(SKIP_2) | instid1(VALU_DEP_2)
	v_bfe_u32 v2, v3, 16, 1
	v_cmp_o_f32_e32 vcc_lo, v3, v3
	s_mov_b32 s19, 0
	v_add3_u32 v2, v3, v2, 0x7fff
	s_delay_alu instid0(VALU_DEP_1) | instskip(NEXT) | instid1(VALU_DEP_1)
	v_lshrrev_b32_e32 v2, 16, v2
	v_cndmask_b32_e32 v2, 0x7fc0, v2, vcc_lo
	s_branch .LBB30_443
.LBB30_438:
	s_mov_b32 s21, -1
                                        ; implicit-def: $vgpr2
	s_branch .LBB30_449
.LBB30_439:
	s_or_saveexec_b32 s21, s21
	v_mov_b32_e32 v3, 0x7f800001
	s_xor_b32 exec_lo, exec_lo, s21
	s_cbranch_execz .LBB30_422
.LBB30_440:
	v_cmp_ne_u16_e32 vcc_lo, 0, v2
	v_mov_b32_e32 v3, 0
	s_and_not1_b32 s19, s19, exec_lo
	s_and_b32 s22, vcc_lo, exec_lo
	s_delay_alu instid0(SALU_CYCLE_1)
	s_or_b32 s19, s19, s22
	s_or_b32 exec_lo, exec_lo, s21
	s_and_saveexec_b32 s21, s19
	s_cbranch_execnz .LBB30_423
	s_branch .LBB30_424
.LBB30_441:
	s_mov_b32 s19, -1
                                        ; implicit-def: $vgpr2
	s_branch .LBB30_446
.LBB30_442:
	s_mov_b32 s19, -1
                                        ; implicit-def: $vgpr2
.LBB30_443:
	s_delay_alu instid0(SALU_CYCLE_1)
	s_and_b32 vcc_lo, exec_lo, s19
	s_cbranch_vccz .LBB30_445
; %bb.444:
	s_wait_loadcnt 0x0
	global_load_u8 v2, v[0:1], off
	s_wait_loadcnt 0x0
	v_lshlrev_b32_e32 v2, 24, v2
	s_delay_alu instid0(VALU_DEP_1) | instskip(NEXT) | instid1(VALU_DEP_1)
	v_and_b32_e32 v3, 0x7f000000, v2
	v_clz_i32_u32_e32 v5, v3
	v_add_nc_u32_e32 v7, 0x1000000, v3
	v_cmp_ne_u32_e32 vcc_lo, 0, v3
	s_delay_alu instid0(VALU_DEP_3) | instskip(NEXT) | instid1(VALU_DEP_1)
	v_min_u32_e32 v5, 32, v5
	v_sub_nc_u32_e64 v5, v5, 4 clamp
	s_delay_alu instid0(VALU_DEP_1) | instskip(NEXT) | instid1(VALU_DEP_1)
	v_dual_lshlrev_b32 v6, v5, v3 :: v_dual_lshlrev_b32 v5, 23, v5
	v_lshrrev_b32_e32 v6, 4, v6
	s_delay_alu instid0(VALU_DEP_1) | instskip(NEXT) | instid1(VALU_DEP_1)
	v_dual_sub_nc_u32 v5, v6, v5 :: v_dual_ashrrev_i32 v6, 8, v7
	v_add_nc_u32_e32 v5, 0x3c000000, v5
	s_delay_alu instid0(VALU_DEP_1) | instskip(NEXT) | instid1(VALU_DEP_1)
	v_and_or_b32 v5, 0x7f800000, v6, v5
	v_cndmask_b32_e32 v3, 0, v5, vcc_lo
	s_delay_alu instid0(VALU_DEP_1) | instskip(SKIP_1) | instid1(VALU_DEP_2)
	v_and_or_b32 v2, 0x80000000, v2, v3
	v_bfe_u32 v3, v3, 16, 1
	v_cmp_o_f32_e32 vcc_lo, v2, v2
	s_delay_alu instid0(VALU_DEP_2) | instskip(NEXT) | instid1(VALU_DEP_1)
	v_add3_u32 v3, v2, v3, 0x7fff
	v_lshrrev_b32_e32 v3, 16, v3
	s_delay_alu instid0(VALU_DEP_1)
	v_cndmask_b32_e32 v2, 0x7fc0, v3, vcc_lo
.LBB30_445:
	s_mov_b32 s19, 0
.LBB30_446:
	s_delay_alu instid0(SALU_CYCLE_1)
	s_and_not1_b32 vcc_lo, exec_lo, s19
	s_cbranch_vccnz .LBB30_448
; %bb.447:
	s_wait_loadcnt 0x0
	global_load_u8 v2, v[0:1], off
	s_wait_loadcnt 0x0
	v_lshlrev_b32_e32 v3, 25, v2
	v_lshlrev_b16 v2, 8, v2
	s_delay_alu instid0(VALU_DEP_2) | instskip(NEXT) | instid1(VALU_DEP_2)
	v_cmp_gt_u32_e32 vcc_lo, 0x8000000, v3
	v_and_or_b32 v6, 0x7f00, v2, 0.5
	v_lshrrev_b32_e32 v5, 4, v3
	v_bfe_i32 v2, v2, 0, 16
	s_delay_alu instid0(VALU_DEP_3) | instskip(NEXT) | instid1(VALU_DEP_3)
	v_add_f32_e32 v6, -0.5, v6
	v_or_b32_e32 v5, 0x70000000, v5
	s_delay_alu instid0(VALU_DEP_1) | instskip(NEXT) | instid1(VALU_DEP_1)
	v_mul_f32_e32 v5, 0x7800000, v5
	v_cndmask_b32_e32 v3, v5, v6, vcc_lo
	s_delay_alu instid0(VALU_DEP_1) | instskip(SKIP_1) | instid1(VALU_DEP_2)
	v_and_or_b32 v2, 0x80000000, v2, v3
	v_bfe_u32 v3, v3, 16, 1
	v_cmp_o_f32_e32 vcc_lo, v2, v2
	s_delay_alu instid0(VALU_DEP_2) | instskip(NEXT) | instid1(VALU_DEP_1)
	v_add3_u32 v3, v2, v3, 0x7fff
	v_lshrrev_b32_e32 v3, 16, v3
	s_delay_alu instid0(VALU_DEP_1)
	v_cndmask_b32_e32 v2, 0x7fc0, v3, vcc_lo
.LBB30_448:
	s_mov_b32 s21, 0
	s_mov_b32 s19, -1
.LBB30_449:
	s_and_not1_b32 vcc_lo, exec_lo, s21
	s_cbranch_vccnz .LBB30_462
; %bb.450:
	s_cmp_gt_i32 s0, 14
	s_cbranch_scc0 .LBB30_453
; %bb.451:
	s_cmp_eq_u32 s0, 15
	s_cbranch_scc0 .LBB30_456
; %bb.452:
	s_wait_loadcnt 0x0
	global_load_u16 v2, v[0:1], off
	s_mov_b32 s19, -1
	s_mov_b32 s18, 0
	s_branch .LBB30_457
.LBB30_453:
	s_mov_b32 s21, -1
                                        ; implicit-def: $vgpr2
	s_branch .LBB30_458
.LBB30_454:
	s_or_saveexec_b32 s21, s21
	v_mov_b32_e32 v3, 0x7f800001
	s_xor_b32 exec_lo, exec_lo, s21
	s_cbranch_execz .LBB30_435
.LBB30_455:
	v_cmp_ne_u16_e32 vcc_lo, 0, v2
	v_mov_b32_e32 v3, 0
	s_and_not1_b32 s19, s19, exec_lo
	s_and_b32 s22, vcc_lo, exec_lo
	s_delay_alu instid0(SALU_CYCLE_1)
	s_or_b32 s19, s19, s22
	s_or_b32 exec_lo, exec_lo, s21
	s_and_saveexec_b32 s21, s19
	s_cbranch_execnz .LBB30_436
	s_branch .LBB30_437
.LBB30_456:
	s_mov_b32 s18, -1
                                        ; implicit-def: $vgpr2
.LBB30_457:
	s_mov_b32 s21, 0
.LBB30_458:
	s_delay_alu instid0(SALU_CYCLE_1)
	s_and_b32 vcc_lo, exec_lo, s21
	s_cbranch_vccz .LBB30_462
; %bb.459:
	s_cmp_eq_u32 s0, 11
	s_cbranch_scc0 .LBB30_461
; %bb.460:
	s_wait_loadcnt 0x0
	global_load_u8 v2, v[0:1], off
	s_mov_b32 s18, 0
	s_mov_b32 s19, -1
	s_wait_loadcnt 0x0
	v_cmp_ne_u16_e32 vcc_lo, 0, v2
	v_cndmask_b32_e64 v2, 0, 1.0, vcc_lo
	s_delay_alu instid0(VALU_DEP_1)
	v_lshrrev_b32_e32 v2, 16, v2
	s_branch .LBB30_462
.LBB30_461:
	s_mov_b32 s18, -1
                                        ; implicit-def: $vgpr2
.LBB30_462:
	s_branch .LBB30_265
.LBB30_463:
	s_cmp_lt_i32 s0, 5
	s_cbranch_scc1 .LBB30_468
; %bb.464:
	s_cmp_lt_i32 s0, 8
	s_cbranch_scc1 .LBB30_469
; %bb.465:
	;; [unrolled: 3-line block ×3, first 2 shown]
	s_cmp_gt_i32 s0, 9
	s_cbranch_scc0 .LBB30_471
; %bb.467:
	s_wait_loadcnt 0x0
	global_load_b64 v[2:3], v[0:1], off
	s_mov_b32 s19, 0
	s_wait_loadcnt 0x0
	v_cvt_f32_f64_e32 v2, v[2:3]
	s_delay_alu instid0(VALU_DEP_1) | instskip(SKIP_1) | instid1(VALU_DEP_2)
	v_bfe_u32 v3, v2, 16, 1
	v_cmp_o_f32_e32 vcc_lo, v2, v2
	v_add3_u32 v3, v2, v3, 0x7fff
	s_delay_alu instid0(VALU_DEP_1) | instskip(NEXT) | instid1(VALU_DEP_1)
	v_lshrrev_b32_e32 v3, 16, v3
	v_cndmask_b32_e32 v2, 0x7fc0, v3, vcc_lo
	s_branch .LBB30_472
.LBB30_468:
	s_mov_b32 s19, -1
                                        ; implicit-def: $vgpr2
	s_branch .LBB30_490
.LBB30_469:
	s_mov_b32 s19, -1
                                        ; implicit-def: $vgpr2
	s_branch .LBB30_478
.LBB30_470:
	s_mov_b32 s19, -1
                                        ; implicit-def: $vgpr2
	s_branch .LBB30_475
.LBB30_471:
	s_mov_b32 s19, -1
                                        ; implicit-def: $vgpr2
.LBB30_472:
	s_delay_alu instid0(SALU_CYCLE_1)
	s_and_not1_b32 vcc_lo, exec_lo, s19
	s_cbranch_vccnz .LBB30_474
; %bb.473:
	s_wait_loadcnt 0x0
	global_load_b32 v2, v[0:1], off
	s_wait_loadcnt 0x0
	v_bfe_u32 v3, v2, 16, 1
	v_cmp_o_f32_e32 vcc_lo, v2, v2
	s_delay_alu instid0(VALU_DEP_2) | instskip(NEXT) | instid1(VALU_DEP_1)
	v_add3_u32 v3, v2, v3, 0x7fff
	v_lshrrev_b32_e32 v3, 16, v3
	s_delay_alu instid0(VALU_DEP_1)
	v_cndmask_b32_e32 v2, 0x7fc0, v3, vcc_lo
.LBB30_474:
	s_mov_b32 s19, 0
.LBB30_475:
	s_delay_alu instid0(SALU_CYCLE_1)
	s_and_not1_b32 vcc_lo, exec_lo, s19
	s_cbranch_vccnz .LBB30_477
; %bb.476:
	s_wait_loadcnt 0x0
	global_load_b32 v2, v[0:1], off
	s_wait_loadcnt 0x0
	v_cvt_f32_f16_e32 v3, v2
	v_cmp_o_f16_e32 vcc_lo, v2, v2
	s_delay_alu instid0(VALU_DEP_2) | instskip(NEXT) | instid1(VALU_DEP_1)
	v_bfe_u32 v5, v3, 16, 1
	v_add3_u32 v3, v3, v5, 0x7fff
	s_delay_alu instid0(VALU_DEP_1) | instskip(NEXT) | instid1(VALU_DEP_1)
	v_lshrrev_b32_e32 v3, 16, v3
	v_cndmask_b32_e32 v2, 0x7fc0, v3, vcc_lo
.LBB30_477:
	s_mov_b32 s19, 0
.LBB30_478:
	s_delay_alu instid0(SALU_CYCLE_1)
	s_and_not1_b32 vcc_lo, exec_lo, s19
	s_cbranch_vccnz .LBB30_489
; %bb.479:
	s_cmp_lt_i32 s0, 6
	s_cbranch_scc1 .LBB30_482
; %bb.480:
	s_cmp_gt_i32 s0, 6
	s_cbranch_scc0 .LBB30_483
; %bb.481:
	s_wait_loadcnt 0x0
	global_load_b64 v[2:3], v[0:1], off
	s_mov_b32 s19, 0
	s_wait_loadcnt 0x0
	v_cvt_f32_f64_e32 v2, v[2:3]
	s_delay_alu instid0(VALU_DEP_1) | instskip(SKIP_1) | instid1(VALU_DEP_2)
	v_bfe_u32 v3, v2, 16, 1
	v_cmp_o_f32_e32 vcc_lo, v2, v2
	v_add3_u32 v3, v2, v3, 0x7fff
	s_delay_alu instid0(VALU_DEP_1) | instskip(NEXT) | instid1(VALU_DEP_1)
	v_lshrrev_b32_e32 v3, 16, v3
	v_cndmask_b32_e32 v2, 0x7fc0, v3, vcc_lo
	s_branch .LBB30_484
.LBB30_482:
	s_mov_b32 s19, -1
                                        ; implicit-def: $vgpr2
	s_branch .LBB30_487
.LBB30_483:
	s_mov_b32 s19, -1
                                        ; implicit-def: $vgpr2
.LBB30_484:
	s_delay_alu instid0(SALU_CYCLE_1)
	s_and_not1_b32 vcc_lo, exec_lo, s19
	s_cbranch_vccnz .LBB30_486
; %bb.485:
	s_wait_loadcnt 0x0
	global_load_b32 v2, v[0:1], off
	s_wait_loadcnt 0x0
	v_bfe_u32 v3, v2, 16, 1
	v_cmp_o_f32_e32 vcc_lo, v2, v2
	s_delay_alu instid0(VALU_DEP_2) | instskip(NEXT) | instid1(VALU_DEP_1)
	v_add3_u32 v3, v2, v3, 0x7fff
	v_lshrrev_b32_e32 v3, 16, v3
	s_delay_alu instid0(VALU_DEP_1)
	v_cndmask_b32_e32 v2, 0x7fc0, v3, vcc_lo
.LBB30_486:
	s_mov_b32 s19, 0
.LBB30_487:
	s_delay_alu instid0(SALU_CYCLE_1)
	s_and_not1_b32 vcc_lo, exec_lo, s19
	s_cbranch_vccnz .LBB30_489
; %bb.488:
	s_wait_loadcnt 0x0
	global_load_u16 v2, v[0:1], off
	s_wait_loadcnt 0x0
	v_cvt_f32_f16_e32 v3, v2
	v_cmp_o_f16_e32 vcc_lo, v2, v2
	s_delay_alu instid0(VALU_DEP_2) | instskip(NEXT) | instid1(VALU_DEP_1)
	v_bfe_u32 v5, v3, 16, 1
	v_add3_u32 v3, v3, v5, 0x7fff
	s_delay_alu instid0(VALU_DEP_1) | instskip(NEXT) | instid1(VALU_DEP_1)
	v_lshrrev_b32_e32 v3, 16, v3
	v_cndmask_b32_e32 v2, 0x7fc0, v3, vcc_lo
.LBB30_489:
	s_mov_b32 s19, 0
.LBB30_490:
	s_delay_alu instid0(SALU_CYCLE_1)
	s_and_not1_b32 vcc_lo, exec_lo, s19
	s_cbranch_vccnz .LBB30_510
; %bb.491:
	s_cmp_lt_i32 s0, 2
	s_cbranch_scc1 .LBB30_495
; %bb.492:
	s_cmp_lt_i32 s0, 3
	s_cbranch_scc1 .LBB30_496
; %bb.493:
	s_cmp_gt_i32 s0, 3
	s_cbranch_scc0 .LBB30_497
; %bb.494:
	s_wait_loadcnt 0x0
	global_load_b64 v[2:3], v[0:1], off
	s_mov_b32 s19, 0
	s_wait_loadcnt 0x0
	v_xor_b32_e32 v5, v2, v3
	v_cls_i32_e32 v6, v3
	s_delay_alu instid0(VALU_DEP_2) | instskip(NEXT) | instid1(VALU_DEP_1)
	v_ashrrev_i32_e32 v5, 31, v5
	v_add_nc_u32_e32 v5, 32, v5
	s_delay_alu instid0(VALU_DEP_1) | instskip(NEXT) | instid1(VALU_DEP_1)
	v_add_min_u32_e64 v5, v6, -1, v5
	v_lshlrev_b64_e32 v[2:3], v5, v[2:3]
	s_delay_alu instid0(VALU_DEP_1) | instskip(NEXT) | instid1(VALU_DEP_1)
	v_min_u32_e32 v2, 1, v2
	v_dual_sub_nc_u32 v3, 32, v5 :: v_dual_bitop2_b32 v2, v3, v2 bitop3:0x54
	s_delay_alu instid0(VALU_DEP_1) | instskip(NEXT) | instid1(VALU_DEP_1)
	v_cvt_f32_i32_e32 v2, v2
	v_ldexp_f32 v2, v2, v3
	s_delay_alu instid0(VALU_DEP_1) | instskip(NEXT) | instid1(VALU_DEP_1)
	v_bfe_u32 v3, v2, 16, 1
	v_add3_u32 v2, v2, v3, 0x7fff
	s_delay_alu instid0(VALU_DEP_1)
	v_lshrrev_b32_e32 v2, 16, v2
	s_branch .LBB30_498
.LBB30_495:
	s_mov_b32 s19, -1
                                        ; implicit-def: $vgpr2
	s_branch .LBB30_504
.LBB30_496:
	s_mov_b32 s19, -1
                                        ; implicit-def: $vgpr2
	s_branch .LBB30_501
.LBB30_497:
	s_mov_b32 s19, -1
                                        ; implicit-def: $vgpr2
.LBB30_498:
	s_delay_alu instid0(SALU_CYCLE_1)
	s_and_not1_b32 vcc_lo, exec_lo, s19
	s_cbranch_vccnz .LBB30_500
; %bb.499:
	s_wait_loadcnt 0x0
	global_load_b32 v2, v[0:1], off
	s_wait_loadcnt 0x0
	v_cvt_f32_i32_e32 v2, v2
	s_delay_alu instid0(VALU_DEP_1) | instskip(NEXT) | instid1(VALU_DEP_1)
	v_bfe_u32 v3, v2, 16, 1
	v_add3_u32 v2, v2, v3, 0x7fff
	s_delay_alu instid0(VALU_DEP_1)
	v_lshrrev_b32_e32 v2, 16, v2
.LBB30_500:
	s_mov_b32 s19, 0
.LBB30_501:
	s_delay_alu instid0(SALU_CYCLE_1)
	s_and_not1_b32 vcc_lo, exec_lo, s19
	s_cbranch_vccnz .LBB30_503
; %bb.502:
	s_wait_loadcnt 0x0
	global_load_i16 v2, v[0:1], off
	s_wait_loadcnt 0x0
	v_cvt_f32_i32_e32 v2, v2
	s_delay_alu instid0(VALU_DEP_1) | instskip(NEXT) | instid1(VALU_DEP_1)
	v_bfe_u32 v3, v2, 16, 1
	v_add3_u32 v2, v2, v3, 0x7fff
	s_delay_alu instid0(VALU_DEP_1)
	v_lshrrev_b32_e32 v2, 16, v2
.LBB30_503:
	s_mov_b32 s19, 0
.LBB30_504:
	s_delay_alu instid0(SALU_CYCLE_1)
	s_and_not1_b32 vcc_lo, exec_lo, s19
	s_cbranch_vccnz .LBB30_510
; %bb.505:
	s_cmp_gt_i32 s0, 0
	s_mov_b32 s0, 0
	s_cbranch_scc0 .LBB30_507
; %bb.506:
	s_wait_loadcnt 0x0
	global_load_i8 v2, v[0:1], off
	s_wait_loadcnt 0x0
	v_cvt_f32_i32_e32 v2, v2
	s_delay_alu instid0(VALU_DEP_1) | instskip(NEXT) | instid1(VALU_DEP_1)
	v_bfe_u32 v3, v2, 16, 1
	v_add3_u32 v2, v2, v3, 0x7fff
	s_delay_alu instid0(VALU_DEP_1)
	v_lshrrev_b32_e32 v2, 16, v2
	s_branch .LBB30_508
.LBB30_507:
	s_mov_b32 s0, -1
                                        ; implicit-def: $vgpr2
.LBB30_508:
	s_delay_alu instid0(SALU_CYCLE_1)
	s_and_not1_b32 vcc_lo, exec_lo, s0
	s_cbranch_vccnz .LBB30_510
; %bb.509:
	global_load_u8 v0, v[0:1], off
	s_wait_loadcnt 0x0
	v_cvt_f32_ubyte0_e32 v0, v0
	s_delay_alu instid0(VALU_DEP_1) | instskip(NEXT) | instid1(VALU_DEP_1)
	v_bfe_u32 v1, v0, 16, 1
	v_add3_u32 v0, v0, v1, 0x7fff
	s_delay_alu instid0(VALU_DEP_1)
	v_lshrrev_b32_e32 v2, 16, v0
.LBB30_510:
	s_branch .LBB30_266
.LBB30_511:
	s_mov_b32 s21, 0
	s_mov_b32 s0, s15
.LBB30_512:
                                        ; implicit-def: $vgpr4
.LBB30_513:
	s_and_not1_b32 s19, s15, exec_lo
	s_and_b32 s0, s0, exec_lo
	s_and_not1_b32 s22, s16, exec_lo
	s_and_b32 s18, s18, exec_lo
	s_or_b32 s19, s19, s0
	s_or_b32 s18, s22, s18
	s_or_not1_b32 s0, s21, exec_lo
.LBB30_514:
	s_wait_xcnt 0x0
	s_or_b32 exec_lo, exec_lo, s20
	s_mov_b32 s21, 0
	s_mov_b32 s22, 0
	s_mov_b32 s23, 0
                                        ; implicit-def: $vgpr0_vgpr1
                                        ; implicit-def: $vgpr3
	s_and_saveexec_b32 s20, s0
	s_cbranch_execz .LBB30_860
; %bb.515:
	s_mov_b32 s23, -1
	s_mov_b32 s0, s18
	s_mov_b32 s22, s19
	s_mov_b32 s21, exec_lo
	v_cmpx_gt_i32_e64 s14, v4
	s_cbranch_execz .LBB30_774
; %bb.516:
	v_mul_lo_u32 v0, v4, s9
	s_and_b32 s0, 0xffff, s10
	s_delay_alu instid0(SALU_CYCLE_1) | instskip(NEXT) | instid1(VALU_DEP_1)
	s_cmp_lt_i32 s0, 11
	v_ashrrev_i32_e32 v1, 31, v0
	s_delay_alu instid0(VALU_DEP_1)
	v_add_nc_u64_e32 v[0:1], s[6:7], v[0:1]
	s_cbranch_scc1 .LBB30_523
; %bb.517:
	s_cmp_gt_i32 s0, 25
	s_cbranch_scc0 .LBB30_524
; %bb.518:
	s_cmp_gt_i32 s0, 28
	s_cbranch_scc0 .LBB30_525
	;; [unrolled: 3-line block ×4, first 2 shown]
; %bb.521:
	s_cmp_eq_u32 s0, 46
	s_mov_b32 s24, 0
	s_cbranch_scc0 .LBB30_532
; %bb.522:
	s_wait_loadcnt 0x0
	global_load_b32 v2, v[0:1], off
	s_mov_b32 s22, 0
	s_branch .LBB30_534
.LBB30_523:
	s_mov_b32 s24, -1
	s_mov_b32 s23, 0
	s_mov_b32 s22, s18
                                        ; implicit-def: $vgpr2
	s_branch .LBB30_599
.LBB30_524:
	s_mov_b32 s24, -1
	s_mov_b32 s23, 0
	s_mov_b32 s22, s18
                                        ; implicit-def: $vgpr2
	s_branch .LBB30_563
.LBB30_525:
	s_mov_b32 s24, -1
	s_mov_b32 s23, 0
	s_mov_b32 s22, s18
                                        ; implicit-def: $vgpr2
	s_branch .LBB30_544
.LBB30_526:
	s_mov_b32 s24, -1
	s_mov_b32 s23, 0
	s_mov_b32 s22, s18
                                        ; implicit-def: $vgpr2
	s_branch .LBB30_539
.LBB30_527:
	s_and_not1_saveexec_b32 s24, s24
	s_cbranch_execz .LBB30_351
.LBB30_528:
	v_add_f32_e64 v5, 0x46000000, |v6|
	s_and_not1_b32 s23, s23, exec_lo
	s_delay_alu instid0(VALU_DEP_1) | instskip(NEXT) | instid1(VALU_DEP_1)
	v_and_b32_e32 v5, 0xff, v5
	v_cmp_ne_u32_e32 vcc_lo, 0, v5
	s_and_b32 s25, vcc_lo, exec_lo
	s_delay_alu instid0(SALU_CYCLE_1)
	s_or_b32 s23, s23, s25
	s_or_b32 exec_lo, exec_lo, s24
	v_mov_b32_e32 v7, 0
	s_and_saveexec_b32 s24, s23
	s_cbranch_execnz .LBB30_352
	s_branch .LBB30_353
.LBB30_529:
	s_mov_b32 s24, -1
	s_mov_b32 s23, 0
	s_mov_b32 s22, s18
	s_branch .LBB30_533
.LBB30_530:
	s_and_not1_saveexec_b32 s24, s24
	s_cbranch_execz .LBB30_364
.LBB30_531:
	v_add_f32_e64 v5, 0x42800000, |v6|
	s_and_not1_b32 s23, s23, exec_lo
	s_delay_alu instid0(VALU_DEP_1) | instskip(NEXT) | instid1(VALU_DEP_1)
	v_and_b32_e32 v5, 0xff, v5
	v_cmp_ne_u32_e32 vcc_lo, 0, v5
	s_and_b32 s25, vcc_lo, exec_lo
	s_delay_alu instid0(SALU_CYCLE_1)
	s_or_b32 s23, s23, s25
	s_or_b32 exec_lo, exec_lo, s24
	v_mov_b32_e32 v7, 0
	s_and_saveexec_b32 s24, s23
	s_cbranch_execnz .LBB30_365
	s_branch .LBB30_366
.LBB30_532:
	s_mov_b32 s22, -1
	s_mov_b32 s23, 0
.LBB30_533:
                                        ; implicit-def: $vgpr2
.LBB30_534:
	s_and_b32 vcc_lo, exec_lo, s24
	s_cbranch_vccz .LBB30_538
; %bb.535:
	s_cmp_eq_u32 s0, 44
	s_cbranch_scc0 .LBB30_537
; %bb.536:
	s_wait_loadcnt 0x0
	global_load_u8 v2, v[0:1], off
	s_mov_b32 s22, 0
	s_mov_b32 s23, -1
	s_wait_loadcnt 0x0
	v_lshlrev_b32_e32 v3, 23, v2
	v_cmp_ne_u32_e32 vcc_lo, 0xff, v2
	s_delay_alu instid0(VALU_DEP_2) | instskip(SKIP_1) | instid1(VALU_DEP_2)
	v_cndmask_b32_e32 v3, 0x7f800001, v3, vcc_lo
	v_cmp_ne_u32_e32 vcc_lo, 0, v2
	v_cndmask_b32_e32 v2, 0x400000, v3, vcc_lo
	s_delay_alu instid0(VALU_DEP_1) | instskip(NEXT) | instid1(VALU_DEP_1)
	v_add_nc_u32_e32 v3, 0x7fff, v2
	v_lshrrev_b32_e32 v3, 16, v3
	v_cmp_o_f32_e32 vcc_lo, v2, v2
	s_delay_alu instid0(VALU_DEP_2)
	v_cndmask_b32_e32 v2, 0x7fc0, v3, vcc_lo
	s_branch .LBB30_538
.LBB30_537:
	s_mov_b32 s22, -1
                                        ; implicit-def: $vgpr2
.LBB30_538:
	s_mov_b32 s24, 0
.LBB30_539:
	s_delay_alu instid0(SALU_CYCLE_1)
	s_and_b32 vcc_lo, exec_lo, s24
	s_cbranch_vccz .LBB30_543
; %bb.540:
	s_cmp_eq_u32 s0, 29
	s_cbranch_scc0 .LBB30_542
; %bb.541:
	s_wait_loadcnt 0x0
	global_load_b64 v[2:3], v[0:1], off
	s_mov_b32 s23, -1
	s_mov_b32 s22, 0
	s_mov_b32 s24, 0
	s_wait_loadcnt 0x0
	v_clz_i32_u32_e32 v5, v3
	s_delay_alu instid0(VALU_DEP_1) | instskip(NEXT) | instid1(VALU_DEP_1)
	v_min_u32_e32 v5, 32, v5
	v_lshlrev_b64_e32 v[2:3], v5, v[2:3]
	s_delay_alu instid0(VALU_DEP_1) | instskip(NEXT) | instid1(VALU_DEP_1)
	v_min_u32_e32 v2, 1, v2
	v_dual_sub_nc_u32 v3, 32, v5 :: v_dual_bitop2_b32 v2, v3, v2 bitop3:0x54
	s_delay_alu instid0(VALU_DEP_1) | instskip(NEXT) | instid1(VALU_DEP_1)
	v_cvt_f32_u32_e32 v2, v2
	v_ldexp_f32 v2, v2, v3
	s_delay_alu instid0(VALU_DEP_1) | instskip(NEXT) | instid1(VALU_DEP_1)
	v_bfe_u32 v3, v2, 16, 1
	v_add3_u32 v2, v2, v3, 0x7fff
	s_delay_alu instid0(VALU_DEP_1)
	v_lshrrev_b32_e32 v2, 16, v2
	s_branch .LBB30_544
.LBB30_542:
	s_mov_b32 s22, -1
                                        ; implicit-def: $vgpr2
.LBB30_543:
	s_mov_b32 s24, 0
.LBB30_544:
	s_delay_alu instid0(SALU_CYCLE_1)
	s_and_b32 vcc_lo, exec_lo, s24
	s_cbranch_vccz .LBB30_562
; %bb.545:
	s_cmp_lt_i32 s0, 27
	s_cbranch_scc1 .LBB30_548
; %bb.546:
	s_cmp_gt_i32 s0, 27
	s_cbranch_scc0 .LBB30_549
; %bb.547:
	s_wait_loadcnt 0x0
	global_load_b32 v2, v[0:1], off
	s_mov_b32 s23, 0
	s_wait_loadcnt 0x0
	v_cvt_f32_u32_e32 v2, v2
	s_delay_alu instid0(VALU_DEP_1) | instskip(NEXT) | instid1(VALU_DEP_1)
	v_bfe_u32 v3, v2, 16, 1
	v_add3_u32 v2, v2, v3, 0x7fff
	s_delay_alu instid0(VALU_DEP_1)
	v_lshrrev_b32_e32 v2, 16, v2
	s_branch .LBB30_550
.LBB30_548:
	s_mov_b32 s23, -1
                                        ; implicit-def: $vgpr2
	s_branch .LBB30_553
.LBB30_549:
	s_mov_b32 s23, -1
                                        ; implicit-def: $vgpr2
.LBB30_550:
	s_delay_alu instid0(SALU_CYCLE_1)
	s_and_not1_b32 vcc_lo, exec_lo, s23
	s_cbranch_vccnz .LBB30_552
; %bb.551:
	s_wait_loadcnt 0x0
	global_load_u16 v2, v[0:1], off
	s_wait_loadcnt 0x0
	v_cvt_f32_u32_e32 v2, v2
	s_delay_alu instid0(VALU_DEP_1) | instskip(NEXT) | instid1(VALU_DEP_1)
	v_bfe_u32 v3, v2, 16, 1
	v_add3_u32 v2, v2, v3, 0x7fff
	s_delay_alu instid0(VALU_DEP_1)
	v_lshrrev_b32_e32 v2, 16, v2
.LBB30_552:
	s_mov_b32 s23, 0
.LBB30_553:
	s_delay_alu instid0(SALU_CYCLE_1)
	s_and_not1_b32 vcc_lo, exec_lo, s23
	s_cbranch_vccnz .LBB30_561
; %bb.554:
	s_wait_loadcnt 0x0
	global_load_u8 v2, v[0:1], off
	s_mov_b32 s23, 0
	s_mov_b32 s24, exec_lo
	s_wait_loadcnt 0x0
	v_cmpx_lt_i16_e32 0x7f, v2
	s_xor_b32 s24, exec_lo, s24
	s_cbranch_execz .LBB30_575
; %bb.555:
	s_mov_b32 s23, -1
	s_mov_b32 s25, exec_lo
	v_cmpx_eq_u16_e32 0x80, v2
; %bb.556:
	s_xor_b32 s23, exec_lo, -1
; %bb.557:
	s_or_b32 exec_lo, exec_lo, s25
	s_delay_alu instid0(SALU_CYCLE_1)
	s_and_b32 s23, s23, exec_lo
	s_or_saveexec_b32 s24, s24
	v_mov_b32_e32 v3, 0x7f800001
	s_xor_b32 exec_lo, exec_lo, s24
	s_cbranch_execnz .LBB30_576
.LBB30_558:
	s_or_b32 exec_lo, exec_lo, s24
	s_and_saveexec_b32 s24, s23
	s_cbranch_execz .LBB30_560
.LBB30_559:
	v_and_b32_e32 v3, 0xffff, v2
	s_delay_alu instid0(VALU_DEP_1) | instskip(SKIP_1) | instid1(VALU_DEP_2)
	v_and_b32_e32 v5, 7, v3
	v_bfe_u32 v8, v3, 3, 4
	v_clz_i32_u32_e32 v6, v5
	s_delay_alu instid0(VALU_DEP_2) | instskip(NEXT) | instid1(VALU_DEP_2)
	v_cmp_eq_u32_e32 vcc_lo, 0, v8
	v_min_u32_e32 v6, 32, v6
	s_delay_alu instid0(VALU_DEP_1) | instskip(NEXT) | instid1(VALU_DEP_1)
	v_subrev_nc_u32_e32 v7, 28, v6
	v_dual_lshlrev_b32 v3, v7, v3 :: v_dual_sub_nc_u32 v6, 29, v6
	s_delay_alu instid0(VALU_DEP_1) | instskip(NEXT) | instid1(VALU_DEP_1)
	v_dual_lshlrev_b32 v2, 24, v2 :: v_dual_bitop2_b32 v3, 7, v3 bitop3:0x40
	v_dual_cndmask_b32 v3, v5, v3 :: v_dual_cndmask_b32 v6, v8, v6
	s_delay_alu instid0(VALU_DEP_2) | instskip(NEXT) | instid1(VALU_DEP_2)
	v_and_b32_e32 v2, 0x80000000, v2
	v_lshlrev_b32_e32 v3, 20, v3
	s_delay_alu instid0(VALU_DEP_3) | instskip(NEXT) | instid1(VALU_DEP_1)
	v_lshl_add_u32 v5, v6, 23, 0x3b800000
	v_or3_b32 v3, v2, v5, v3
.LBB30_560:
	s_or_b32 exec_lo, exec_lo, s24
	s_delay_alu instid0(VALU_DEP_1) | instskip(SKIP_1) | instid1(VALU_DEP_2)
	v_bfe_u32 v2, v3, 16, 1
	v_cmp_o_f32_e32 vcc_lo, v3, v3
	v_add3_u32 v2, v3, v2, 0x7fff
	s_delay_alu instid0(VALU_DEP_1) | instskip(NEXT) | instid1(VALU_DEP_1)
	v_lshrrev_b32_e32 v2, 16, v2
	v_cndmask_b32_e32 v2, 0x7fc0, v2, vcc_lo
.LBB30_561:
	s_mov_b32 s23, -1
.LBB30_562:
	s_mov_b32 s24, 0
.LBB30_563:
	s_delay_alu instid0(SALU_CYCLE_1)
	s_and_b32 vcc_lo, exec_lo, s24
	s_cbranch_vccz .LBB30_598
; %bb.564:
	s_cmp_gt_i32 s0, 22
	s_cbranch_scc0 .LBB30_574
; %bb.565:
	s_cmp_lt_i32 s0, 24
	s_cbranch_scc1 .LBB30_577
; %bb.566:
	s_cmp_gt_i32 s0, 24
	s_cbranch_scc0 .LBB30_578
; %bb.567:
	s_wait_loadcnt 0x0
	global_load_u8 v2, v[0:1], off
	s_mov_b32 s23, 0
	s_mov_b32 s24, exec_lo
	s_wait_loadcnt 0x0
	v_cmpx_lt_i16_e32 0x7f, v2
	s_xor_b32 s24, exec_lo, s24
	s_cbranch_execz .LBB30_590
; %bb.568:
	s_mov_b32 s23, -1
	s_mov_b32 s25, exec_lo
	v_cmpx_eq_u16_e32 0x80, v2
; %bb.569:
	s_xor_b32 s23, exec_lo, -1
; %bb.570:
	s_or_b32 exec_lo, exec_lo, s25
	s_delay_alu instid0(SALU_CYCLE_1)
	s_and_b32 s23, s23, exec_lo
	s_or_saveexec_b32 s24, s24
	v_mov_b32_e32 v3, 0x7f800001
	s_xor_b32 exec_lo, exec_lo, s24
	s_cbranch_execnz .LBB30_591
.LBB30_571:
	s_or_b32 exec_lo, exec_lo, s24
	s_and_saveexec_b32 s24, s23
	s_cbranch_execz .LBB30_573
.LBB30_572:
	v_and_b32_e32 v3, 0xffff, v2
	s_delay_alu instid0(VALU_DEP_1) | instskip(SKIP_1) | instid1(VALU_DEP_2)
	v_and_b32_e32 v5, 3, v3
	v_bfe_u32 v8, v3, 2, 5
	v_clz_i32_u32_e32 v6, v5
	s_delay_alu instid0(VALU_DEP_2) | instskip(NEXT) | instid1(VALU_DEP_2)
	v_cmp_eq_u32_e32 vcc_lo, 0, v8
	v_min_u32_e32 v6, 32, v6
	s_delay_alu instid0(VALU_DEP_1) | instskip(NEXT) | instid1(VALU_DEP_1)
	v_subrev_nc_u32_e32 v7, 29, v6
	v_dual_lshlrev_b32 v3, v7, v3 :: v_dual_sub_nc_u32 v6, 30, v6
	s_delay_alu instid0(VALU_DEP_1) | instskip(NEXT) | instid1(VALU_DEP_1)
	v_dual_lshlrev_b32 v2, 24, v2 :: v_dual_bitop2_b32 v3, 3, v3 bitop3:0x40
	v_dual_cndmask_b32 v3, v5, v3 :: v_dual_cndmask_b32 v6, v8, v6
	s_delay_alu instid0(VALU_DEP_2) | instskip(NEXT) | instid1(VALU_DEP_2)
	v_and_b32_e32 v2, 0x80000000, v2
	v_lshlrev_b32_e32 v3, 21, v3
	s_delay_alu instid0(VALU_DEP_3) | instskip(NEXT) | instid1(VALU_DEP_1)
	v_lshl_add_u32 v5, v6, 23, 0x37800000
	v_or3_b32 v3, v2, v5, v3
.LBB30_573:
	s_or_b32 exec_lo, exec_lo, s24
	s_delay_alu instid0(VALU_DEP_1) | instskip(SKIP_2) | instid1(VALU_DEP_2)
	v_bfe_u32 v2, v3, 16, 1
	v_cmp_o_f32_e32 vcc_lo, v3, v3
	s_mov_b32 s23, 0
	v_add3_u32 v2, v3, v2, 0x7fff
	s_delay_alu instid0(VALU_DEP_1) | instskip(NEXT) | instid1(VALU_DEP_1)
	v_lshrrev_b32_e32 v2, 16, v2
	v_cndmask_b32_e32 v2, 0x7fc0, v2, vcc_lo
	s_branch .LBB30_579
.LBB30_574:
	s_mov_b32 s24, -1
                                        ; implicit-def: $vgpr2
	s_branch .LBB30_585
.LBB30_575:
	s_or_saveexec_b32 s24, s24
	v_mov_b32_e32 v3, 0x7f800001
	s_xor_b32 exec_lo, exec_lo, s24
	s_cbranch_execz .LBB30_558
.LBB30_576:
	v_cmp_ne_u16_e32 vcc_lo, 0, v2
	v_mov_b32_e32 v3, 0
	s_and_not1_b32 s23, s23, exec_lo
	s_and_b32 s25, vcc_lo, exec_lo
	s_delay_alu instid0(SALU_CYCLE_1)
	s_or_b32 s23, s23, s25
	s_or_b32 exec_lo, exec_lo, s24
	s_and_saveexec_b32 s24, s23
	s_cbranch_execnz .LBB30_559
	s_branch .LBB30_560
.LBB30_577:
	s_mov_b32 s23, -1
                                        ; implicit-def: $vgpr2
	s_branch .LBB30_582
.LBB30_578:
	s_mov_b32 s23, -1
                                        ; implicit-def: $vgpr2
.LBB30_579:
	s_delay_alu instid0(SALU_CYCLE_1)
	s_and_b32 vcc_lo, exec_lo, s23
	s_cbranch_vccz .LBB30_581
; %bb.580:
	s_wait_loadcnt 0x0
	global_load_u8 v2, v[0:1], off
	s_wait_loadcnt 0x0
	v_lshlrev_b32_e32 v2, 24, v2
	s_delay_alu instid0(VALU_DEP_1) | instskip(NEXT) | instid1(VALU_DEP_1)
	v_and_b32_e32 v3, 0x7f000000, v2
	v_clz_i32_u32_e32 v5, v3
	v_add_nc_u32_e32 v7, 0x1000000, v3
	v_cmp_ne_u32_e32 vcc_lo, 0, v3
	s_delay_alu instid0(VALU_DEP_3) | instskip(NEXT) | instid1(VALU_DEP_1)
	v_min_u32_e32 v5, 32, v5
	v_sub_nc_u32_e64 v5, v5, 4 clamp
	s_delay_alu instid0(VALU_DEP_1) | instskip(NEXT) | instid1(VALU_DEP_1)
	v_dual_lshlrev_b32 v6, v5, v3 :: v_dual_lshlrev_b32 v5, 23, v5
	v_lshrrev_b32_e32 v6, 4, v6
	s_delay_alu instid0(VALU_DEP_1) | instskip(NEXT) | instid1(VALU_DEP_1)
	v_dual_sub_nc_u32 v5, v6, v5 :: v_dual_ashrrev_i32 v6, 8, v7
	v_add_nc_u32_e32 v5, 0x3c000000, v5
	s_delay_alu instid0(VALU_DEP_1) | instskip(NEXT) | instid1(VALU_DEP_1)
	v_and_or_b32 v5, 0x7f800000, v6, v5
	v_cndmask_b32_e32 v3, 0, v5, vcc_lo
	s_delay_alu instid0(VALU_DEP_1) | instskip(SKIP_1) | instid1(VALU_DEP_2)
	v_and_or_b32 v2, 0x80000000, v2, v3
	v_bfe_u32 v3, v3, 16, 1
	v_cmp_o_f32_e32 vcc_lo, v2, v2
	s_delay_alu instid0(VALU_DEP_2) | instskip(NEXT) | instid1(VALU_DEP_1)
	v_add3_u32 v3, v2, v3, 0x7fff
	v_lshrrev_b32_e32 v3, 16, v3
	s_delay_alu instid0(VALU_DEP_1)
	v_cndmask_b32_e32 v2, 0x7fc0, v3, vcc_lo
.LBB30_581:
	s_mov_b32 s23, 0
.LBB30_582:
	s_delay_alu instid0(SALU_CYCLE_1)
	s_and_not1_b32 vcc_lo, exec_lo, s23
	s_cbranch_vccnz .LBB30_584
; %bb.583:
	s_wait_loadcnt 0x0
	global_load_u8 v2, v[0:1], off
	s_wait_loadcnt 0x0
	v_lshlrev_b32_e32 v3, 25, v2
	v_lshlrev_b16 v2, 8, v2
	s_delay_alu instid0(VALU_DEP_2) | instskip(NEXT) | instid1(VALU_DEP_2)
	v_cmp_gt_u32_e32 vcc_lo, 0x8000000, v3
	v_and_or_b32 v6, 0x7f00, v2, 0.5
	v_lshrrev_b32_e32 v5, 4, v3
	v_bfe_i32 v2, v2, 0, 16
	s_delay_alu instid0(VALU_DEP_3) | instskip(NEXT) | instid1(VALU_DEP_3)
	v_add_f32_e32 v6, -0.5, v6
	v_or_b32_e32 v5, 0x70000000, v5
	s_delay_alu instid0(VALU_DEP_1) | instskip(NEXT) | instid1(VALU_DEP_1)
	v_mul_f32_e32 v5, 0x7800000, v5
	v_cndmask_b32_e32 v3, v5, v6, vcc_lo
	s_delay_alu instid0(VALU_DEP_1) | instskip(SKIP_1) | instid1(VALU_DEP_2)
	v_and_or_b32 v2, 0x80000000, v2, v3
	v_bfe_u32 v3, v3, 16, 1
	v_cmp_o_f32_e32 vcc_lo, v2, v2
	s_delay_alu instid0(VALU_DEP_2) | instskip(NEXT) | instid1(VALU_DEP_1)
	v_add3_u32 v3, v2, v3, 0x7fff
	v_lshrrev_b32_e32 v3, 16, v3
	s_delay_alu instid0(VALU_DEP_1)
	v_cndmask_b32_e32 v2, 0x7fc0, v3, vcc_lo
.LBB30_584:
	s_mov_b32 s24, 0
	s_mov_b32 s23, -1
.LBB30_585:
	s_and_not1_b32 vcc_lo, exec_lo, s24
	s_cbranch_vccnz .LBB30_598
; %bb.586:
	s_cmp_gt_i32 s0, 14
	s_cbranch_scc0 .LBB30_589
; %bb.587:
	s_cmp_eq_u32 s0, 15
	s_cbranch_scc0 .LBB30_592
; %bb.588:
	s_wait_loadcnt 0x0
	global_load_u16 v2, v[0:1], off
	s_mov_b32 s23, -1
	s_mov_b32 s22, 0
	s_branch .LBB30_593
.LBB30_589:
	s_mov_b32 s24, -1
                                        ; implicit-def: $vgpr2
	s_branch .LBB30_594
.LBB30_590:
	s_or_saveexec_b32 s24, s24
	v_mov_b32_e32 v3, 0x7f800001
	s_xor_b32 exec_lo, exec_lo, s24
	s_cbranch_execz .LBB30_571
.LBB30_591:
	v_cmp_ne_u16_e32 vcc_lo, 0, v2
	v_mov_b32_e32 v3, 0
	s_and_not1_b32 s23, s23, exec_lo
	s_and_b32 s25, vcc_lo, exec_lo
	s_delay_alu instid0(SALU_CYCLE_1)
	s_or_b32 s23, s23, s25
	s_or_b32 exec_lo, exec_lo, s24
	s_and_saveexec_b32 s24, s23
	s_cbranch_execnz .LBB30_572
	s_branch .LBB30_573
.LBB30_592:
	s_mov_b32 s22, -1
                                        ; implicit-def: $vgpr2
.LBB30_593:
	s_mov_b32 s24, 0
.LBB30_594:
	s_delay_alu instid0(SALU_CYCLE_1)
	s_and_b32 vcc_lo, exec_lo, s24
	s_cbranch_vccz .LBB30_598
; %bb.595:
	s_cmp_eq_u32 s0, 11
	s_cbranch_scc0 .LBB30_597
; %bb.596:
	s_wait_loadcnt 0x0
	global_load_u8 v2, v[0:1], off
	s_mov_b32 s22, 0
	s_mov_b32 s23, -1
	s_wait_loadcnt 0x0
	v_cmp_ne_u16_e32 vcc_lo, 0, v2
	v_cndmask_b32_e64 v2, 0, 1.0, vcc_lo
	s_delay_alu instid0(VALU_DEP_1)
	v_lshrrev_b32_e32 v2, 16, v2
	s_branch .LBB30_598
.LBB30_597:
	s_mov_b32 s22, -1
                                        ; implicit-def: $vgpr2
.LBB30_598:
	s_mov_b32 s24, 0
.LBB30_599:
	s_delay_alu instid0(SALU_CYCLE_1)
	s_and_b32 vcc_lo, exec_lo, s24
	s_cbranch_vccz .LBB30_648
; %bb.600:
	s_cmp_lt_i32 s0, 5
	s_cbranch_scc1 .LBB30_605
; %bb.601:
	s_cmp_lt_i32 s0, 8
	s_cbranch_scc1 .LBB30_606
	;; [unrolled: 3-line block ×3, first 2 shown]
; %bb.603:
	s_cmp_gt_i32 s0, 9
	s_cbranch_scc0 .LBB30_608
; %bb.604:
	s_wait_loadcnt 0x0
	global_load_b64 v[2:3], v[0:1], off
	s_mov_b32 s23, 0
	s_wait_loadcnt 0x0
	v_cvt_f32_f64_e32 v2, v[2:3]
	s_delay_alu instid0(VALU_DEP_1) | instskip(SKIP_1) | instid1(VALU_DEP_2)
	v_bfe_u32 v3, v2, 16, 1
	v_cmp_o_f32_e32 vcc_lo, v2, v2
	v_add3_u32 v3, v2, v3, 0x7fff
	s_delay_alu instid0(VALU_DEP_1) | instskip(NEXT) | instid1(VALU_DEP_1)
	v_lshrrev_b32_e32 v3, 16, v3
	v_cndmask_b32_e32 v2, 0x7fc0, v3, vcc_lo
	s_branch .LBB30_609
.LBB30_605:
	s_mov_b32 s23, -1
                                        ; implicit-def: $vgpr2
	s_branch .LBB30_627
.LBB30_606:
	s_mov_b32 s23, -1
                                        ; implicit-def: $vgpr2
	s_branch .LBB30_615
.LBB30_607:
	s_mov_b32 s23, -1
                                        ; implicit-def: $vgpr2
	s_branch .LBB30_612
.LBB30_608:
	s_mov_b32 s23, -1
                                        ; implicit-def: $vgpr2
.LBB30_609:
	s_delay_alu instid0(SALU_CYCLE_1)
	s_and_not1_b32 vcc_lo, exec_lo, s23
	s_cbranch_vccnz .LBB30_611
; %bb.610:
	s_wait_loadcnt 0x0
	global_load_b32 v2, v[0:1], off
	s_wait_loadcnt 0x0
	v_bfe_u32 v3, v2, 16, 1
	v_cmp_o_f32_e32 vcc_lo, v2, v2
	s_delay_alu instid0(VALU_DEP_2) | instskip(NEXT) | instid1(VALU_DEP_1)
	v_add3_u32 v3, v2, v3, 0x7fff
	v_lshrrev_b32_e32 v3, 16, v3
	s_delay_alu instid0(VALU_DEP_1)
	v_cndmask_b32_e32 v2, 0x7fc0, v3, vcc_lo
.LBB30_611:
	s_mov_b32 s23, 0
.LBB30_612:
	s_delay_alu instid0(SALU_CYCLE_1)
	s_and_not1_b32 vcc_lo, exec_lo, s23
	s_cbranch_vccnz .LBB30_614
; %bb.613:
	s_wait_loadcnt 0x0
	global_load_b32 v2, v[0:1], off
	s_wait_loadcnt 0x0
	v_cvt_f32_f16_e32 v3, v2
	v_cmp_o_f16_e32 vcc_lo, v2, v2
	s_delay_alu instid0(VALU_DEP_2) | instskip(NEXT) | instid1(VALU_DEP_1)
	v_bfe_u32 v5, v3, 16, 1
	v_add3_u32 v3, v3, v5, 0x7fff
	s_delay_alu instid0(VALU_DEP_1) | instskip(NEXT) | instid1(VALU_DEP_1)
	v_lshrrev_b32_e32 v3, 16, v3
	v_cndmask_b32_e32 v2, 0x7fc0, v3, vcc_lo
.LBB30_614:
	s_mov_b32 s23, 0
.LBB30_615:
	s_delay_alu instid0(SALU_CYCLE_1)
	s_and_not1_b32 vcc_lo, exec_lo, s23
	s_cbranch_vccnz .LBB30_626
; %bb.616:
	s_cmp_lt_i32 s0, 6
	s_cbranch_scc1 .LBB30_619
; %bb.617:
	s_cmp_gt_i32 s0, 6
	s_cbranch_scc0 .LBB30_620
; %bb.618:
	s_wait_loadcnt 0x0
	global_load_b64 v[2:3], v[0:1], off
	s_mov_b32 s23, 0
	s_wait_loadcnt 0x0
	v_cvt_f32_f64_e32 v2, v[2:3]
	s_delay_alu instid0(VALU_DEP_1) | instskip(SKIP_1) | instid1(VALU_DEP_2)
	v_bfe_u32 v3, v2, 16, 1
	v_cmp_o_f32_e32 vcc_lo, v2, v2
	v_add3_u32 v3, v2, v3, 0x7fff
	s_delay_alu instid0(VALU_DEP_1) | instskip(NEXT) | instid1(VALU_DEP_1)
	v_lshrrev_b32_e32 v3, 16, v3
	v_cndmask_b32_e32 v2, 0x7fc0, v3, vcc_lo
	s_branch .LBB30_621
.LBB30_619:
	s_mov_b32 s23, -1
                                        ; implicit-def: $vgpr2
	s_branch .LBB30_624
.LBB30_620:
	s_mov_b32 s23, -1
                                        ; implicit-def: $vgpr2
.LBB30_621:
	s_delay_alu instid0(SALU_CYCLE_1)
	s_and_not1_b32 vcc_lo, exec_lo, s23
	s_cbranch_vccnz .LBB30_623
; %bb.622:
	s_wait_loadcnt 0x0
	global_load_b32 v2, v[0:1], off
	s_wait_loadcnt 0x0
	v_bfe_u32 v3, v2, 16, 1
	v_cmp_o_f32_e32 vcc_lo, v2, v2
	s_delay_alu instid0(VALU_DEP_2) | instskip(NEXT) | instid1(VALU_DEP_1)
	v_add3_u32 v3, v2, v3, 0x7fff
	v_lshrrev_b32_e32 v3, 16, v3
	s_delay_alu instid0(VALU_DEP_1)
	v_cndmask_b32_e32 v2, 0x7fc0, v3, vcc_lo
.LBB30_623:
	s_mov_b32 s23, 0
.LBB30_624:
	s_delay_alu instid0(SALU_CYCLE_1)
	s_and_not1_b32 vcc_lo, exec_lo, s23
	s_cbranch_vccnz .LBB30_626
; %bb.625:
	s_wait_loadcnt 0x0
	global_load_u16 v2, v[0:1], off
	s_wait_loadcnt 0x0
	v_cvt_f32_f16_e32 v3, v2
	v_cmp_o_f16_e32 vcc_lo, v2, v2
	s_delay_alu instid0(VALU_DEP_2) | instskip(NEXT) | instid1(VALU_DEP_1)
	v_bfe_u32 v5, v3, 16, 1
	v_add3_u32 v3, v3, v5, 0x7fff
	s_delay_alu instid0(VALU_DEP_1) | instskip(NEXT) | instid1(VALU_DEP_1)
	v_lshrrev_b32_e32 v3, 16, v3
	v_cndmask_b32_e32 v2, 0x7fc0, v3, vcc_lo
.LBB30_626:
	s_mov_b32 s23, 0
.LBB30_627:
	s_delay_alu instid0(SALU_CYCLE_1)
	s_and_not1_b32 vcc_lo, exec_lo, s23
	s_cbranch_vccnz .LBB30_647
; %bb.628:
	s_cmp_lt_i32 s0, 2
	s_cbranch_scc1 .LBB30_632
; %bb.629:
	s_cmp_lt_i32 s0, 3
	s_cbranch_scc1 .LBB30_633
; %bb.630:
	s_cmp_gt_i32 s0, 3
	s_cbranch_scc0 .LBB30_634
; %bb.631:
	s_wait_loadcnt 0x0
	global_load_b64 v[2:3], v[0:1], off
	s_mov_b32 s23, 0
	s_wait_loadcnt 0x0
	v_xor_b32_e32 v5, v2, v3
	v_cls_i32_e32 v6, v3
	s_delay_alu instid0(VALU_DEP_2) | instskip(NEXT) | instid1(VALU_DEP_1)
	v_ashrrev_i32_e32 v5, 31, v5
	v_add_nc_u32_e32 v5, 32, v5
	s_delay_alu instid0(VALU_DEP_1) | instskip(NEXT) | instid1(VALU_DEP_1)
	v_add_min_u32_e64 v5, v6, -1, v5
	v_lshlrev_b64_e32 v[2:3], v5, v[2:3]
	s_delay_alu instid0(VALU_DEP_1) | instskip(NEXT) | instid1(VALU_DEP_1)
	v_min_u32_e32 v2, 1, v2
	v_dual_sub_nc_u32 v3, 32, v5 :: v_dual_bitop2_b32 v2, v3, v2 bitop3:0x54
	s_delay_alu instid0(VALU_DEP_1) | instskip(NEXT) | instid1(VALU_DEP_1)
	v_cvt_f32_i32_e32 v2, v2
	v_ldexp_f32 v2, v2, v3
	s_delay_alu instid0(VALU_DEP_1) | instskip(NEXT) | instid1(VALU_DEP_1)
	v_bfe_u32 v3, v2, 16, 1
	v_add3_u32 v2, v2, v3, 0x7fff
	s_delay_alu instid0(VALU_DEP_1)
	v_lshrrev_b32_e32 v2, 16, v2
	s_branch .LBB30_635
.LBB30_632:
	s_mov_b32 s23, -1
                                        ; implicit-def: $vgpr2
	s_branch .LBB30_641
.LBB30_633:
	s_mov_b32 s23, -1
                                        ; implicit-def: $vgpr2
	s_branch .LBB30_638
.LBB30_634:
	s_mov_b32 s23, -1
                                        ; implicit-def: $vgpr2
.LBB30_635:
	s_delay_alu instid0(SALU_CYCLE_1)
	s_and_not1_b32 vcc_lo, exec_lo, s23
	s_cbranch_vccnz .LBB30_637
; %bb.636:
	s_wait_loadcnt 0x0
	global_load_b32 v2, v[0:1], off
	s_wait_loadcnt 0x0
	v_cvt_f32_i32_e32 v2, v2
	s_delay_alu instid0(VALU_DEP_1) | instskip(NEXT) | instid1(VALU_DEP_1)
	v_bfe_u32 v3, v2, 16, 1
	v_add3_u32 v2, v2, v3, 0x7fff
	s_delay_alu instid0(VALU_DEP_1)
	v_lshrrev_b32_e32 v2, 16, v2
.LBB30_637:
	s_mov_b32 s23, 0
.LBB30_638:
	s_delay_alu instid0(SALU_CYCLE_1)
	s_and_not1_b32 vcc_lo, exec_lo, s23
	s_cbranch_vccnz .LBB30_640
; %bb.639:
	s_wait_loadcnt 0x0
	global_load_i16 v2, v[0:1], off
	s_wait_loadcnt 0x0
	v_cvt_f32_i32_e32 v2, v2
	s_delay_alu instid0(VALU_DEP_1) | instskip(NEXT) | instid1(VALU_DEP_1)
	v_bfe_u32 v3, v2, 16, 1
	v_add3_u32 v2, v2, v3, 0x7fff
	s_delay_alu instid0(VALU_DEP_1)
	v_lshrrev_b32_e32 v2, 16, v2
.LBB30_640:
	s_mov_b32 s23, 0
.LBB30_641:
	s_delay_alu instid0(SALU_CYCLE_1)
	s_and_not1_b32 vcc_lo, exec_lo, s23
	s_cbranch_vccnz .LBB30_647
; %bb.642:
	s_cmp_gt_i32 s0, 0
	s_mov_b32 s0, 0
	s_cbranch_scc0 .LBB30_644
; %bb.643:
	s_wait_loadcnt 0x0
	global_load_i8 v2, v[0:1], off
	s_wait_loadcnt 0x0
	v_cvt_f32_i32_e32 v2, v2
	s_delay_alu instid0(VALU_DEP_1) | instskip(NEXT) | instid1(VALU_DEP_1)
	v_bfe_u32 v3, v2, 16, 1
	v_add3_u32 v2, v2, v3, 0x7fff
	s_delay_alu instid0(VALU_DEP_1)
	v_lshrrev_b32_e32 v2, 16, v2
	s_branch .LBB30_645
.LBB30_644:
	s_mov_b32 s0, -1
                                        ; implicit-def: $vgpr2
.LBB30_645:
	s_delay_alu instid0(SALU_CYCLE_1)
	s_and_not1_b32 vcc_lo, exec_lo, s0
	s_cbranch_vccnz .LBB30_647
; %bb.646:
	global_load_u8 v0, v[0:1], off
	s_wait_loadcnt 0x0
	v_cvt_f32_ubyte0_e32 v0, v0
	s_delay_alu instid0(VALU_DEP_1) | instskip(NEXT) | instid1(VALU_DEP_1)
	v_bfe_u32 v1, v0, 16, 1
	v_add3_u32 v0, v0, v1, 0x7fff
	s_delay_alu instid0(VALU_DEP_1)
	v_lshrrev_b32_e32 v2, 16, v0
.LBB30_647:
	s_mov_b32 s23, -1
.LBB30_648:
	s_delay_alu instid0(SALU_CYCLE_1)
	s_and_not1_b32 vcc_lo, exec_lo, s23
	s_cbranch_vccnz .LBB30_656
; %bb.649:
	s_wait_xcnt 0x0
	v_mul_lo_u32 v0, v4, s8
	s_wait_loadcnt 0x0
	v_lshlrev_b32_e32 v3, 16, v2
	s_and_b32 s23, s2, 0xff
	s_mov_b32 s25, 0
	s_mov_b32 s24, -1
	s_delay_alu instid0(VALU_DEP_2) | instskip(SKIP_2) | instid1(VALU_DEP_3)
	v_ashrrev_i32_e32 v1, 31, v0
	v_cmp_nle_f32_e32 vcc_lo, s13, v3
	v_cmp_nge_f32_e64 s0, s12, v3
	v_add_nc_u64_e32 v[0:1], s[4:5], v[0:1]
	s_or_b32 vcc_lo, s0, vcc_lo
	s_cmp_lt_i32 s23, 11
	v_cndmask_b32_e32 v2, 0, v2, vcc_lo
	s_mov_b32 s0, s19
	s_cbranch_scc1 .LBB30_657
; %bb.650:
	s_and_b32 s24, 0xffff, s23
	s_delay_alu instid0(SALU_CYCLE_1)
	s_cmp_gt_i32 s24, 25
	s_cbranch_scc0 .LBB30_698
; %bb.651:
	s_cmp_gt_i32 s24, 28
	s_cbranch_scc0 .LBB30_699
; %bb.652:
	s_cmp_gt_i32 s24, 43
	s_cbranch_scc0 .LBB30_700
; %bb.653:
	s_cmp_gt_i32 s24, 45
	s_cbranch_scc0 .LBB30_701
; %bb.654:
	s_mov_b32 s26, 0
	s_mov_b32 s0, -1
	s_cmp_eq_u32 s24, 46
	s_cbranch_scc0 .LBB30_702
; %bb.655:
	v_and_b32_e32 v3, 0xffff, v2
	s_mov_b32 s25, -1
	s_mov_b32 s0, 0
	global_store_b32 v[0:1], v3, off
	s_branch .LBB30_702
.LBB30_656:
	s_mov_b32 s23, 0
	s_mov_b32 s0, s19
	s_branch .LBB30_697
.LBB30_657:
	s_and_b32 vcc_lo, exec_lo, s24
	s_cbranch_vccz .LBB30_771
; %bb.658:
	s_and_b32 s23, 0xffff, s23
	s_mov_b32 s24, -1
	s_cmp_lt_i32 s23, 5
	s_cbranch_scc1 .LBB30_679
; %bb.659:
	s_cmp_lt_i32 s23, 8
	s_cbranch_scc1 .LBB30_669
; %bb.660:
	;; [unrolled: 3-line block ×3, first 2 shown]
	s_cmp_gt_i32 s23, 9
	s_cbranch_scc0 .LBB30_663
; %bb.662:
	s_wait_xcnt 0x0
	v_dual_mov_b32 v8, 0 :: v_dual_lshlrev_b32 v3, 16, v2
	s_mov_b32 s24, 0
	s_delay_alu instid0(VALU_DEP_1) | instskip(NEXT) | instid1(VALU_DEP_2)
	v_cvt_f64_f32_e32 v[6:7], v3
	v_mov_b32_e32 v9, v8
	global_store_b128 v[0:1], v[6:9], off
.LBB30_663:
	s_and_not1_b32 vcc_lo, exec_lo, s24
	s_cbranch_vccnz .LBB30_665
; %bb.664:
	s_wait_xcnt 0x0
	v_dual_mov_b32 v7, 0 :: v_dual_lshlrev_b32 v6, 16, v2
	global_store_b64 v[0:1], v[6:7], off
.LBB30_665:
	s_mov_b32 s24, 0
.LBB30_666:
	s_delay_alu instid0(SALU_CYCLE_1)
	s_and_not1_b32 vcc_lo, exec_lo, s24
	s_cbranch_vccnz .LBB30_668
; %bb.667:
	s_wait_xcnt 0x0
	v_lshlrev_b32_e32 v3, 16, v2
	s_delay_alu instid0(VALU_DEP_1) | instskip(NEXT) | instid1(VALU_DEP_1)
	v_cvt_f16_f32_e32 v3, v3
	v_and_b32_e32 v3, 0xffff, v3
	global_store_b32 v[0:1], v3, off
.LBB30_668:
	s_mov_b32 s24, 0
.LBB30_669:
	s_delay_alu instid0(SALU_CYCLE_1)
	s_and_not1_b32 vcc_lo, exec_lo, s24
	s_cbranch_vccnz .LBB30_678
; %bb.670:
	s_cmp_lt_i32 s23, 6
	s_mov_b32 s24, -1
	s_cbranch_scc1 .LBB30_676
; %bb.671:
	s_cmp_gt_i32 s23, 6
	s_cbranch_scc0 .LBB30_673
; %bb.672:
	s_wait_xcnt 0x0
	v_lshlrev_b32_e32 v3, 16, v2
	s_mov_b32 s24, 0
	s_delay_alu instid0(VALU_DEP_1)
	v_cvt_f64_f32_e32 v[6:7], v3
	global_store_b64 v[0:1], v[6:7], off
.LBB30_673:
	s_and_not1_b32 vcc_lo, exec_lo, s24
	s_cbranch_vccnz .LBB30_675
; %bb.674:
	s_wait_xcnt 0x0
	v_lshlrev_b32_e32 v3, 16, v2
	global_store_b32 v[0:1], v3, off
.LBB30_675:
	s_mov_b32 s24, 0
.LBB30_676:
	s_delay_alu instid0(SALU_CYCLE_1)
	s_and_not1_b32 vcc_lo, exec_lo, s24
	s_cbranch_vccnz .LBB30_678
; %bb.677:
	s_wait_xcnt 0x0
	v_lshlrev_b32_e32 v3, 16, v2
	s_delay_alu instid0(VALU_DEP_1)
	v_cvt_f16_f32_e32 v3, v3
	global_store_b16 v[0:1], v3, off
.LBB30_678:
	s_mov_b32 s24, 0
.LBB30_679:
	s_delay_alu instid0(SALU_CYCLE_1)
	s_and_not1_b32 vcc_lo, exec_lo, s24
	s_cbranch_vccnz .LBB30_695
; %bb.680:
	s_cmp_lt_i32 s23, 2
	s_mov_b32 s24, -1
	s_cbranch_scc1 .LBB30_690
; %bb.681:
	s_cmp_lt_i32 s23, 3
	s_cbranch_scc1 .LBB30_687
; %bb.682:
	s_cmp_gt_i32 s23, 3
	s_cbranch_scc0 .LBB30_684
; %bb.683:
	s_wait_xcnt 0x0
	v_lshlrev_b32_e32 v3, 16, v2
	s_mov_b32 s24, 0
	s_delay_alu instid0(VALU_DEP_1) | instskip(NEXT) | instid1(VALU_DEP_1)
	v_trunc_f32_e32 v3, v3
	v_mul_f32_e64 v5, 0x2f800000, |v3|
	v_ashrrev_i32_e32 v6, 31, v3
	s_delay_alu instid0(VALU_DEP_2) | instskip(NEXT) | instid1(VALU_DEP_1)
	v_floor_f32_e32 v5, v5
	v_fma_f32 v7, 0xcf800000, v5, |v3|
	v_cvt_u32_f32_e32 v3, v5
	s_delay_alu instid0(VALU_DEP_2) | instskip(NEXT) | instid1(VALU_DEP_2)
	v_cvt_u32_f32_e32 v5, v7
	v_dual_mov_b32 v7, v6 :: v_dual_bitop2_b32 v9, v3, v6 bitop3:0x14
	s_delay_alu instid0(VALU_DEP_2) | instskip(NEXT) | instid1(VALU_DEP_1)
	v_xor_b32_e32 v8, v5, v6
	v_sub_nc_u64_e32 v[6:7], v[8:9], v[6:7]
	global_store_b64 v[0:1], v[6:7], off
.LBB30_684:
	s_and_not1_b32 vcc_lo, exec_lo, s24
	s_cbranch_vccnz .LBB30_686
; %bb.685:
	s_wait_xcnt 0x0
	v_lshlrev_b32_e32 v3, 16, v2
	s_delay_alu instid0(VALU_DEP_1)
	v_cvt_i32_f32_e32 v3, v3
	global_store_b32 v[0:1], v3, off
.LBB30_686:
	s_mov_b32 s24, 0
.LBB30_687:
	s_delay_alu instid0(SALU_CYCLE_1)
	s_and_not1_b32 vcc_lo, exec_lo, s24
	s_cbranch_vccnz .LBB30_689
; %bb.688:
	s_wait_xcnt 0x0
	v_lshlrev_b32_e32 v3, 16, v2
	s_delay_alu instid0(VALU_DEP_1)
	v_cvt_i32_f32_e32 v3, v3
	global_store_b16 v[0:1], v3, off
.LBB30_689:
	s_mov_b32 s24, 0
.LBB30_690:
	s_delay_alu instid0(SALU_CYCLE_1)
	s_and_not1_b32 vcc_lo, exec_lo, s24
	s_cbranch_vccnz .LBB30_695
; %bb.691:
	s_wait_xcnt 0x0
	v_lshlrev_b32_e32 v2, 16, v2
	s_cmp_gt_i32 s23, 0
	s_mov_b32 s23, -1
	s_cbranch_scc0 .LBB30_693
; %bb.692:
	s_delay_alu instid0(VALU_DEP_1)
	v_cvt_i32_f32_e32 v3, v2
	s_mov_b32 s23, 0
	global_store_b8 v[0:1], v3, off
.LBB30_693:
	s_and_not1_b32 vcc_lo, exec_lo, s23
	s_cbranch_vccnz .LBB30_695
; %bb.694:
	v_trunc_f32_e32 v2, v2
	s_wait_xcnt 0x0
	s_delay_alu instid0(VALU_DEP_1) | instskip(NEXT) | instid1(VALU_DEP_1)
	v_mul_f32_e64 v3, 0x2f800000, |v2|
	v_floor_f32_e32 v3, v3
	s_delay_alu instid0(VALU_DEP_1) | instskip(SKIP_1) | instid1(VALU_DEP_2)
	v_fma_f32 v3, 0xcf800000, v3, |v2|
	v_ashrrev_i32_e32 v2, 31, v2
	v_cvt_u32_f32_e32 v3, v3
	s_delay_alu instid0(VALU_DEP_1) | instskip(NEXT) | instid1(VALU_DEP_1)
	v_xor_b32_e32 v3, v3, v2
	v_sub_nc_u32_e32 v2, v3, v2
	global_store_b8 v[0:1], v2, off
.LBB30_695:
	s_branch .LBB30_772
.LBB30_696:
	s_mov_b32 s23, 0
.LBB30_697:
                                        ; implicit-def: $vgpr4
	s_branch .LBB30_773
.LBB30_698:
	s_mov_b32 s26, -1
	s_mov_b32 s0, s19
	s_branch .LBB30_729
.LBB30_699:
	s_mov_b32 s26, -1
	s_mov_b32 s0, s19
	s_branch .LBB30_712
.LBB30_700:
	s_mov_b32 s26, -1
	s_mov_b32 s0, s19
	s_branch .LBB30_708
.LBB30_701:
	s_mov_b32 s26, -1
	s_mov_b32 s0, s19
.LBB30_702:
	s_and_b32 vcc_lo, exec_lo, s26
	s_cbranch_vccz .LBB30_707
; %bb.703:
	s_cmp_eq_u32 s24, 44
	s_mov_b32 s0, -1
	s_cbranch_scc0 .LBB30_707
; %bb.704:
	s_wait_xcnt 0x0
	v_and_b32_e32 v3, 0xffff, v2
	v_mov_b32_e32 v5, 0xff
	s_mov_b32 s25, exec_lo
	s_delay_alu instid0(VALU_DEP_2) | instskip(NEXT) | instid1(VALU_DEP_1)
	v_bfe_u32 v6, v3, 7, 8
	v_cmpx_ne_u32_e32 0xff, v6
	s_cbranch_execz .LBB30_706
; %bb.705:
	v_dual_lshlrev_b32 v5, 16, v3 :: v_dual_bitop2_b32 v7, 64, v3 bitop3:0x40
	v_lshrrev_b32_e32 v3, 7, v3
	s_delay_alu instid0(VALU_DEP_2) | instskip(NEXT) | instid1(VALU_DEP_3)
	v_and_or_b32 v5, 0x3f0000, v5, v6
	v_cmp_ne_u32_e32 vcc_lo, 0, v7
	s_delay_alu instid0(VALU_DEP_2) | instskip(SKIP_1) | instid1(SALU_CYCLE_1)
	v_cmp_ne_u32_e64 s0, 0, v5
	s_and_b32 s0, vcc_lo, s0
	v_cndmask_b32_e64 v5, 0, 1, s0
	s_delay_alu instid0(VALU_DEP_1)
	v_add_nc_u32_e32 v5, v3, v5
.LBB30_706:
	s_or_b32 exec_lo, exec_lo, s25
	s_mov_b32 s25, -1
	s_mov_b32 s0, 0
	global_store_b8 v[0:1], v5, off
.LBB30_707:
	s_mov_b32 s26, 0
.LBB30_708:
	s_delay_alu instid0(SALU_CYCLE_1)
	s_and_b32 vcc_lo, exec_lo, s26
	s_cbranch_vccz .LBB30_711
; %bb.709:
	s_cmp_eq_u32 s24, 29
	s_mov_b32 s0, -1
	s_cbranch_scc0 .LBB30_711
; %bb.710:
	s_wait_xcnt 0x0
	v_lshlrev_b32_e32 v3, 16, v2
	s_mov_b32 s25, -1
	s_mov_b32 s0, 0
	s_mov_b32 s26, 0
	s_delay_alu instid0(VALU_DEP_1) | instskip(NEXT) | instid1(VALU_DEP_1)
	v_trunc_f32_e32 v3, v3
	v_mul_f32_e32 v5, 0x2f800000, v3
	s_delay_alu instid0(VALU_DEP_1) | instskip(NEXT) | instid1(VALU_DEP_1)
	v_floor_f32_e32 v5, v5
	v_fmamk_f32 v3, v5, 0xcf800000, v3
	v_cvt_u32_f32_e32 v7, v5
	s_delay_alu instid0(VALU_DEP_2)
	v_cvt_u32_f32_e32 v6, v3
	global_store_b64 v[0:1], v[6:7], off
	s_branch .LBB30_712
.LBB30_711:
	s_mov_b32 s26, 0
.LBB30_712:
	s_delay_alu instid0(SALU_CYCLE_1)
	s_and_b32 vcc_lo, exec_lo, s26
	s_cbranch_vccz .LBB30_728
; %bb.713:
	s_cmp_lt_i32 s24, 27
	s_mov_b32 s25, -1
	s_cbranch_scc1 .LBB30_719
; %bb.714:
	s_cmp_gt_i32 s24, 27
	s_cbranch_scc0 .LBB30_716
; %bb.715:
	s_wait_xcnt 0x0
	v_lshlrev_b32_e32 v3, 16, v2
	s_mov_b32 s25, 0
	s_delay_alu instid0(VALU_DEP_1)
	v_cvt_u32_f32_e32 v3, v3
	global_store_b32 v[0:1], v3, off
.LBB30_716:
	s_and_not1_b32 vcc_lo, exec_lo, s25
	s_cbranch_vccnz .LBB30_718
; %bb.717:
	s_wait_xcnt 0x0
	v_lshlrev_b32_e32 v3, 16, v2
	s_delay_alu instid0(VALU_DEP_1)
	v_cvt_u32_f32_e32 v3, v3
	global_store_b16 v[0:1], v3, off
.LBB30_718:
	s_mov_b32 s25, 0
.LBB30_719:
	s_delay_alu instid0(SALU_CYCLE_1)
	s_and_not1_b32 vcc_lo, exec_lo, s25
	s_cbranch_vccnz .LBB30_727
; %bb.720:
	s_wait_xcnt 0x0
	v_dual_mov_b32 v7, 0x80 :: v_dual_lshlrev_b32 v6, 16, v2
	s_mov_b32 s25, exec_lo
	s_delay_alu instid0(VALU_DEP_1) | instskip(NEXT) | instid1(VALU_DEP_1)
	v_and_b32_e32 v5, 0x7fffffff, v6
	v_cmpx_gt_u32_e32 0x43800000, v5
	s_cbranch_execz .LBB30_726
; %bb.721:
	v_and_b32_e32 v3, 0xffff, v2
	v_cmp_lt_u32_e32 vcc_lo, 0x3bffffff, v5
	s_mov_b32 s26, 0
                                        ; implicit-def: $vgpr5
	s_and_saveexec_b32 s27, vcc_lo
	s_delay_alu instid0(SALU_CYCLE_1)
	s_xor_b32 s27, exec_lo, s27
	s_cbranch_execz .LBB30_787
; %bb.722:
	v_bfe_u32 v5, v3, 4, 1
	s_mov_b32 s26, exec_lo
	s_delay_alu instid0(VALU_DEP_1) | instskip(NEXT) | instid1(VALU_DEP_1)
	v_add3_u32 v5, v6, v5, 0x487ffff
                                        ; implicit-def: $vgpr6
	v_lshrrev_b32_e32 v5, 20, v5
	s_and_not1_saveexec_b32 s27, s27
	s_cbranch_execnz .LBB30_788
.LBB30_723:
	s_or_b32 exec_lo, exec_lo, s27
	v_mov_b32_e32 v7, 0
	s_and_saveexec_b32 s27, s26
.LBB30_724:
	v_lshrrev_b32_e32 v3, 8, v3
	s_delay_alu instid0(VALU_DEP_1)
	v_and_or_b32 v7, 0x80, v3, v5
.LBB30_725:
	s_or_b32 exec_lo, exec_lo, s27
.LBB30_726:
	s_delay_alu instid0(SALU_CYCLE_1)
	s_or_b32 exec_lo, exec_lo, s25
	global_store_b8 v[0:1], v7, off
.LBB30_727:
	s_mov_b32 s25, -1
.LBB30_728:
	s_mov_b32 s26, 0
.LBB30_729:
	s_delay_alu instid0(SALU_CYCLE_1)
	s_and_b32 vcc_lo, exec_lo, s26
	s_cbranch_vccz .LBB30_770
; %bb.730:
	s_cmp_gt_i32 s24, 22
	s_mov_b32 s26, -1
	s_cbranch_scc0 .LBB30_762
; %bb.731:
	s_cmp_lt_i32 s24, 24
	s_mov_b32 s25, -1
	s_cbranch_scc1 .LBB30_751
; %bb.732:
	s_cmp_gt_i32 s24, 24
	s_cbranch_scc0 .LBB30_740
; %bb.733:
	s_wait_xcnt 0x0
	v_dual_mov_b32 v7, 0x80 :: v_dual_lshlrev_b32 v6, 16, v2
	s_mov_b32 s25, exec_lo
	s_delay_alu instid0(VALU_DEP_1) | instskip(NEXT) | instid1(VALU_DEP_1)
	v_and_b32_e32 v5, 0x7fffffff, v6
	v_cmpx_gt_u32_e32 0x47800000, v5
	s_cbranch_execz .LBB30_739
; %bb.734:
	v_and_b32_e32 v3, 0xffff, v2
	v_cmp_lt_u32_e32 vcc_lo, 0x37ffffff, v5
	s_mov_b32 s26, 0
                                        ; implicit-def: $vgpr5
	s_and_saveexec_b32 s27, vcc_lo
	s_delay_alu instid0(SALU_CYCLE_1)
	s_xor_b32 s27, exec_lo, s27
	s_cbranch_execz .LBB30_790
; %bb.735:
	v_bfe_u32 v5, v3, 5, 1
	s_mov_b32 s26, exec_lo
	s_delay_alu instid0(VALU_DEP_1) | instskip(NEXT) | instid1(VALU_DEP_1)
	v_add3_u32 v5, v6, v5, 0x88fffff
                                        ; implicit-def: $vgpr6
	v_lshrrev_b32_e32 v5, 21, v5
	s_and_not1_saveexec_b32 s27, s27
	s_cbranch_execnz .LBB30_791
.LBB30_736:
	s_or_b32 exec_lo, exec_lo, s27
	v_mov_b32_e32 v7, 0
	s_and_saveexec_b32 s27, s26
.LBB30_737:
	v_lshrrev_b32_e32 v3, 8, v3
	s_delay_alu instid0(VALU_DEP_1)
	v_and_or_b32 v7, 0x80, v3, v5
.LBB30_738:
	s_or_b32 exec_lo, exec_lo, s27
.LBB30_739:
	s_delay_alu instid0(SALU_CYCLE_1)
	s_or_b32 exec_lo, exec_lo, s25
	s_mov_b32 s25, 0
	global_store_b8 v[0:1], v7, off
.LBB30_740:
	s_and_b32 vcc_lo, exec_lo, s25
	s_cbranch_vccz .LBB30_750
; %bb.741:
	s_wait_xcnt 0x0
	v_lshlrev_b32_e32 v6, 16, v2
	v_and_b32_e32 v3, 0xffff, v2
	s_mov_b32 s25, exec_lo
                                        ; implicit-def: $vgpr5
	s_delay_alu instid0(VALU_DEP_2) | instskip(NEXT) | instid1(VALU_DEP_1)
	v_and_b32_e32 v7, 0x7fffffff, v6
	v_cmpx_gt_u32_e32 0x43f00000, v7
	s_xor_b32 s25, exec_lo, s25
	s_cbranch_execz .LBB30_747
; %bb.742:
	s_mov_b32 s26, exec_lo
                                        ; implicit-def: $vgpr5
	v_cmpx_lt_u32_e32 0x3c7fffff, v7
	s_xor_b32 s26, exec_lo, s26
; %bb.743:
	v_bfe_u32 v5, v3, 4, 1
	s_delay_alu instid0(VALU_DEP_1) | instskip(NEXT) | instid1(VALU_DEP_1)
	v_add3_u32 v5, v6, v5, 0x407ffff
	v_and_b32_e32 v6, 0xff00000, v5
	v_lshrrev_b32_e32 v5, 20, v5
	s_delay_alu instid0(VALU_DEP_2) | instskip(NEXT) | instid1(VALU_DEP_2)
	v_cmp_ne_u32_e32 vcc_lo, 0x7f00000, v6
                                        ; implicit-def: $vgpr6
	v_cndmask_b32_e32 v5, 0x7e, v5, vcc_lo
; %bb.744:
	s_and_not1_saveexec_b32 s26, s26
; %bb.745:
	v_add_f32_e64 v5, 0x46800000, |v6|
; %bb.746:
	s_or_b32 exec_lo, exec_lo, s26
                                        ; implicit-def: $vgpr7
.LBB30_747:
	s_and_not1_saveexec_b32 s25, s25
; %bb.748:
	v_mov_b32_e32 v5, 0x7f
	v_cmp_lt_u32_e32 vcc_lo, 0x7f800000, v7
	s_delay_alu instid0(VALU_DEP_2)
	v_cndmask_b32_e32 v5, 0x7e, v5, vcc_lo
; %bb.749:
	s_or_b32 exec_lo, exec_lo, s25
	v_lshrrev_b32_e32 v3, 8, v3
	s_delay_alu instid0(VALU_DEP_1)
	v_and_or_b32 v3, 0x80, v3, v5
	global_store_b8 v[0:1], v3, off
.LBB30_750:
	s_mov_b32 s25, 0
.LBB30_751:
	s_delay_alu instid0(SALU_CYCLE_1)
	s_and_not1_b32 vcc_lo, exec_lo, s25
	s_cbranch_vccnz .LBB30_761
; %bb.752:
	s_wait_xcnt 0x0
	v_lshlrev_b32_e32 v6, 16, v2
	v_and_b32_e32 v3, 0xffff, v2
	s_mov_b32 s25, exec_lo
                                        ; implicit-def: $vgpr5
	s_delay_alu instid0(VALU_DEP_2) | instskip(NEXT) | instid1(VALU_DEP_1)
	v_and_b32_e32 v7, 0x7fffffff, v6
	v_cmpx_gt_u32_e32 0x47800000, v7
	s_xor_b32 s25, exec_lo, s25
	s_cbranch_execz .LBB30_758
; %bb.753:
	s_mov_b32 s26, exec_lo
                                        ; implicit-def: $vgpr5
	v_cmpx_lt_u32_e32 0x387fffff, v7
	s_xor_b32 s26, exec_lo, s26
; %bb.754:
	v_bfe_u32 v5, v3, 5, 1
	s_delay_alu instid0(VALU_DEP_1) | instskip(NEXT) | instid1(VALU_DEP_1)
	v_add3_u32 v5, v6, v5, 0x80fffff
                                        ; implicit-def: $vgpr6
	v_lshrrev_b32_e32 v5, 21, v5
; %bb.755:
	s_and_not1_saveexec_b32 s26, s26
; %bb.756:
	v_add_f32_e64 v5, 0x43000000, |v6|
; %bb.757:
	s_or_b32 exec_lo, exec_lo, s26
                                        ; implicit-def: $vgpr7
.LBB30_758:
	s_and_not1_saveexec_b32 s25, s25
; %bb.759:
	v_mov_b32_e32 v5, 0x7f
	v_cmp_lt_u32_e32 vcc_lo, 0x7f800000, v7
	s_delay_alu instid0(VALU_DEP_2)
	v_cndmask_b32_e32 v5, 0x7c, v5, vcc_lo
; %bb.760:
	s_or_b32 exec_lo, exec_lo, s25
	v_lshrrev_b32_e32 v3, 8, v3
	s_delay_alu instid0(VALU_DEP_1)
	v_and_or_b32 v3, 0x80, v3, v5
	global_store_b8 v[0:1], v3, off
.LBB30_761:
	s_mov_b32 s26, 0
	s_mov_b32 s25, -1
.LBB30_762:
	s_and_not1_b32 vcc_lo, exec_lo, s26
	s_cbranch_vccnz .LBB30_770
; %bb.763:
	s_cmp_gt_i32 s24, 14
	s_mov_b32 s26, -1
	s_cbranch_scc0 .LBB30_767
; %bb.764:
	s_cmp_eq_u32 s24, 15
	s_mov_b32 s0, -1
	s_cbranch_scc0 .LBB30_766
; %bb.765:
	s_mov_b32 s25, -1
	s_mov_b32 s0, 0
	global_store_b16 v[0:1], v2, off
.LBB30_766:
	s_mov_b32 s26, 0
.LBB30_767:
	s_delay_alu instid0(SALU_CYCLE_1)
	s_and_b32 vcc_lo, exec_lo, s26
	s_cbranch_vccz .LBB30_770
; %bb.768:
	s_cmp_eq_u32 s24, 11
	s_mov_b32 s0, -1
	s_cbranch_scc0 .LBB30_770
; %bb.769:
	s_wait_xcnt 0x0
	v_and_b32_e32 v3, 0x7fff, v2
	s_mov_b32 s0, 0
	s_mov_b32 s25, -1
	s_delay_alu instid0(VALU_DEP_1)
	v_cmp_ne_u16_e32 vcc_lo, 0, v3
	v_cndmask_b32_e64 v3, 0, 1, vcc_lo
	global_store_b8 v[0:1], v3, off
.LBB30_770:
.LBB30_771:
	s_and_not1_b32 vcc_lo, exec_lo, s25
	s_cbranch_vccnz .LBB30_696
.LBB30_772:
	v_add_nc_u32_e32 v4, 0x80, v4
	s_mov_b32 s23, -1
.LBB30_773:
	s_and_not1_b32 s24, s19, exec_lo
	s_and_b32 s0, s0, exec_lo
	s_and_not1_b32 s25, s18, exec_lo
	s_and_b32 s26, s22, exec_lo
	s_or_b32 s22, s24, s0
	s_or_b32 s0, s25, s26
	s_or_not1_b32 s23, s23, exec_lo
.LBB30_774:
	s_wait_xcnt 0x0
	s_or_b32 exec_lo, exec_lo, s21
	s_mov_b32 s24, 0
	s_mov_b32 s25, 0
	;; [unrolled: 1-line block ×3, first 2 shown]
                                        ; implicit-def: $vgpr0_vgpr1
                                        ; implicit-def: $vgpr3
	s_and_saveexec_b32 s21, s23
	s_cbranch_execz .LBB30_859
; %bb.775:
	v_cmp_gt_i32_e32 vcc_lo, s14, v4
	s_mov_b32 s23, 0
	s_mov_b32 s24, s0
	;; [unrolled: 1-line block ×3, first 2 shown]
                                        ; implicit-def: $vgpr0_vgpr1
                                        ; implicit-def: $vgpr3
	s_and_saveexec_b32 s14, vcc_lo
	s_cbranch_execz .LBB30_858
; %bb.776:
	v_mul_lo_u32 v0, v4, s9
	s_and_b32 s23, 0xffff, s10
	s_delay_alu instid0(SALU_CYCLE_1) | instskip(NEXT) | instid1(VALU_DEP_1)
	s_cmp_lt_i32 s23, 11
	v_ashrrev_i32_e32 v1, 31, v0
	s_delay_alu instid0(VALU_DEP_1)
	v_add_nc_u64_e32 v[0:1], s[6:7], v[0:1]
	s_cbranch_scc1 .LBB30_783
; %bb.777:
	s_cmp_gt_i32 s23, 25
	s_cbranch_scc0 .LBB30_784
; %bb.778:
	s_cmp_gt_i32 s23, 28
	s_cbranch_scc0 .LBB30_785
	;; [unrolled: 3-line block ×4, first 2 shown]
; %bb.781:
	s_cmp_eq_u32 s23, 46
	s_cbranch_scc0 .LBB30_792
; %bb.782:
	global_load_b32 v3, v[0:1], off
	s_mov_b32 s24, 0
	s_mov_b32 s26, -1
	s_branch .LBB30_794
.LBB30_783:
	s_mov_b32 s23, -1
	s_mov_b32 s24, s0
                                        ; implicit-def: $vgpr3
	s_branch .LBB30_857
.LBB30_784:
	s_mov_b32 s27, -1
	s_mov_b32 s24, s0
                                        ; implicit-def: $vgpr3
	s_branch .LBB30_823
.LBB30_785:
	s_mov_b32 s27, -1
	s_mov_b32 s24, s0
                                        ; implicit-def: $vgpr3
	s_branch .LBB30_804
.LBB30_786:
	s_mov_b32 s27, -1
	s_mov_b32 s24, s0
                                        ; implicit-def: $vgpr3
	s_branch .LBB30_799
.LBB30_787:
	s_and_not1_saveexec_b32 s27, s27
	s_cbranch_execz .LBB30_723
.LBB30_788:
	v_add_f32_e64 v5, 0x46000000, |v6|
	s_and_not1_b32 s26, s26, exec_lo
	s_delay_alu instid0(VALU_DEP_1) | instskip(NEXT) | instid1(VALU_DEP_1)
	v_and_b32_e32 v5, 0xff, v5
	v_cmp_ne_u32_e32 vcc_lo, 0, v5
	s_and_b32 s28, vcc_lo, exec_lo
	s_delay_alu instid0(SALU_CYCLE_1)
	s_or_b32 s26, s26, s28
	s_or_b32 exec_lo, exec_lo, s27
	v_mov_b32_e32 v7, 0
	s_and_saveexec_b32 s27, s26
	s_cbranch_execnz .LBB30_724
	s_branch .LBB30_725
.LBB30_789:
	s_mov_b32 s27, -1
	s_mov_b32 s24, s0
	s_branch .LBB30_793
.LBB30_790:
	s_and_not1_saveexec_b32 s27, s27
	s_cbranch_execz .LBB30_736
.LBB30_791:
	v_add_f32_e64 v5, 0x42800000, |v6|
	s_and_not1_b32 s26, s26, exec_lo
	s_delay_alu instid0(VALU_DEP_1) | instskip(NEXT) | instid1(VALU_DEP_1)
	v_and_b32_e32 v5, 0xff, v5
	v_cmp_ne_u32_e32 vcc_lo, 0, v5
	s_and_b32 s28, vcc_lo, exec_lo
	s_delay_alu instid0(SALU_CYCLE_1)
	s_or_b32 s26, s26, s28
	s_or_b32 exec_lo, exec_lo, s27
	v_mov_b32_e32 v7, 0
	s_and_saveexec_b32 s27, s26
	s_cbranch_execnz .LBB30_737
	s_branch .LBB30_738
.LBB30_792:
	s_mov_b32 s24, -1
.LBB30_793:
                                        ; implicit-def: $vgpr3
.LBB30_794:
	s_and_b32 vcc_lo, exec_lo, s27
	s_cbranch_vccz .LBB30_798
; %bb.795:
	s_cmp_eq_u32 s23, 44
	s_cbranch_scc0 .LBB30_797
; %bb.796:
	s_wait_loadcnt 0x0
	global_load_u8 v2, v[0:1], off
	s_mov_b32 s24, 0
	s_mov_b32 s26, -1
	s_wait_loadcnt 0x0
	v_lshlrev_b32_e32 v3, 23, v2
	v_cmp_ne_u32_e32 vcc_lo, 0xff, v2
	s_delay_alu instid0(VALU_DEP_2) | instskip(SKIP_1) | instid1(VALU_DEP_2)
	v_cndmask_b32_e32 v3, 0x7f800001, v3, vcc_lo
	v_cmp_ne_u32_e32 vcc_lo, 0, v2
	v_cndmask_b32_e32 v2, 0x400000, v3, vcc_lo
	s_delay_alu instid0(VALU_DEP_1) | instskip(NEXT) | instid1(VALU_DEP_1)
	v_add_nc_u32_e32 v3, 0x7fff, v2
	v_lshrrev_b32_e32 v3, 16, v3
	v_cmp_o_f32_e32 vcc_lo, v2, v2
	s_delay_alu instid0(VALU_DEP_2)
	v_cndmask_b32_e32 v3, 0x7fc0, v3, vcc_lo
	s_branch .LBB30_798
.LBB30_797:
	s_mov_b32 s24, -1
                                        ; implicit-def: $vgpr3
.LBB30_798:
	s_mov_b32 s27, 0
.LBB30_799:
	s_delay_alu instid0(SALU_CYCLE_1)
	s_and_b32 vcc_lo, exec_lo, s27
	s_cbranch_vccz .LBB30_803
; %bb.800:
	s_cmp_eq_u32 s23, 29
	s_cbranch_scc0 .LBB30_802
; %bb.801:
	s_wait_loadcnt 0x0
	global_load_b64 v[2:3], v[0:1], off
	s_mov_b32 s24, 0
	s_mov_b32 s26, -1
	s_mov_b32 s27, 0
	s_wait_loadcnt 0x0
	v_clz_i32_u32_e32 v5, v3
	s_delay_alu instid0(VALU_DEP_1) | instskip(NEXT) | instid1(VALU_DEP_1)
	v_min_u32_e32 v5, 32, v5
	v_lshlrev_b64_e32 v[2:3], v5, v[2:3]
	s_delay_alu instid0(VALU_DEP_1) | instskip(NEXT) | instid1(VALU_DEP_1)
	v_min_u32_e32 v2, 1, v2
	v_dual_sub_nc_u32 v3, 32, v5 :: v_dual_bitop2_b32 v2, v3, v2 bitop3:0x54
	s_delay_alu instid0(VALU_DEP_1) | instskip(NEXT) | instid1(VALU_DEP_1)
	v_cvt_f32_u32_e32 v2, v2
	v_ldexp_f32 v2, v2, v3
	s_delay_alu instid0(VALU_DEP_1) | instskip(NEXT) | instid1(VALU_DEP_1)
	v_bfe_u32 v3, v2, 16, 1
	v_add3_u32 v2, v2, v3, 0x7fff
	s_delay_alu instid0(VALU_DEP_1)
	v_lshrrev_b32_e32 v3, 16, v2
	s_branch .LBB30_804
.LBB30_802:
	s_mov_b32 s24, -1
                                        ; implicit-def: $vgpr3
.LBB30_803:
	s_mov_b32 s27, 0
.LBB30_804:
	s_delay_alu instid0(SALU_CYCLE_1)
	s_and_b32 vcc_lo, exec_lo, s27
	s_cbranch_vccz .LBB30_822
; %bb.805:
	s_cmp_lt_i32 s23, 27
	s_cbranch_scc1 .LBB30_808
; %bb.806:
	s_cmp_gt_i32 s23, 27
	s_cbranch_scc0 .LBB30_809
; %bb.807:
	s_wait_loadcnt 0x0
	global_load_b32 v2, v[0:1], off
	s_mov_b32 s26, 0
	s_wait_loadcnt 0x0
	v_cvt_f32_u32_e32 v2, v2
	s_delay_alu instid0(VALU_DEP_1) | instskip(NEXT) | instid1(VALU_DEP_1)
	v_bfe_u32 v3, v2, 16, 1
	v_add3_u32 v2, v2, v3, 0x7fff
	s_delay_alu instid0(VALU_DEP_1)
	v_lshrrev_b32_e32 v3, 16, v2
	s_branch .LBB30_810
.LBB30_808:
	s_mov_b32 s26, -1
                                        ; implicit-def: $vgpr3
	s_branch .LBB30_813
.LBB30_809:
	s_mov_b32 s26, -1
                                        ; implicit-def: $vgpr3
.LBB30_810:
	s_delay_alu instid0(SALU_CYCLE_1)
	s_and_not1_b32 vcc_lo, exec_lo, s26
	s_cbranch_vccnz .LBB30_812
; %bb.811:
	s_wait_loadcnt 0x0
	global_load_u16 v2, v[0:1], off
	s_wait_loadcnt 0x0
	v_cvt_f32_u32_e32 v2, v2
	s_delay_alu instid0(VALU_DEP_1) | instskip(NEXT) | instid1(VALU_DEP_1)
	v_bfe_u32 v3, v2, 16, 1
	v_add3_u32 v2, v2, v3, 0x7fff
	s_delay_alu instid0(VALU_DEP_1)
	v_lshrrev_b32_e32 v3, 16, v2
.LBB30_812:
	s_mov_b32 s26, 0
.LBB30_813:
	s_delay_alu instid0(SALU_CYCLE_1)
	s_and_not1_b32 vcc_lo, exec_lo, s26
	s_cbranch_vccnz .LBB30_821
; %bb.814:
	s_wait_loadcnt 0x0
	global_load_u8 v2, v[0:1], off
	s_mov_b32 s26, 0
	s_mov_b32 s27, exec_lo
	s_wait_loadcnt 0x0
	v_cmpx_lt_i16_e32 0x7f, v2
	s_xor_b32 s27, exec_lo, s27
	s_cbranch_execz .LBB30_835
; %bb.815:
	s_mov_b32 s26, -1
	s_mov_b32 s28, exec_lo
	v_cmpx_eq_u16_e32 0x80, v2
; %bb.816:
	s_xor_b32 s26, exec_lo, -1
; %bb.817:
	s_or_b32 exec_lo, exec_lo, s28
	s_delay_alu instid0(SALU_CYCLE_1)
	s_and_b32 s26, s26, exec_lo
	s_or_saveexec_b32 s27, s27
	v_mov_b32_e32 v3, 0x7f800001
	s_xor_b32 exec_lo, exec_lo, s27
	s_cbranch_execnz .LBB30_836
.LBB30_818:
	s_or_b32 exec_lo, exec_lo, s27
	s_and_saveexec_b32 s27, s26
	s_cbranch_execz .LBB30_820
.LBB30_819:
	v_and_b32_e32 v3, 0xffff, v2
	s_delay_alu instid0(VALU_DEP_1) | instskip(SKIP_1) | instid1(VALU_DEP_2)
	v_and_b32_e32 v5, 7, v3
	v_bfe_u32 v8, v3, 3, 4
	v_clz_i32_u32_e32 v6, v5
	s_delay_alu instid0(VALU_DEP_2) | instskip(NEXT) | instid1(VALU_DEP_2)
	v_cmp_eq_u32_e32 vcc_lo, 0, v8
	v_min_u32_e32 v6, 32, v6
	s_delay_alu instid0(VALU_DEP_1) | instskip(NEXT) | instid1(VALU_DEP_1)
	v_subrev_nc_u32_e32 v7, 28, v6
	v_dual_lshlrev_b32 v3, v7, v3 :: v_dual_sub_nc_u32 v6, 29, v6
	s_delay_alu instid0(VALU_DEP_1) | instskip(NEXT) | instid1(VALU_DEP_1)
	v_dual_lshlrev_b32 v2, 24, v2 :: v_dual_bitop2_b32 v3, 7, v3 bitop3:0x40
	v_dual_cndmask_b32 v3, v5, v3 :: v_dual_cndmask_b32 v6, v8, v6
	s_delay_alu instid0(VALU_DEP_2) | instskip(NEXT) | instid1(VALU_DEP_2)
	v_and_b32_e32 v2, 0x80000000, v2
	v_lshlrev_b32_e32 v3, 20, v3
	s_delay_alu instid0(VALU_DEP_3) | instskip(NEXT) | instid1(VALU_DEP_1)
	v_lshl_add_u32 v5, v6, 23, 0x3b800000
	v_or3_b32 v3, v2, v5, v3
.LBB30_820:
	s_or_b32 exec_lo, exec_lo, s27
	s_delay_alu instid0(VALU_DEP_1) | instskip(SKIP_1) | instid1(VALU_DEP_2)
	v_bfe_u32 v2, v3, 16, 1
	v_cmp_o_f32_e32 vcc_lo, v3, v3
	v_add3_u32 v2, v3, v2, 0x7fff
	s_delay_alu instid0(VALU_DEP_1) | instskip(NEXT) | instid1(VALU_DEP_1)
	v_lshrrev_b32_e32 v2, 16, v2
	v_cndmask_b32_e32 v3, 0x7fc0, v2, vcc_lo
.LBB30_821:
	s_mov_b32 s26, -1
.LBB30_822:
	s_mov_b32 s27, 0
.LBB30_823:
	s_delay_alu instid0(SALU_CYCLE_1)
	s_and_b32 vcc_lo, exec_lo, s27
	s_cbranch_vccz .LBB30_856
; %bb.824:
	s_cmp_gt_i32 s23, 22
	s_cbranch_scc0 .LBB30_834
; %bb.825:
	s_cmp_lt_i32 s23, 24
	s_cbranch_scc1 .LBB30_837
; %bb.826:
	s_cmp_gt_i32 s23, 24
	s_cbranch_scc0 .LBB30_838
; %bb.827:
	s_wait_loadcnt 0x0
	global_load_u8 v2, v[0:1], off
	s_mov_b32 s26, exec_lo
	s_wait_loadcnt 0x0
	v_cmpx_lt_i16_e32 0x7f, v2
	s_xor_b32 s26, exec_lo, s26
	s_cbranch_execz .LBB30_850
; %bb.828:
	s_mov_b32 s25, -1
	s_mov_b32 s27, exec_lo
	v_cmpx_eq_u16_e32 0x80, v2
; %bb.829:
	s_xor_b32 s25, exec_lo, -1
; %bb.830:
	s_or_b32 exec_lo, exec_lo, s27
	s_delay_alu instid0(SALU_CYCLE_1)
	s_and_b32 s25, s25, exec_lo
	s_or_saveexec_b32 s26, s26
	v_mov_b32_e32 v3, 0x7f800001
	s_xor_b32 exec_lo, exec_lo, s26
	s_cbranch_execnz .LBB30_851
.LBB30_831:
	s_or_b32 exec_lo, exec_lo, s26
	s_and_saveexec_b32 s26, s25
	s_cbranch_execz .LBB30_833
.LBB30_832:
	v_and_b32_e32 v3, 0xffff, v2
	s_delay_alu instid0(VALU_DEP_1) | instskip(SKIP_1) | instid1(VALU_DEP_2)
	v_and_b32_e32 v5, 3, v3
	v_bfe_u32 v8, v3, 2, 5
	v_clz_i32_u32_e32 v6, v5
	s_delay_alu instid0(VALU_DEP_2) | instskip(NEXT) | instid1(VALU_DEP_2)
	v_cmp_eq_u32_e32 vcc_lo, 0, v8
	v_min_u32_e32 v6, 32, v6
	s_delay_alu instid0(VALU_DEP_1) | instskip(NEXT) | instid1(VALU_DEP_1)
	v_subrev_nc_u32_e32 v7, 29, v6
	v_dual_lshlrev_b32 v3, v7, v3 :: v_dual_sub_nc_u32 v6, 30, v6
	s_delay_alu instid0(VALU_DEP_1) | instskip(NEXT) | instid1(VALU_DEP_1)
	v_dual_lshlrev_b32 v2, 24, v2 :: v_dual_bitop2_b32 v3, 3, v3 bitop3:0x40
	v_dual_cndmask_b32 v3, v5, v3 :: v_dual_cndmask_b32 v6, v8, v6
	s_delay_alu instid0(VALU_DEP_2) | instskip(NEXT) | instid1(VALU_DEP_2)
	v_and_b32_e32 v2, 0x80000000, v2
	v_lshlrev_b32_e32 v3, 21, v3
	s_delay_alu instid0(VALU_DEP_3) | instskip(NEXT) | instid1(VALU_DEP_1)
	v_lshl_add_u32 v5, v6, 23, 0x37800000
	v_or3_b32 v3, v2, v5, v3
.LBB30_833:
	s_or_b32 exec_lo, exec_lo, s26
	s_delay_alu instid0(VALU_DEP_1) | instskip(SKIP_2) | instid1(VALU_DEP_2)
	v_bfe_u32 v2, v3, 16, 1
	v_cmp_o_f32_e32 vcc_lo, v3, v3
	s_mov_b32 s25, 0
	v_add3_u32 v2, v3, v2, 0x7fff
	s_delay_alu instid0(VALU_DEP_1) | instskip(NEXT) | instid1(VALU_DEP_1)
	v_lshrrev_b32_e32 v2, 16, v2
	v_cndmask_b32_e32 v3, 0x7fc0, v2, vcc_lo
	s_branch .LBB30_839
.LBB30_834:
	s_mov_b32 s25, -1
                                        ; implicit-def: $vgpr3
	s_branch .LBB30_845
.LBB30_835:
	s_or_saveexec_b32 s27, s27
	v_mov_b32_e32 v3, 0x7f800001
	s_xor_b32 exec_lo, exec_lo, s27
	s_cbranch_execz .LBB30_818
.LBB30_836:
	v_cmp_ne_u16_e32 vcc_lo, 0, v2
	v_mov_b32_e32 v3, 0
	s_and_not1_b32 s26, s26, exec_lo
	s_and_b32 s28, vcc_lo, exec_lo
	s_delay_alu instid0(SALU_CYCLE_1)
	s_or_b32 s26, s26, s28
	s_or_b32 exec_lo, exec_lo, s27
	s_and_saveexec_b32 s27, s26
	s_cbranch_execnz .LBB30_819
	s_branch .LBB30_820
.LBB30_837:
	s_mov_b32 s25, -1
                                        ; implicit-def: $vgpr3
	s_branch .LBB30_842
.LBB30_838:
	s_mov_b32 s25, -1
                                        ; implicit-def: $vgpr3
.LBB30_839:
	s_delay_alu instid0(SALU_CYCLE_1)
	s_and_b32 vcc_lo, exec_lo, s25
	s_cbranch_vccz .LBB30_841
; %bb.840:
	s_wait_loadcnt 0x0
	global_load_u8 v2, v[0:1], off
	s_wait_loadcnt 0x0
	v_lshlrev_b32_e32 v2, 24, v2
	s_delay_alu instid0(VALU_DEP_1) | instskip(NEXT) | instid1(VALU_DEP_1)
	v_and_b32_e32 v3, 0x7f000000, v2
	v_clz_i32_u32_e32 v5, v3
	v_add_nc_u32_e32 v7, 0x1000000, v3
	v_cmp_ne_u32_e32 vcc_lo, 0, v3
	s_delay_alu instid0(VALU_DEP_3) | instskip(NEXT) | instid1(VALU_DEP_1)
	v_min_u32_e32 v5, 32, v5
	v_sub_nc_u32_e64 v5, v5, 4 clamp
	s_delay_alu instid0(VALU_DEP_1) | instskip(NEXT) | instid1(VALU_DEP_1)
	v_dual_lshlrev_b32 v6, v5, v3 :: v_dual_lshlrev_b32 v5, 23, v5
	v_lshrrev_b32_e32 v6, 4, v6
	s_delay_alu instid0(VALU_DEP_1) | instskip(NEXT) | instid1(VALU_DEP_1)
	v_dual_sub_nc_u32 v5, v6, v5 :: v_dual_ashrrev_i32 v6, 8, v7
	v_add_nc_u32_e32 v5, 0x3c000000, v5
	s_delay_alu instid0(VALU_DEP_1) | instskip(NEXT) | instid1(VALU_DEP_1)
	v_and_or_b32 v5, 0x7f800000, v6, v5
	v_cndmask_b32_e32 v3, 0, v5, vcc_lo
	s_delay_alu instid0(VALU_DEP_1) | instskip(SKIP_1) | instid1(VALU_DEP_2)
	v_and_or_b32 v2, 0x80000000, v2, v3
	v_bfe_u32 v3, v3, 16, 1
	v_cmp_o_f32_e32 vcc_lo, v2, v2
	s_delay_alu instid0(VALU_DEP_2) | instskip(NEXT) | instid1(VALU_DEP_1)
	v_add3_u32 v3, v2, v3, 0x7fff
	v_lshrrev_b32_e32 v3, 16, v3
	s_delay_alu instid0(VALU_DEP_1)
	v_cndmask_b32_e32 v3, 0x7fc0, v3, vcc_lo
.LBB30_841:
	s_mov_b32 s25, 0
.LBB30_842:
	s_delay_alu instid0(SALU_CYCLE_1)
	s_and_not1_b32 vcc_lo, exec_lo, s25
	s_cbranch_vccnz .LBB30_844
; %bb.843:
	s_wait_loadcnt 0x0
	global_load_u8 v2, v[0:1], off
	s_wait_loadcnt 0x0
	v_lshlrev_b32_e32 v3, 25, v2
	v_lshlrev_b16 v2, 8, v2
	s_delay_alu instid0(VALU_DEP_2) | instskip(NEXT) | instid1(VALU_DEP_2)
	v_cmp_gt_u32_e32 vcc_lo, 0x8000000, v3
	v_and_or_b32 v6, 0x7f00, v2, 0.5
	v_lshrrev_b32_e32 v5, 4, v3
	v_bfe_i32 v2, v2, 0, 16
	s_delay_alu instid0(VALU_DEP_3) | instskip(NEXT) | instid1(VALU_DEP_3)
	v_add_f32_e32 v6, -0.5, v6
	v_or_b32_e32 v5, 0x70000000, v5
	s_delay_alu instid0(VALU_DEP_1) | instskip(NEXT) | instid1(VALU_DEP_1)
	v_mul_f32_e32 v5, 0x7800000, v5
	v_cndmask_b32_e32 v3, v5, v6, vcc_lo
	s_delay_alu instid0(VALU_DEP_1) | instskip(SKIP_1) | instid1(VALU_DEP_2)
	v_and_or_b32 v2, 0x80000000, v2, v3
	v_bfe_u32 v3, v3, 16, 1
	v_cmp_o_f32_e32 vcc_lo, v2, v2
	s_delay_alu instid0(VALU_DEP_2) | instskip(NEXT) | instid1(VALU_DEP_1)
	v_add3_u32 v3, v2, v3, 0x7fff
	v_lshrrev_b32_e32 v3, 16, v3
	s_delay_alu instid0(VALU_DEP_1)
	v_cndmask_b32_e32 v3, 0x7fc0, v3, vcc_lo
.LBB30_844:
	s_mov_b32 s25, 0
	s_mov_b32 s26, -1
.LBB30_845:
	s_and_not1_b32 vcc_lo, exec_lo, s25
	s_mov_b32 s25, 0
	s_cbranch_vccnz .LBB30_856
; %bb.846:
	s_cmp_gt_i32 s23, 14
	s_cbranch_scc0 .LBB30_849
; %bb.847:
	s_cmp_eq_u32 s23, 15
	s_cbranch_scc0 .LBB30_852
; %bb.848:
	s_wait_loadcnt 0x0
	global_load_u16 v3, v[0:1], off
	s_mov_b32 s24, 0
	s_mov_b32 s26, -1
	s_branch .LBB30_854
.LBB30_849:
	s_mov_b32 s25, -1
	s_branch .LBB30_853
.LBB30_850:
	s_or_saveexec_b32 s26, s26
	v_mov_b32_e32 v3, 0x7f800001
	s_xor_b32 exec_lo, exec_lo, s26
	s_cbranch_execz .LBB30_831
.LBB30_851:
	v_cmp_ne_u16_e32 vcc_lo, 0, v2
	v_mov_b32_e32 v3, 0
	s_and_not1_b32 s25, s25, exec_lo
	s_and_b32 s27, vcc_lo, exec_lo
	s_delay_alu instid0(SALU_CYCLE_1)
	s_or_b32 s25, s25, s27
	s_or_b32 exec_lo, exec_lo, s26
	s_and_saveexec_b32 s26, s25
	s_cbranch_execnz .LBB30_832
	s_branch .LBB30_833
.LBB30_852:
	s_mov_b32 s24, -1
.LBB30_853:
                                        ; implicit-def: $vgpr3
.LBB30_854:
	s_and_b32 vcc_lo, exec_lo, s25
	s_mov_b32 s25, 0
	s_cbranch_vccz .LBB30_856
; %bb.855:
	s_cmp_lg_u32 s23, 11
	s_mov_b32 s25, -1
	s_cselect_b32 s23, -1, 0
	s_and_not1_b32 s24, s24, exec_lo
	s_and_b32 s23, s23, exec_lo
	s_delay_alu instid0(SALU_CYCLE_1)
	s_or_b32 s24, s24, s23
.LBB30_856:
	s_mov_b32 s23, 0
.LBB30_857:
	s_and_not1_b32 s28, s0, exec_lo
	s_and_b32 s24, s24, exec_lo
	s_and_b32 s26, s26, exec_lo
	;; [unrolled: 1-line block ×4, first 2 shown]
	s_or_b32 s24, s28, s24
.LBB30_858:
	s_wait_xcnt 0x0
	s_or_b32 exec_lo, exec_lo, s14
	s_delay_alu instid0(SALU_CYCLE_1)
	s_and_not1_b32 s0, s0, exec_lo
	s_and_b32 s14, s24, exec_lo
	s_and_b32 s26, s26, exec_lo
	;; [unrolled: 1-line block ×4, first 2 shown]
	s_or_b32 s0, s0, s14
.LBB30_859:
	s_or_b32 exec_lo, exec_lo, s21
	s_delay_alu instid0(SALU_CYCLE_1)
	s_and_not1_b32 s14, s19, exec_lo
	s_and_b32 s19, s22, exec_lo
	s_and_b32 s0, s0, exec_lo
	s_or_b32 s19, s14, s19
	s_and_not1_b32 s14, s18, exec_lo
	s_and_b32 s23, s26, exec_lo
	s_and_b32 s22, s25, exec_lo
	;; [unrolled: 1-line block ×3, first 2 shown]
	s_or_b32 s18, s14, s0
.LBB30_860:
	s_or_b32 exec_lo, exec_lo, s20
	s_delay_alu instid0(SALU_CYCLE_1)
	s_and_not1_b32 s0, s15, exec_lo
	s_and_b32 s14, s19, exec_lo
	s_and_b32 s19, s22, exec_lo
	s_or_b32 s15, s0, s14
	s_and_not1_b32 s14, s16, exec_lo
	s_and_b32 s16, s18, exec_lo
	s_and_b32 s0, s23, exec_lo
	;; [unrolled: 1-line block ×3, first 2 shown]
	s_or_b32 s16, s14, s16
	s_or_b32 exec_lo, exec_lo, s17
	s_mov_b32 s14, 0
	s_and_saveexec_b32 s17, s16
	s_cbranch_execz .LBB30_262
.LBB30_861:
	s_mov_b32 s14, exec_lo
	s_and_not1_b32 s18, s18, exec_lo
	s_trap 2
	s_or_b32 exec_lo, exec_lo, s17
	s_and_saveexec_b32 s16, s18
	s_delay_alu instid0(SALU_CYCLE_1)
	s_xor_b32 s16, exec_lo, s16
	s_cbranch_execnz .LBB30_263
.LBB30_862:
	s_or_b32 exec_lo, exec_lo, s16
	s_and_saveexec_b32 s16, s19
	s_cbranch_execz .LBB30_908
.LBB30_863:
	s_sext_i32_i16 s17, s10
	s_delay_alu instid0(SALU_CYCLE_1)
	s_cmp_lt_i32 s17, 5
	s_cbranch_scc1 .LBB30_868
; %bb.864:
	s_cmp_lt_i32 s17, 8
	s_cbranch_scc1 .LBB30_869
; %bb.865:
	;; [unrolled: 3-line block ×3, first 2 shown]
	s_cmp_gt_i32 s17, 9
	s_cbranch_scc0 .LBB30_871
; %bb.867:
	s_wait_loadcnt 0x0
	global_load_b64 v[2:3], v[0:1], off
	s_mov_b32 s17, 0
	s_wait_loadcnt 0x0
	v_cvt_f32_f64_e32 v2, v[2:3]
	s_delay_alu instid0(VALU_DEP_1) | instskip(SKIP_1) | instid1(VALU_DEP_2)
	v_bfe_u32 v3, v2, 16, 1
	v_cmp_o_f32_e32 vcc_lo, v2, v2
	v_add3_u32 v3, v2, v3, 0x7fff
	s_delay_alu instid0(VALU_DEP_1) | instskip(NEXT) | instid1(VALU_DEP_1)
	v_lshrrev_b32_e32 v3, 16, v3
	v_cndmask_b32_e32 v3, 0x7fc0, v3, vcc_lo
	s_branch .LBB30_872
.LBB30_868:
                                        ; implicit-def: $vgpr3
	s_branch .LBB30_889
.LBB30_869:
                                        ; implicit-def: $vgpr3
	s_branch .LBB30_878
.LBB30_870:
	s_mov_b32 s17, -1
                                        ; implicit-def: $vgpr3
	s_branch .LBB30_875
.LBB30_871:
	s_mov_b32 s17, -1
                                        ; implicit-def: $vgpr3
.LBB30_872:
	s_delay_alu instid0(SALU_CYCLE_1)
	s_and_not1_b32 vcc_lo, exec_lo, s17
	s_cbranch_vccnz .LBB30_874
; %bb.873:
	s_wait_loadcnt 0x0
	global_load_b32 v2, v[0:1], off
	s_wait_loadcnt 0x0
	v_bfe_u32 v3, v2, 16, 1
	v_cmp_o_f32_e32 vcc_lo, v2, v2
	s_delay_alu instid0(VALU_DEP_2) | instskip(NEXT) | instid1(VALU_DEP_1)
	v_add3_u32 v3, v2, v3, 0x7fff
	v_lshrrev_b32_e32 v3, 16, v3
	s_delay_alu instid0(VALU_DEP_1)
	v_cndmask_b32_e32 v3, 0x7fc0, v3, vcc_lo
.LBB30_874:
	s_mov_b32 s17, 0
.LBB30_875:
	s_delay_alu instid0(SALU_CYCLE_1)
	s_and_not1_b32 vcc_lo, exec_lo, s17
	s_cbranch_vccnz .LBB30_877
; %bb.876:
	s_wait_loadcnt 0x0
	global_load_b32 v2, v[0:1], off
	s_wait_loadcnt 0x0
	v_cvt_f32_f16_e32 v3, v2
	v_cmp_o_f16_e32 vcc_lo, v2, v2
	s_delay_alu instid0(VALU_DEP_2) | instskip(NEXT) | instid1(VALU_DEP_1)
	v_bfe_u32 v5, v3, 16, 1
	v_add3_u32 v3, v3, v5, 0x7fff
	s_delay_alu instid0(VALU_DEP_1) | instskip(NEXT) | instid1(VALU_DEP_1)
	v_lshrrev_b32_e32 v3, 16, v3
	v_cndmask_b32_e32 v3, 0x7fc0, v3, vcc_lo
.LBB30_877:
	s_cbranch_execnz .LBB30_888
.LBB30_878:
	s_sext_i32_i16 s17, s10
	s_delay_alu instid0(SALU_CYCLE_1)
	s_cmp_lt_i32 s17, 6
	s_cbranch_scc1 .LBB30_881
; %bb.879:
	s_cmp_gt_i32 s17, 6
	s_cbranch_scc0 .LBB30_882
; %bb.880:
	s_wait_loadcnt 0x0
	global_load_b64 v[2:3], v[0:1], off
	s_mov_b32 s17, 0
	s_wait_loadcnt 0x0
	v_cvt_f32_f64_e32 v2, v[2:3]
	s_delay_alu instid0(VALU_DEP_1) | instskip(SKIP_1) | instid1(VALU_DEP_2)
	v_bfe_u32 v3, v2, 16, 1
	v_cmp_o_f32_e32 vcc_lo, v2, v2
	v_add3_u32 v3, v2, v3, 0x7fff
	s_delay_alu instid0(VALU_DEP_1) | instskip(NEXT) | instid1(VALU_DEP_1)
	v_lshrrev_b32_e32 v3, 16, v3
	v_cndmask_b32_e32 v3, 0x7fc0, v3, vcc_lo
	s_branch .LBB30_883
.LBB30_881:
	s_mov_b32 s17, -1
                                        ; implicit-def: $vgpr3
	s_branch .LBB30_886
.LBB30_882:
	s_mov_b32 s17, -1
                                        ; implicit-def: $vgpr3
.LBB30_883:
	s_delay_alu instid0(SALU_CYCLE_1)
	s_and_not1_b32 vcc_lo, exec_lo, s17
	s_cbranch_vccnz .LBB30_885
; %bb.884:
	s_wait_loadcnt 0x0
	global_load_b32 v2, v[0:1], off
	s_wait_loadcnt 0x0
	v_bfe_u32 v3, v2, 16, 1
	v_cmp_o_f32_e32 vcc_lo, v2, v2
	s_delay_alu instid0(VALU_DEP_2) | instskip(NEXT) | instid1(VALU_DEP_1)
	v_add3_u32 v3, v2, v3, 0x7fff
	v_lshrrev_b32_e32 v3, 16, v3
	s_delay_alu instid0(VALU_DEP_1)
	v_cndmask_b32_e32 v3, 0x7fc0, v3, vcc_lo
.LBB30_885:
	s_mov_b32 s17, 0
.LBB30_886:
	s_delay_alu instid0(SALU_CYCLE_1)
	s_and_not1_b32 vcc_lo, exec_lo, s17
	s_cbranch_vccnz .LBB30_888
; %bb.887:
	s_wait_loadcnt 0x0
	global_load_u16 v2, v[0:1], off
	s_wait_loadcnt 0x0
	v_cvt_f32_f16_e32 v3, v2
	v_cmp_o_f16_e32 vcc_lo, v2, v2
	s_delay_alu instid0(VALU_DEP_2) | instskip(NEXT) | instid1(VALU_DEP_1)
	v_bfe_u32 v5, v3, 16, 1
	v_add3_u32 v3, v3, v5, 0x7fff
	s_delay_alu instid0(VALU_DEP_1) | instskip(NEXT) | instid1(VALU_DEP_1)
	v_lshrrev_b32_e32 v3, 16, v3
	v_cndmask_b32_e32 v3, 0x7fc0, v3, vcc_lo
.LBB30_888:
	s_cbranch_execnz .LBB30_907
.LBB30_889:
	s_sext_i32_i16 s17, s10
	s_delay_alu instid0(SALU_CYCLE_1)
	s_cmp_lt_i32 s17, 2
	s_cbranch_scc1 .LBB30_893
; %bb.890:
	s_cmp_lt_i32 s17, 3
	s_cbranch_scc1 .LBB30_894
; %bb.891:
	s_cmp_gt_i32 s17, 3
	s_cbranch_scc0 .LBB30_895
; %bb.892:
	s_wait_loadcnt 0x0
	global_load_b64 v[2:3], v[0:1], off
	s_mov_b32 s17, 0
	s_wait_loadcnt 0x0
	v_xor_b32_e32 v5, v2, v3
	v_cls_i32_e32 v6, v3
	s_delay_alu instid0(VALU_DEP_2) | instskip(NEXT) | instid1(VALU_DEP_1)
	v_ashrrev_i32_e32 v5, 31, v5
	v_add_nc_u32_e32 v5, 32, v5
	s_delay_alu instid0(VALU_DEP_1) | instskip(NEXT) | instid1(VALU_DEP_1)
	v_add_min_u32_e64 v5, v6, -1, v5
	v_lshlrev_b64_e32 v[2:3], v5, v[2:3]
	s_delay_alu instid0(VALU_DEP_1) | instskip(NEXT) | instid1(VALU_DEP_1)
	v_min_u32_e32 v2, 1, v2
	v_dual_sub_nc_u32 v3, 32, v5 :: v_dual_bitop2_b32 v2, v3, v2 bitop3:0x54
	s_delay_alu instid0(VALU_DEP_1) | instskip(NEXT) | instid1(VALU_DEP_1)
	v_cvt_f32_i32_e32 v2, v2
	v_ldexp_f32 v2, v2, v3
	s_delay_alu instid0(VALU_DEP_1) | instskip(NEXT) | instid1(VALU_DEP_1)
	v_bfe_u32 v3, v2, 16, 1
	v_add3_u32 v2, v2, v3, 0x7fff
	s_delay_alu instid0(VALU_DEP_1)
	v_lshrrev_b32_e32 v3, 16, v2
	s_branch .LBB30_896
.LBB30_893:
                                        ; implicit-def: $vgpr3
	s_branch .LBB30_902
.LBB30_894:
	s_mov_b32 s17, -1
                                        ; implicit-def: $vgpr3
	s_branch .LBB30_899
.LBB30_895:
	s_mov_b32 s17, -1
                                        ; implicit-def: $vgpr3
.LBB30_896:
	s_delay_alu instid0(SALU_CYCLE_1)
	s_and_not1_b32 vcc_lo, exec_lo, s17
	s_cbranch_vccnz .LBB30_898
; %bb.897:
	s_wait_loadcnt 0x0
	global_load_b32 v2, v[0:1], off
	s_wait_loadcnt 0x0
	v_cvt_f32_i32_e32 v2, v2
	s_delay_alu instid0(VALU_DEP_1) | instskip(NEXT) | instid1(VALU_DEP_1)
	v_bfe_u32 v3, v2, 16, 1
	v_add3_u32 v2, v2, v3, 0x7fff
	s_delay_alu instid0(VALU_DEP_1)
	v_lshrrev_b32_e32 v3, 16, v2
.LBB30_898:
	s_mov_b32 s17, 0
.LBB30_899:
	s_delay_alu instid0(SALU_CYCLE_1)
	s_and_not1_b32 vcc_lo, exec_lo, s17
	s_cbranch_vccnz .LBB30_901
; %bb.900:
	s_wait_loadcnt 0x0
	global_load_i16 v2, v[0:1], off
	s_wait_loadcnt 0x0
	v_cvt_f32_i32_e32 v2, v2
	s_delay_alu instid0(VALU_DEP_1) | instskip(NEXT) | instid1(VALU_DEP_1)
	v_bfe_u32 v3, v2, 16, 1
	v_add3_u32 v2, v2, v3, 0x7fff
	s_delay_alu instid0(VALU_DEP_1)
	v_lshrrev_b32_e32 v3, 16, v2
.LBB30_901:
	s_cbranch_execnz .LBB30_907
.LBB30_902:
	s_sext_i32_i16 s17, s10
	s_delay_alu instid0(SALU_CYCLE_1)
	s_cmp_gt_i32 s17, 0
	s_mov_b32 s17, 0
	s_cbranch_scc0 .LBB30_904
; %bb.903:
	s_wait_loadcnt 0x0
	global_load_i8 v2, v[0:1], off
	s_wait_loadcnt 0x0
	v_cvt_f32_i32_e32 v2, v2
	s_delay_alu instid0(VALU_DEP_1) | instskip(NEXT) | instid1(VALU_DEP_1)
	v_bfe_u32 v3, v2, 16, 1
	v_add3_u32 v2, v2, v3, 0x7fff
	s_delay_alu instid0(VALU_DEP_1)
	v_lshrrev_b32_e32 v3, 16, v2
	s_branch .LBB30_905
.LBB30_904:
	s_mov_b32 s17, -1
                                        ; implicit-def: $vgpr3
.LBB30_905:
	s_delay_alu instid0(SALU_CYCLE_1)
	s_and_not1_b32 vcc_lo, exec_lo, s17
	s_cbranch_vccnz .LBB30_907
; %bb.906:
	global_load_u8 v0, v[0:1], off
	s_wait_loadcnt 0x0
	v_cvt_f32_ubyte0_e32 v0, v0
	s_delay_alu instid0(VALU_DEP_1) | instskip(NEXT) | instid1(VALU_DEP_1)
	v_bfe_u32 v1, v0, 16, 1
	v_add3_u32 v0, v0, v1, 0x7fff
	s_delay_alu instid0(VALU_DEP_1)
	v_lshrrev_b32_e32 v3, 16, v0
.LBB30_907:
	s_or_b32 s0, s0, exec_lo
.LBB30_908:
	s_wait_xcnt 0x0
	s_or_b32 exec_lo, exec_lo, s16
	s_mov_b32 s19, 0
	s_mov_b32 s18, 0
                                        ; implicit-def: $sgpr16
                                        ; implicit-def: $vgpr0_vgpr1
                                        ; implicit-def: $vgpr2
	s_and_saveexec_b32 s17, s0
	s_cbranch_execz .LBB30_983
; %bb.909:
	v_mul_lo_u32 v0, v4, s8
	s_wait_loadcnt 0x0
	v_lshlrev_b32_e32 v2, 16, v3
	s_and_b32 s16, s2, 0xff
	s_delay_alu instid0(VALU_DEP_2) | instskip(NEXT) | instid1(VALU_DEP_2)
	v_ashrrev_i32_e32 v1, 31, v0
	v_cmp_nle_f32_e32 vcc_lo, s13, v2
	v_cmp_nge_f32_e64 s0, s12, v2
	s_mov_b32 s13, -1
	v_add_nc_u64_e32 v[0:1], s[4:5], v[0:1]
	s_or_b32 vcc_lo, s0, vcc_lo
	s_cmp_lt_i32 s16, 11
	v_cndmask_b32_e32 v2, 0, v3, vcc_lo
	s_mov_b32 s0, s15
	s_cbranch_scc1 .LBB30_987
; %bb.910:
	s_and_b32 s12, 0xffff, s16
	s_mov_b32 s0, s15
	s_cmp_gt_i32 s12, 25
	s_cbranch_scc0 .LBB30_943
; %bb.911:
	s_cmp_gt_i32 s12, 28
	s_mov_b32 s0, s15
	s_cbranch_scc0 .LBB30_927
; %bb.912:
	s_cmp_gt_i32 s12, 43
	s_mov_b32 s0, s15
	;; [unrolled: 4-line block ×3, first 2 shown]
	s_cbranch_scc0 .LBB30_917
; %bb.914:
	s_cmp_eq_u32 s12, 46
	s_mov_b32 s0, -1
	s_cbranch_scc0 .LBB30_916
; %bb.915:
	v_and_b32_e32 v3, 0xffff, v2
	s_mov_b32 s0, 0
	global_store_b32 v[0:1], v3, off
.LBB30_916:
	s_mov_b32 s13, 0
.LBB30_917:
	s_delay_alu instid0(SALU_CYCLE_1)
	s_and_b32 vcc_lo, exec_lo, s13
	s_cbranch_vccz .LBB30_922
; %bb.918:
	s_cmp_eq_u32 s12, 44
	s_mov_b32 s0, -1
	s_cbranch_scc0 .LBB30_922
; %bb.919:
	s_wait_xcnt 0x0
	v_and_b32_e32 v3, 0xffff, v2
	v_mov_b32_e32 v4, 0xff
	s_mov_b32 s13, exec_lo
	s_delay_alu instid0(VALU_DEP_2) | instskip(NEXT) | instid1(VALU_DEP_1)
	v_bfe_u32 v5, v3, 7, 8
	v_cmpx_ne_u32_e32 0xff, v5
	s_cbranch_execz .LBB30_921
; %bb.920:
	v_dual_lshlrev_b32 v4, 16, v3 :: v_dual_bitop2_b32 v6, 64, v3 bitop3:0x40
	v_lshrrev_b32_e32 v3, 7, v3
	s_delay_alu instid0(VALU_DEP_2) | instskip(NEXT) | instid1(VALU_DEP_3)
	v_and_or_b32 v4, 0x3f0000, v4, v5
	v_cmp_ne_u32_e32 vcc_lo, 0, v6
	s_delay_alu instid0(VALU_DEP_2) | instskip(SKIP_1) | instid1(SALU_CYCLE_1)
	v_cmp_ne_u32_e64 s0, 0, v4
	s_and_b32 s0, vcc_lo, s0
	v_cndmask_b32_e64 v4, 0, 1, s0
	s_delay_alu instid0(VALU_DEP_1)
	v_add_nc_u32_e32 v4, v3, v4
.LBB30_921:
	s_or_b32 exec_lo, exec_lo, s13
	s_mov_b32 s0, 0
	global_store_b8 v[0:1], v4, off
.LBB30_922:
	s_mov_b32 s13, 0
.LBB30_923:
	s_delay_alu instid0(SALU_CYCLE_1)
	s_and_b32 vcc_lo, exec_lo, s13
	s_cbranch_vccz .LBB30_926
; %bb.924:
	s_cmp_eq_u32 s12, 29
	s_mov_b32 s0, -1
	s_cbranch_scc0 .LBB30_926
; %bb.925:
	s_wait_xcnt 0x0
	v_lshlrev_b32_e32 v3, 16, v2
	s_mov_b32 s0, 0
	s_delay_alu instid0(VALU_DEP_1) | instskip(NEXT) | instid1(VALU_DEP_1)
	v_trunc_f32_e32 v3, v3
	v_mul_f32_e32 v4, 0x2f800000, v3
	s_delay_alu instid0(VALU_DEP_1) | instskip(NEXT) | instid1(VALU_DEP_1)
	v_floor_f32_e32 v4, v4
	v_fmamk_f32 v3, v4, 0xcf800000, v3
	v_cvt_u32_f32_e32 v5, v4
	s_delay_alu instid0(VALU_DEP_2)
	v_cvt_u32_f32_e32 v4, v3
	global_store_b64 v[0:1], v[4:5], off
.LBB30_926:
	s_mov_b32 s13, 0
.LBB30_927:
	s_delay_alu instid0(SALU_CYCLE_1)
	s_and_b32 vcc_lo, exec_lo, s13
	s_cbranch_vccz .LBB30_942
; %bb.928:
	s_cmp_lt_i32 s12, 27
	s_mov_b32 s13, -1
	s_cbranch_scc1 .LBB30_934
; %bb.929:
	s_cmp_gt_i32 s12, 27
	s_cbranch_scc0 .LBB30_931
; %bb.930:
	s_wait_xcnt 0x0
	v_lshlrev_b32_e32 v3, 16, v2
	s_mov_b32 s13, 0
	s_delay_alu instid0(VALU_DEP_1)
	v_cvt_u32_f32_e32 v3, v3
	global_store_b32 v[0:1], v3, off
.LBB30_931:
	s_and_not1_b32 vcc_lo, exec_lo, s13
	s_cbranch_vccnz .LBB30_933
; %bb.932:
	s_wait_xcnt 0x0
	v_lshlrev_b32_e32 v3, 16, v2
	s_delay_alu instid0(VALU_DEP_1)
	v_cvt_u32_f32_e32 v3, v3
	global_store_b16 v[0:1], v3, off
.LBB30_933:
	s_mov_b32 s13, 0
.LBB30_934:
	s_delay_alu instid0(SALU_CYCLE_1)
	s_and_not1_b32 vcc_lo, exec_lo, s13
	s_cbranch_vccnz .LBB30_942
; %bb.935:
	s_wait_xcnt 0x0
	v_dual_mov_b32 v6, 0x80 :: v_dual_lshlrev_b32 v5, 16, v2
	s_mov_b32 s13, exec_lo
	s_delay_alu instid0(VALU_DEP_1) | instskip(NEXT) | instid1(VALU_DEP_1)
	v_and_b32_e32 v4, 0x7fffffff, v5
	v_cmpx_gt_u32_e32 0x43800000, v4
	s_cbranch_execz .LBB30_941
; %bb.936:
	v_and_b32_e32 v3, 0xffff, v2
	v_cmp_lt_u32_e32 vcc_lo, 0x3bffffff, v4
                                        ; implicit-def: $vgpr4
	s_and_saveexec_b32 s19, vcc_lo
	s_delay_alu instid0(SALU_CYCLE_1)
	s_xor_b32 s19, exec_lo, s19
	s_cbranch_execz .LBB30_1042
; %bb.937:
	v_bfe_u32 v4, v3, 4, 1
	s_mov_b32 s18, exec_lo
	s_delay_alu instid0(VALU_DEP_1) | instskip(NEXT) | instid1(VALU_DEP_1)
	v_add3_u32 v4, v5, v4, 0x487ffff
                                        ; implicit-def: $vgpr5
	v_lshrrev_b32_e32 v4, 20, v4
	s_and_not1_saveexec_b32 s19, s19
	s_cbranch_execnz .LBB30_1043
.LBB30_938:
	s_or_b32 exec_lo, exec_lo, s19
	v_mov_b32_e32 v6, 0
	s_and_saveexec_b32 s19, s18
.LBB30_939:
	v_lshrrev_b32_e32 v3, 8, v3
	s_delay_alu instid0(VALU_DEP_1)
	v_and_or_b32 v6, 0x80, v3, v4
.LBB30_940:
	s_or_b32 exec_lo, exec_lo, s19
.LBB30_941:
	s_delay_alu instid0(SALU_CYCLE_1)
	s_or_b32 exec_lo, exec_lo, s13
	global_store_b8 v[0:1], v6, off
.LBB30_942:
	s_mov_b32 s13, 0
.LBB30_943:
	s_delay_alu instid0(SALU_CYCLE_1)
	s_and_b32 vcc_lo, exec_lo, s13
	s_mov_b32 s13, 0
	s_cbranch_vccz .LBB30_986
; %bb.944:
	s_cmp_gt_i32 s12, 22
	s_mov_b32 s18, -1
	s_cbranch_scc0 .LBB30_976
; %bb.945:
	s_cmp_lt_i32 s12, 24
	s_cbranch_scc1 .LBB30_965
; %bb.946:
	s_cmp_gt_i32 s12, 24
	s_cbranch_scc0 .LBB30_954
; %bb.947:
	s_wait_xcnt 0x0
	v_dual_mov_b32 v6, 0x80 :: v_dual_lshlrev_b32 v5, 16, v2
	s_mov_b32 s18, exec_lo
	s_delay_alu instid0(VALU_DEP_1) | instskip(NEXT) | instid1(VALU_DEP_1)
	v_and_b32_e32 v4, 0x7fffffff, v5
	v_cmpx_gt_u32_e32 0x47800000, v4
	s_cbranch_execz .LBB30_953
; %bb.948:
	v_and_b32_e32 v3, 0xffff, v2
	v_cmp_lt_u32_e32 vcc_lo, 0x37ffffff, v4
	s_mov_b32 s19, 0
                                        ; implicit-def: $vgpr4
	s_and_saveexec_b32 s20, vcc_lo
	s_delay_alu instid0(SALU_CYCLE_1)
	s_xor_b32 s20, exec_lo, s20
	s_cbranch_execz .LBB30_1168
; %bb.949:
	v_bfe_u32 v4, v3, 5, 1
	s_mov_b32 s19, exec_lo
	s_delay_alu instid0(VALU_DEP_1) | instskip(NEXT) | instid1(VALU_DEP_1)
	v_add3_u32 v4, v5, v4, 0x88fffff
                                        ; implicit-def: $vgpr5
	v_lshrrev_b32_e32 v4, 21, v4
	s_and_not1_saveexec_b32 s20, s20
	s_cbranch_execnz .LBB30_1169
.LBB30_950:
	s_or_b32 exec_lo, exec_lo, s20
	v_mov_b32_e32 v6, 0
	s_and_saveexec_b32 s20, s19
.LBB30_951:
	v_lshrrev_b32_e32 v3, 8, v3
	s_delay_alu instid0(VALU_DEP_1)
	v_and_or_b32 v6, 0x80, v3, v4
.LBB30_952:
	s_or_b32 exec_lo, exec_lo, s20
.LBB30_953:
	s_delay_alu instid0(SALU_CYCLE_1)
	s_or_b32 exec_lo, exec_lo, s18
	s_mov_b32 s18, 0
	global_store_b8 v[0:1], v6, off
.LBB30_954:
	s_and_b32 vcc_lo, exec_lo, s18
	s_cbranch_vccz .LBB30_964
; %bb.955:
	s_wait_xcnt 0x0
	v_lshlrev_b32_e32 v5, 16, v2
	v_and_b32_e32 v3, 0xffff, v2
	s_mov_b32 s18, exec_lo
                                        ; implicit-def: $vgpr4
	s_delay_alu instid0(VALU_DEP_2) | instskip(NEXT) | instid1(VALU_DEP_1)
	v_and_b32_e32 v6, 0x7fffffff, v5
	v_cmpx_gt_u32_e32 0x43f00000, v6
	s_xor_b32 s18, exec_lo, s18
	s_cbranch_execz .LBB30_961
; %bb.956:
	s_mov_b32 s19, exec_lo
                                        ; implicit-def: $vgpr4
	v_cmpx_lt_u32_e32 0x3c7fffff, v6
	s_xor_b32 s19, exec_lo, s19
; %bb.957:
	v_bfe_u32 v4, v3, 4, 1
	s_delay_alu instid0(VALU_DEP_1) | instskip(NEXT) | instid1(VALU_DEP_1)
	v_add3_u32 v4, v5, v4, 0x407ffff
	v_and_b32_e32 v5, 0xff00000, v4
	v_lshrrev_b32_e32 v4, 20, v4
	s_delay_alu instid0(VALU_DEP_2) | instskip(NEXT) | instid1(VALU_DEP_2)
	v_cmp_ne_u32_e32 vcc_lo, 0x7f00000, v5
                                        ; implicit-def: $vgpr5
	v_cndmask_b32_e32 v4, 0x7e, v4, vcc_lo
; %bb.958:
	s_and_not1_saveexec_b32 s19, s19
; %bb.959:
	v_add_f32_e64 v4, 0x46800000, |v5|
; %bb.960:
	s_or_b32 exec_lo, exec_lo, s19
                                        ; implicit-def: $vgpr6
.LBB30_961:
	s_and_not1_saveexec_b32 s18, s18
; %bb.962:
	v_mov_b32_e32 v4, 0x7f
	v_cmp_lt_u32_e32 vcc_lo, 0x7f800000, v6
	s_delay_alu instid0(VALU_DEP_2)
	v_cndmask_b32_e32 v4, 0x7e, v4, vcc_lo
; %bb.963:
	s_or_b32 exec_lo, exec_lo, s18
	v_lshrrev_b32_e32 v3, 8, v3
	s_delay_alu instid0(VALU_DEP_1)
	v_and_or_b32 v3, 0x80, v3, v4
	global_store_b8 v[0:1], v3, off
.LBB30_964:
	s_mov_b32 s18, 0
.LBB30_965:
	s_delay_alu instid0(SALU_CYCLE_1)
	s_and_not1_b32 vcc_lo, exec_lo, s18
	s_cbranch_vccnz .LBB30_975
; %bb.966:
	s_wait_xcnt 0x0
	v_lshlrev_b32_e32 v5, 16, v2
	v_and_b32_e32 v3, 0xffff, v2
	s_mov_b32 s18, exec_lo
                                        ; implicit-def: $vgpr4
	s_delay_alu instid0(VALU_DEP_2) | instskip(NEXT) | instid1(VALU_DEP_1)
	v_and_b32_e32 v6, 0x7fffffff, v5
	v_cmpx_gt_u32_e32 0x47800000, v6
	s_xor_b32 s18, exec_lo, s18
	s_cbranch_execz .LBB30_972
; %bb.967:
	s_mov_b32 s19, exec_lo
                                        ; implicit-def: $vgpr4
	v_cmpx_lt_u32_e32 0x387fffff, v6
	s_xor_b32 s19, exec_lo, s19
; %bb.968:
	v_bfe_u32 v4, v3, 5, 1
	s_delay_alu instid0(VALU_DEP_1) | instskip(NEXT) | instid1(VALU_DEP_1)
	v_add3_u32 v4, v5, v4, 0x80fffff
                                        ; implicit-def: $vgpr5
	v_lshrrev_b32_e32 v4, 21, v4
; %bb.969:
	s_and_not1_saveexec_b32 s19, s19
; %bb.970:
	v_add_f32_e64 v4, 0x43000000, |v5|
; %bb.971:
	s_or_b32 exec_lo, exec_lo, s19
                                        ; implicit-def: $vgpr6
.LBB30_972:
	s_and_not1_saveexec_b32 s18, s18
; %bb.973:
	v_mov_b32_e32 v4, 0x7f
	v_cmp_lt_u32_e32 vcc_lo, 0x7f800000, v6
	s_delay_alu instid0(VALU_DEP_2)
	v_cndmask_b32_e32 v4, 0x7c, v4, vcc_lo
; %bb.974:
	s_or_b32 exec_lo, exec_lo, s18
	v_lshrrev_b32_e32 v3, 8, v3
	s_delay_alu instid0(VALU_DEP_1)
	v_and_or_b32 v3, 0x80, v3, v4
	global_store_b8 v[0:1], v3, off
.LBB30_975:
	s_mov_b32 s18, 0
.LBB30_976:
	s_delay_alu instid0(SALU_CYCLE_1)
	s_and_not1_b32 vcc_lo, exec_lo, s18
	s_mov_b32 s19, 0
	s_cbranch_vccnz .LBB30_987
; %bb.977:
	s_cmp_gt_i32 s12, 14
	s_mov_b32 s18, -1
	s_cbranch_scc0 .LBB30_981
; %bb.978:
	s_cmp_eq_u32 s12, 15
	s_mov_b32 s0, -1
	s_cbranch_scc0 .LBB30_980
; %bb.979:
	s_mov_b32 s0, 0
	global_store_b16 v[0:1], v2, off
.LBB30_980:
	s_mov_b32 s18, 0
.LBB30_981:
	s_delay_alu instid0(SALU_CYCLE_1)
	s_and_b32 vcc_lo, exec_lo, s18
	s_cbranch_vccz .LBB30_987
; %bb.982:
	s_cmp_lg_u32 s12, 11
	s_mov_b32 s19, -1
	s_cselect_b32 s12, -1, 0
	s_and_not1_b32 s0, s0, exec_lo
	s_and_b32 s12, s12, exec_lo
	s_delay_alu instid0(SALU_CYCLE_1)
	s_or_b32 s0, s0, s12
	s_branch .LBB30_987
.LBB30_983:
	s_or_b32 exec_lo, exec_lo, s17
	s_and_saveexec_b32 s0, s15
	s_cbranch_execnz .LBB30_988
.LBB30_984:
	s_or_b32 exec_lo, exec_lo, s0
	s_and_saveexec_b32 s0, s19
	s_delay_alu instid0(SALU_CYCLE_1)
	s_xor_b32 s0, exec_lo, s0
	s_cbranch_execz .LBB30_989
.LBB30_985:
	s_wait_loadcnt 0x0
	v_and_b32_e32 v3, 0x7fff, v2
	s_delay_alu instid0(VALU_DEP_1)
	v_cmp_ne_u16_e32 vcc_lo, 0, v3
	v_cndmask_b32_e64 v3, 0, 1, vcc_lo
	global_store_b8 v[0:1], v3, off
	s_wait_xcnt 0x0
	s_or_b32 exec_lo, exec_lo, s0
	s_and_saveexec_b32 s0, s18
	s_delay_alu instid0(SALU_CYCLE_1)
	s_xor_b32 s0, exec_lo, s0
	s_cbranch_execz .LBB30_1027
	s_branch .LBB30_990
.LBB30_986:
	s_mov_b32 s19, 0
.LBB30_987:
	s_and_not1_b32 s12, s15, exec_lo
	s_and_b32 s0, s0, exec_lo
	s_and_b32 s18, s13, exec_lo
	;; [unrolled: 1-line block ×3, first 2 shown]
	s_or_b32 s15, s12, s0
	s_wait_xcnt 0x0
	s_or_b32 exec_lo, exec_lo, s17
	s_and_saveexec_b32 s0, s15
	s_cbranch_execz .LBB30_984
.LBB30_988:
	s_or_b32 s14, s14, exec_lo
	s_and_not1_b32 s19, s19, exec_lo
	s_trap 2
	s_or_b32 exec_lo, exec_lo, s0
	s_and_saveexec_b32 s0, s19
	s_delay_alu instid0(SALU_CYCLE_1)
	s_xor_b32 s0, exec_lo, s0
	s_cbranch_execnz .LBB30_985
.LBB30_989:
	s_or_b32 exec_lo, exec_lo, s0
	s_and_saveexec_b32 s0, s18
	s_delay_alu instid0(SALU_CYCLE_1)
	s_xor_b32 s0, exec_lo, s0
	s_cbranch_execz .LBB30_1027
.LBB30_990:
	s_sext_i32_i16 s13, s16
	s_mov_b32 s12, -1
	s_cmp_lt_i32 s13, 5
	s_cbranch_scc1 .LBB30_1011
; %bb.991:
	s_cmp_lt_i32 s13, 8
	s_cbranch_scc1 .LBB30_1001
; %bb.992:
	;; [unrolled: 3-line block ×3, first 2 shown]
	s_cmp_gt_i32 s13, 9
	s_cbranch_scc0 .LBB30_995
; %bb.994:
	s_wait_loadcnt 0x0
	v_dual_mov_b32 v6, 0 :: v_dual_lshlrev_b32 v3, 16, v2
	s_mov_b32 s12, 0
	s_delay_alu instid0(VALU_DEP_1) | instskip(NEXT) | instid1(VALU_DEP_2)
	v_cvt_f64_f32_e32 v[4:5], v3
	v_mov_b32_e32 v7, v6
	global_store_b128 v[0:1], v[4:7], off
.LBB30_995:
	s_and_not1_b32 vcc_lo, exec_lo, s12
	s_cbranch_vccnz .LBB30_997
; %bb.996:
	s_wait_loadcnt 0x0
	v_dual_mov_b32 v5, 0 :: v_dual_lshlrev_b32 v4, 16, v2
	global_store_b64 v[0:1], v[4:5], off
.LBB30_997:
	s_mov_b32 s12, 0
.LBB30_998:
	s_delay_alu instid0(SALU_CYCLE_1)
	s_and_not1_b32 vcc_lo, exec_lo, s12
	s_cbranch_vccnz .LBB30_1000
; %bb.999:
	s_wait_loadcnt 0x0
	v_lshlrev_b32_e32 v3, 16, v2
	s_delay_alu instid0(VALU_DEP_1) | instskip(NEXT) | instid1(VALU_DEP_1)
	v_cvt_f16_f32_e32 v3, v3
	v_and_b32_e32 v3, 0xffff, v3
	global_store_b32 v[0:1], v3, off
.LBB30_1000:
	s_mov_b32 s12, 0
.LBB30_1001:
	s_delay_alu instid0(SALU_CYCLE_1)
	s_and_not1_b32 vcc_lo, exec_lo, s12
	s_cbranch_vccnz .LBB30_1010
; %bb.1002:
	s_sext_i32_i16 s13, s16
	s_mov_b32 s12, -1
	s_cmp_lt_i32 s13, 6
	s_cbranch_scc1 .LBB30_1008
; %bb.1003:
	s_cmp_gt_i32 s13, 6
	s_cbranch_scc0 .LBB30_1005
; %bb.1004:
	s_wait_loadcnt 0x0
	v_lshlrev_b32_e32 v3, 16, v2
	s_mov_b32 s12, 0
	s_delay_alu instid0(VALU_DEP_1)
	v_cvt_f64_f32_e32 v[4:5], v3
	global_store_b64 v[0:1], v[4:5], off
.LBB30_1005:
	s_and_not1_b32 vcc_lo, exec_lo, s12
	s_cbranch_vccnz .LBB30_1007
; %bb.1006:
	s_wait_loadcnt 0x0
	v_lshlrev_b32_e32 v3, 16, v2
	global_store_b32 v[0:1], v3, off
.LBB30_1007:
	s_mov_b32 s12, 0
.LBB30_1008:
	s_delay_alu instid0(SALU_CYCLE_1)
	s_and_not1_b32 vcc_lo, exec_lo, s12
	s_cbranch_vccnz .LBB30_1010
; %bb.1009:
	s_wait_loadcnt 0x0
	v_lshlrev_b32_e32 v3, 16, v2
	s_delay_alu instid0(VALU_DEP_1)
	v_cvt_f16_f32_e32 v3, v3
	global_store_b16 v[0:1], v3, off
.LBB30_1010:
	s_mov_b32 s12, 0
.LBB30_1011:
	s_delay_alu instid0(SALU_CYCLE_1)
	s_and_not1_b32 vcc_lo, exec_lo, s12
	s_cbranch_vccnz .LBB30_1027
; %bb.1012:
	s_sext_i32_i16 s13, s16
	s_mov_b32 s12, -1
	s_cmp_lt_i32 s13, 2
	s_cbranch_scc1 .LBB30_1022
; %bb.1013:
	s_cmp_lt_i32 s13, 3
	s_cbranch_scc1 .LBB30_1019
; %bb.1014:
	s_cmp_gt_i32 s13, 3
	s_cbranch_scc0 .LBB30_1016
; %bb.1015:
	s_wait_loadcnt 0x0
	v_lshlrev_b32_e32 v3, 16, v2
	s_mov_b32 s12, 0
	s_delay_alu instid0(VALU_DEP_1) | instskip(NEXT) | instid1(VALU_DEP_1)
	v_trunc_f32_e32 v3, v3
	v_mul_f32_e64 v4, 0x2f800000, |v3|
	s_delay_alu instid0(VALU_DEP_1) | instskip(SKIP_1) | instid1(VALU_DEP_2)
	v_floor_f32_e32 v5, v4
	v_ashrrev_i32_e32 v4, 31, v3
	v_fma_f32 v6, 0xcf800000, v5, |v3|
	v_cvt_u32_f32_e32 v3, v5
	s_delay_alu instid0(VALU_DEP_3) | instskip(NEXT) | instid1(VALU_DEP_3)
	v_mov_b32_e32 v5, v4
	v_cvt_u32_f32_e32 v6, v6
	s_delay_alu instid0(VALU_DEP_3) | instskip(NEXT) | instid1(VALU_DEP_2)
	v_xor_b32_e32 v7, v3, v4
	v_xor_b32_e32 v6, v6, v4
	s_delay_alu instid0(VALU_DEP_1)
	v_sub_nc_u64_e32 v[4:5], v[6:7], v[4:5]
	global_store_b64 v[0:1], v[4:5], off
.LBB30_1016:
	s_and_not1_b32 vcc_lo, exec_lo, s12
	s_cbranch_vccnz .LBB30_1018
; %bb.1017:
	s_wait_loadcnt 0x0
	v_lshlrev_b32_e32 v3, 16, v2
	s_delay_alu instid0(VALU_DEP_1)
	v_cvt_i32_f32_e32 v3, v3
	global_store_b32 v[0:1], v3, off
.LBB30_1018:
	s_mov_b32 s12, 0
.LBB30_1019:
	s_delay_alu instid0(SALU_CYCLE_1)
	s_and_not1_b32 vcc_lo, exec_lo, s12
	s_cbranch_vccnz .LBB30_1021
; %bb.1020:
	s_wait_loadcnt 0x0
	v_lshlrev_b32_e32 v3, 16, v2
	s_delay_alu instid0(VALU_DEP_1)
	v_cvt_i32_f32_e32 v3, v3
	global_store_b16 v[0:1], v3, off
.LBB30_1021:
	s_mov_b32 s12, 0
.LBB30_1022:
	s_delay_alu instid0(SALU_CYCLE_1)
	s_and_not1_b32 vcc_lo, exec_lo, s12
	s_cbranch_vccnz .LBB30_1027
; %bb.1023:
	s_wait_loadcnt 0x0
	v_lshlrev_b32_e32 v2, 16, v2
	s_sext_i32_i16 s12, s16
	s_delay_alu instid0(SALU_CYCLE_1)
	s_cmp_gt_i32 s12, 0
	s_mov_b32 s12, -1
	s_cbranch_scc0 .LBB30_1025
; %bb.1024:
	s_wait_xcnt 0x0
	v_cvt_i32_f32_e32 v3, v2
	s_mov_b32 s12, 0
	global_store_b8 v[0:1], v3, off
.LBB30_1025:
	s_and_not1_b32 vcc_lo, exec_lo, s12
	s_cbranch_vccnz .LBB30_1027
; %bb.1026:
	v_trunc_f32_e32 v2, v2
	s_wait_xcnt 0x0
	s_delay_alu instid0(VALU_DEP_1) | instskip(NEXT) | instid1(VALU_DEP_1)
	v_mul_f32_e64 v3, 0x2f800000, |v2|
	v_floor_f32_e32 v3, v3
	s_delay_alu instid0(VALU_DEP_1) | instskip(SKIP_1) | instid1(VALU_DEP_2)
	v_fma_f32 v3, 0xcf800000, v3, |v2|
	v_ashrrev_i32_e32 v2, 31, v2
	v_cvt_u32_f32_e32 v3, v3
	s_delay_alu instid0(VALU_DEP_1) | instskip(NEXT) | instid1(VALU_DEP_1)
	v_xor_b32_e32 v3, v3, v2
	v_sub_nc_u32_e32 v2, v3, v2
	global_store_b8 v[0:1], v2, off
.LBB30_1027:
	s_wait_xcnt 0x0
	s_or_b32 exec_lo, exec_lo, s0
	s_delay_alu instid0(SALU_CYCLE_1)
	s_and_b32 s12, s14, exec_lo
                                        ; implicit-def: $vgpr4
.LBB30_1028:
	s_or_saveexec_b32 s11, s11
	s_mov_b32 s0, 0
                                        ; implicit-def: $sgpr13
                                        ; implicit-def: $vgpr0_vgpr1
                                        ; implicit-def: $vgpr2
	s_xor_b32 exec_lo, exec_lo, s11
	s_cbranch_execz .LBB30_1977
; %bb.1029:
	v_mul_lo_u32 v0, s9, v4
	s_and_b32 s0, 0xffff, s10
	s_delay_alu instid0(SALU_CYCLE_1) | instskip(NEXT) | instid1(VALU_DEP_1)
	s_cmp_lt_i32 s0, 11
	v_ashrrev_i32_e32 v1, 31, v0
	s_wait_loadcnt 0x0
	s_delay_alu instid0(VALU_DEP_1)
	v_add_nc_u64_e32 v[2:3], s[6:7], v[0:1]
	s_cbranch_scc1 .LBB30_1036
; %bb.1030:
	s_cmp_gt_i32 s0, 25
	s_mov_b32 s10, 0
	s_cbranch_scc0 .LBB30_1038
; %bb.1031:
	s_cmp_gt_i32 s0, 28
	s_cbranch_scc0 .LBB30_1039
; %bb.1032:
	s_cmp_gt_i32 s0, 43
	;; [unrolled: 3-line block ×3, first 2 shown]
	s_cbranch_scc0 .LBB30_1041
; %bb.1034:
	s_cmp_eq_u32 s0, 46
	s_mov_b32 s14, 0
	s_cbranch_scc0 .LBB30_1044
; %bb.1035:
	global_load_b32 v5, v[2:3], off
	s_mov_b32 s13, -1
	s_branch .LBB30_1046
.LBB30_1036:
	s_mov_b32 s13, 0
	s_mov_b32 s3, s12
                                        ; implicit-def: $vgpr5
	s_cbranch_execnz .LBB30_1109
.LBB30_1037:
	s_and_not1_b32 vcc_lo, exec_lo, s13
	s_cbranch_vccz .LBB30_1154
	s_branch .LBB30_1975
.LBB30_1038:
	s_mov_b32 s13, 0
                                        ; implicit-def: $vgpr5
	s_cbranch_execnz .LBB30_1074
	s_branch .LBB30_1105
.LBB30_1039:
	s_mov_b32 s14, -1
	s_mov_b32 s13, 0
                                        ; implicit-def: $vgpr5
	s_branch .LBB30_1055
.LBB30_1040:
	s_mov_b32 s13, 0
                                        ; implicit-def: $vgpr5
	s_cbranch_execnz .LBB30_1051
	s_branch .LBB30_1054
.LBB30_1041:
	s_mov_b32 s14, -1
	s_branch .LBB30_1045
.LBB30_1042:
	s_and_not1_saveexec_b32 s19, s19
	s_cbranch_execz .LBB30_938
.LBB30_1043:
	v_add_f32_e64 v4, 0x46000000, |v5|
	s_and_not1_b32 s18, s18, exec_lo
	s_delay_alu instid0(VALU_DEP_1) | instskip(NEXT) | instid1(VALU_DEP_1)
	v_and_b32_e32 v4, 0xff, v4
	v_cmp_ne_u32_e32 vcc_lo, 0, v4
	s_and_b32 s20, vcc_lo, exec_lo
	s_delay_alu instid0(SALU_CYCLE_1)
	s_or_b32 s18, s18, s20
	s_or_b32 exec_lo, exec_lo, s19
	v_mov_b32_e32 v6, 0
	s_and_saveexec_b32 s19, s18
	s_cbranch_execnz .LBB30_939
	s_branch .LBB30_940
.LBB30_1044:
	s_mov_b32 s3, -1
.LBB30_1045:
	s_mov_b32 s13, 0
                                        ; implicit-def: $vgpr5
.LBB30_1046:
	s_and_b32 vcc_lo, exec_lo, s14
	s_cbranch_vccz .LBB30_1049
; %bb.1047:
	s_cmp_eq_u32 s0, 44
	s_cbranch_scc0 .LBB30_1050
; %bb.1048:
	global_load_u8 v1, v[2:3], off
	s_mov_b32 s3, 0
	s_mov_b32 s13, -1
	s_wait_loadcnt 0x0
	v_lshlrev_b32_e32 v5, 23, v1
	v_cmp_ne_u32_e32 vcc_lo, 0xff, v1
	s_delay_alu instid0(VALU_DEP_2) | instskip(SKIP_1) | instid1(VALU_DEP_2)
	v_cndmask_b32_e32 v5, 0x7f800001, v5, vcc_lo
	v_cmp_ne_u32_e32 vcc_lo, 0, v1
	v_cndmask_b32_e32 v1, 0x400000, v5, vcc_lo
	s_delay_alu instid0(VALU_DEP_1) | instskip(SKIP_1) | instid1(VALU_DEP_2)
	v_add_nc_u32_e32 v5, 0x7fff, v1
	v_cmp_o_f32_e32 vcc_lo, v1, v1
	v_lshrrev_b32_e32 v5, 16, v5
	s_delay_alu instid0(VALU_DEP_1)
	v_cndmask_b32_e32 v5, 0x7fc0, v5, vcc_lo
.LBB30_1049:
	s_branch .LBB30_1054
.LBB30_1050:
	s_mov_b32 s3, -1
                                        ; implicit-def: $vgpr5
	s_branch .LBB30_1054
.LBB30_1051:
	s_cmp_eq_u32 s0, 29
	s_cbranch_scc0 .LBB30_1053
; %bb.1052:
	global_load_b64 v[6:7], v[2:3], off
	s_mov_b32 s3, 0
	s_mov_b32 s13, -1
	s_mov_b32 s14, 0
	s_wait_loadcnt 0x0
	v_clz_i32_u32_e32 v1, v7
	s_delay_alu instid0(VALU_DEP_1) | instskip(NEXT) | instid1(VALU_DEP_1)
	v_min_u32_e32 v1, 32, v1
	v_lshlrev_b64_e32 v[6:7], v1, v[6:7]
	v_sub_nc_u32_e32 v1, 32, v1
	s_delay_alu instid0(VALU_DEP_2) | instskip(NEXT) | instid1(VALU_DEP_1)
	v_min_u32_e32 v5, 1, v6
	v_or_b32_e32 v5, v7, v5
	s_delay_alu instid0(VALU_DEP_1) | instskip(NEXT) | instid1(VALU_DEP_1)
	v_cvt_f32_u32_e32 v5, v5
	v_ldexp_f32 v1, v5, v1
	s_delay_alu instid0(VALU_DEP_1) | instskip(NEXT) | instid1(VALU_DEP_1)
	v_bfe_u32 v5, v1, 16, 1
	v_add3_u32 v1, v1, v5, 0x7fff
	s_delay_alu instid0(VALU_DEP_1)
	v_lshrrev_b32_e32 v5, 16, v1
	s_branch .LBB30_1055
.LBB30_1053:
	s_mov_b32 s3, -1
                                        ; implicit-def: $vgpr5
.LBB30_1054:
	s_mov_b32 s14, 0
.LBB30_1055:
	s_delay_alu instid0(SALU_CYCLE_1)
	s_and_b32 vcc_lo, exec_lo, s14
	s_cbranch_vccz .LBB30_1073
; %bb.1056:
	s_cmp_lt_i32 s0, 27
	s_cbranch_scc1 .LBB30_1059
; %bb.1057:
	s_cmp_gt_i32 s0, 27
	s_cbranch_scc0 .LBB30_1060
; %bb.1058:
	global_load_b32 v1, v[2:3], off
	s_mov_b32 s13, 0
	s_wait_loadcnt 0x0
	v_cvt_f32_u32_e32 v1, v1
	s_delay_alu instid0(VALU_DEP_1) | instskip(NEXT) | instid1(VALU_DEP_1)
	v_bfe_u32 v5, v1, 16, 1
	v_add3_u32 v1, v1, v5, 0x7fff
	s_delay_alu instid0(VALU_DEP_1)
	v_lshrrev_b32_e32 v5, 16, v1
	s_branch .LBB30_1061
.LBB30_1059:
	s_mov_b32 s13, -1
                                        ; implicit-def: $vgpr5
	s_branch .LBB30_1064
.LBB30_1060:
	s_mov_b32 s13, -1
                                        ; implicit-def: $vgpr5
.LBB30_1061:
	s_delay_alu instid0(SALU_CYCLE_1)
	s_and_not1_b32 vcc_lo, exec_lo, s13
	s_cbranch_vccnz .LBB30_1063
; %bb.1062:
	global_load_u16 v1, v[2:3], off
	s_wait_loadcnt 0x0
	v_cvt_f32_u32_e32 v1, v1
	s_delay_alu instid0(VALU_DEP_1) | instskip(NEXT) | instid1(VALU_DEP_1)
	v_bfe_u32 v5, v1, 16, 1
	v_add3_u32 v1, v1, v5, 0x7fff
	s_delay_alu instid0(VALU_DEP_1)
	v_lshrrev_b32_e32 v5, 16, v1
.LBB30_1063:
	s_mov_b32 s13, 0
.LBB30_1064:
	s_delay_alu instid0(SALU_CYCLE_1)
	s_and_not1_b32 vcc_lo, exec_lo, s13
	s_cbranch_vccnz .LBB30_1072
; %bb.1065:
	global_load_u8 v1, v[2:3], off
	s_mov_b32 s13, 0
	s_mov_b32 s14, exec_lo
	s_wait_loadcnt 0x0
	v_cmpx_lt_i16_e32 0x7f, v1
	s_xor_b32 s14, exec_lo, s14
	s_cbranch_execz .LBB30_1085
; %bb.1066:
	s_mov_b32 s13, -1
	s_mov_b32 s15, exec_lo
	v_cmpx_eq_u16_e32 0x80, v1
; %bb.1067:
	s_xor_b32 s13, exec_lo, -1
; %bb.1068:
	s_or_b32 exec_lo, exec_lo, s15
	s_delay_alu instid0(SALU_CYCLE_1)
	s_and_b32 s13, s13, exec_lo
	s_or_saveexec_b32 s14, s14
	v_mov_b32_e32 v5, 0x7f800001
	s_xor_b32 exec_lo, exec_lo, s14
	s_cbranch_execnz .LBB30_1086
.LBB30_1069:
	s_or_b32 exec_lo, exec_lo, s14
	s_and_saveexec_b32 s14, s13
	s_cbranch_execz .LBB30_1071
.LBB30_1070:
	v_and_b32_e32 v5, 0xffff, v1
	s_delay_alu instid0(VALU_DEP_1) | instskip(SKIP_1) | instid1(VALU_DEP_2)
	v_and_b32_e32 v6, 7, v5
	v_bfe_u32 v9, v5, 3, 4
	v_clz_i32_u32_e32 v7, v6
	s_delay_alu instid0(VALU_DEP_2) | instskip(NEXT) | instid1(VALU_DEP_2)
	v_cmp_eq_u32_e32 vcc_lo, 0, v9
	v_min_u32_e32 v7, 32, v7
	s_delay_alu instid0(VALU_DEP_1) | instskip(NEXT) | instid1(VALU_DEP_1)
	v_subrev_nc_u32_e32 v8, 28, v7
	v_dual_lshlrev_b32 v5, v8, v5 :: v_dual_sub_nc_u32 v7, 29, v7
	s_delay_alu instid0(VALU_DEP_1) | instskip(NEXT) | instid1(VALU_DEP_2)
	v_and_b32_e32 v5, 7, v5
	v_dual_lshlrev_b32 v1, 24, v1 :: v_dual_cndmask_b32 v7, v9, v7, vcc_lo
	s_delay_alu instid0(VALU_DEP_2) | instskip(NEXT) | instid1(VALU_DEP_2)
	v_cndmask_b32_e32 v5, v6, v5, vcc_lo
	v_and_b32_e32 v1, 0x80000000, v1
	s_delay_alu instid0(VALU_DEP_3) | instskip(NEXT) | instid1(VALU_DEP_3)
	v_lshl_add_u32 v6, v7, 23, 0x3b800000
	v_lshlrev_b32_e32 v5, 20, v5
	s_delay_alu instid0(VALU_DEP_1)
	v_or3_b32 v5, v1, v6, v5
.LBB30_1071:
	s_or_b32 exec_lo, exec_lo, s14
	s_delay_alu instid0(VALU_DEP_1) | instskip(SKIP_1) | instid1(VALU_DEP_2)
	v_bfe_u32 v1, v5, 16, 1
	v_cmp_o_f32_e32 vcc_lo, v5, v5
	v_add3_u32 v1, v5, v1, 0x7fff
	s_delay_alu instid0(VALU_DEP_1) | instskip(NEXT) | instid1(VALU_DEP_1)
	v_lshrrev_b32_e32 v1, 16, v1
	v_cndmask_b32_e32 v5, 0x7fc0, v1, vcc_lo
.LBB30_1072:
	s_mov_b32 s13, -1
.LBB30_1073:
	s_branch .LBB30_1105
.LBB30_1074:
	s_cmp_gt_i32 s0, 22
	s_cbranch_scc0 .LBB30_1084
; %bb.1075:
	s_cmp_lt_i32 s0, 24
	s_cbranch_scc1 .LBB30_1087
; %bb.1076:
	s_cmp_gt_i32 s0, 24
	s_cbranch_scc0 .LBB30_1088
; %bb.1077:
	global_load_u8 v1, v[2:3], off
	s_mov_b32 s13, exec_lo
	s_wait_loadcnt 0x0
	v_cmpx_lt_i16_e32 0x7f, v1
	s_xor_b32 s13, exec_lo, s13
	s_cbranch_execz .LBB30_1099
; %bb.1078:
	s_mov_b32 s10, -1
	s_mov_b32 s14, exec_lo
	v_cmpx_eq_u16_e32 0x80, v1
; %bb.1079:
	s_xor_b32 s10, exec_lo, -1
; %bb.1080:
	s_or_b32 exec_lo, exec_lo, s14
	s_delay_alu instid0(SALU_CYCLE_1)
	s_and_b32 s10, s10, exec_lo
	s_or_saveexec_b32 s13, s13
	v_mov_b32_e32 v5, 0x7f800001
	s_xor_b32 exec_lo, exec_lo, s13
	s_cbranch_execnz .LBB30_1100
.LBB30_1081:
	s_or_b32 exec_lo, exec_lo, s13
	s_and_saveexec_b32 s13, s10
	s_cbranch_execz .LBB30_1083
.LBB30_1082:
	v_and_b32_e32 v5, 0xffff, v1
	s_delay_alu instid0(VALU_DEP_1) | instskip(SKIP_1) | instid1(VALU_DEP_2)
	v_and_b32_e32 v6, 3, v5
	v_bfe_u32 v9, v5, 2, 5
	v_clz_i32_u32_e32 v7, v6
	s_delay_alu instid0(VALU_DEP_2) | instskip(NEXT) | instid1(VALU_DEP_2)
	v_cmp_eq_u32_e32 vcc_lo, 0, v9
	v_min_u32_e32 v7, 32, v7
	s_delay_alu instid0(VALU_DEP_1) | instskip(NEXT) | instid1(VALU_DEP_1)
	v_subrev_nc_u32_e32 v8, 29, v7
	v_dual_lshlrev_b32 v5, v8, v5 :: v_dual_sub_nc_u32 v7, 30, v7
	s_delay_alu instid0(VALU_DEP_1) | instskip(NEXT) | instid1(VALU_DEP_2)
	v_and_b32_e32 v5, 3, v5
	v_dual_lshlrev_b32 v1, 24, v1 :: v_dual_cndmask_b32 v7, v9, v7, vcc_lo
	s_delay_alu instid0(VALU_DEP_2) | instskip(NEXT) | instid1(VALU_DEP_2)
	v_cndmask_b32_e32 v5, v6, v5, vcc_lo
	v_and_b32_e32 v1, 0x80000000, v1
	s_delay_alu instid0(VALU_DEP_3) | instskip(NEXT) | instid1(VALU_DEP_3)
	v_lshl_add_u32 v6, v7, 23, 0x37800000
	v_lshlrev_b32_e32 v5, 21, v5
	s_delay_alu instid0(VALU_DEP_1)
	v_or3_b32 v5, v1, v6, v5
.LBB30_1083:
	s_or_b32 exec_lo, exec_lo, s13
	s_delay_alu instid0(VALU_DEP_1) | instskip(SKIP_2) | instid1(VALU_DEP_2)
	v_bfe_u32 v1, v5, 16, 1
	v_cmp_o_f32_e32 vcc_lo, v5, v5
	s_mov_b32 s10, 0
	v_add3_u32 v1, v5, v1, 0x7fff
	s_delay_alu instid0(VALU_DEP_1) | instskip(NEXT) | instid1(VALU_DEP_1)
	v_lshrrev_b32_e32 v1, 16, v1
	v_cndmask_b32_e32 v5, 0x7fc0, v1, vcc_lo
	s_branch .LBB30_1089
.LBB30_1084:
                                        ; implicit-def: $vgpr5
	s_mov_b32 s10, 0
	s_branch .LBB30_1095
.LBB30_1085:
	s_or_saveexec_b32 s14, s14
	v_mov_b32_e32 v5, 0x7f800001
	s_xor_b32 exec_lo, exec_lo, s14
	s_cbranch_execz .LBB30_1069
.LBB30_1086:
	v_cmp_ne_u16_e32 vcc_lo, 0, v1
	v_mov_b32_e32 v5, 0
	s_and_not1_b32 s13, s13, exec_lo
	s_and_b32 s15, vcc_lo, exec_lo
	s_delay_alu instid0(SALU_CYCLE_1)
	s_or_b32 s13, s13, s15
	s_or_b32 exec_lo, exec_lo, s14
	s_and_saveexec_b32 s14, s13
	s_cbranch_execnz .LBB30_1070
	s_branch .LBB30_1071
.LBB30_1087:
	s_mov_b32 s10, -1
                                        ; implicit-def: $vgpr5
	s_branch .LBB30_1092
.LBB30_1088:
	s_mov_b32 s10, -1
                                        ; implicit-def: $vgpr5
.LBB30_1089:
	s_delay_alu instid0(SALU_CYCLE_1)
	s_and_b32 vcc_lo, exec_lo, s10
	s_cbranch_vccz .LBB30_1091
; %bb.1090:
	global_load_u8 v1, v[2:3], off
	s_wait_loadcnt 0x0
	v_lshlrev_b32_e32 v1, 24, v1
	s_delay_alu instid0(VALU_DEP_1) | instskip(NEXT) | instid1(VALU_DEP_1)
	v_and_b32_e32 v5, 0x7f000000, v1
	v_clz_i32_u32_e32 v6, v5
	v_cmp_ne_u32_e32 vcc_lo, 0, v5
	v_add_nc_u32_e32 v8, 0x1000000, v5
	s_delay_alu instid0(VALU_DEP_3) | instskip(NEXT) | instid1(VALU_DEP_1)
	v_min_u32_e32 v6, 32, v6
	v_sub_nc_u32_e64 v6, v6, 4 clamp
	s_delay_alu instid0(VALU_DEP_1) | instskip(NEXT) | instid1(VALU_DEP_1)
	v_dual_lshlrev_b32 v7, v6, v5 :: v_dual_lshlrev_b32 v6, 23, v6
	v_lshrrev_b32_e32 v7, 4, v7
	s_delay_alu instid0(VALU_DEP_1) | instskip(NEXT) | instid1(VALU_DEP_1)
	v_dual_sub_nc_u32 v6, v7, v6 :: v_dual_ashrrev_i32 v7, 8, v8
	v_add_nc_u32_e32 v6, 0x3c000000, v6
	s_delay_alu instid0(VALU_DEP_1) | instskip(NEXT) | instid1(VALU_DEP_1)
	v_and_or_b32 v6, 0x7f800000, v7, v6
	v_cndmask_b32_e32 v5, 0, v6, vcc_lo
	s_delay_alu instid0(VALU_DEP_1) | instskip(SKIP_1) | instid1(VALU_DEP_2)
	v_and_or_b32 v1, 0x80000000, v1, v5
	v_bfe_u32 v5, v5, 16, 1
	v_cmp_o_f32_e32 vcc_lo, v1, v1
	s_delay_alu instid0(VALU_DEP_2) | instskip(NEXT) | instid1(VALU_DEP_1)
	v_add3_u32 v5, v1, v5, 0x7fff
	v_lshrrev_b32_e32 v5, 16, v5
	s_delay_alu instid0(VALU_DEP_1)
	v_cndmask_b32_e32 v5, 0x7fc0, v5, vcc_lo
.LBB30_1091:
	s_mov_b32 s10, 0
.LBB30_1092:
	s_delay_alu instid0(SALU_CYCLE_1)
	s_and_not1_b32 vcc_lo, exec_lo, s10
	s_cbranch_vccnz .LBB30_1094
; %bb.1093:
	global_load_u8 v1, v[2:3], off
	s_wait_loadcnt 0x0
	v_lshlrev_b32_e32 v5, 25, v1
	v_lshlrev_b16 v1, 8, v1
	s_delay_alu instid0(VALU_DEP_1) | instskip(SKIP_1) | instid1(VALU_DEP_2)
	v_and_or_b32 v7, 0x7f00, v1, 0.5
	v_bfe_i32 v1, v1, 0, 16
	v_dual_add_f32 v7, -0.5, v7 :: v_dual_lshrrev_b32 v6, 4, v5
	v_cmp_gt_u32_e32 vcc_lo, 0x8000000, v5
	s_delay_alu instid0(VALU_DEP_2) | instskip(NEXT) | instid1(VALU_DEP_1)
	v_or_b32_e32 v6, 0x70000000, v6
	v_mul_f32_e32 v6, 0x7800000, v6
	s_delay_alu instid0(VALU_DEP_1) | instskip(NEXT) | instid1(VALU_DEP_1)
	v_cndmask_b32_e32 v5, v6, v7, vcc_lo
	v_and_or_b32 v1, 0x80000000, v1, v5
	v_bfe_u32 v5, v5, 16, 1
	s_delay_alu instid0(VALU_DEP_2) | instskip(NEXT) | instid1(VALU_DEP_2)
	v_cmp_o_f32_e32 vcc_lo, v1, v1
	v_add3_u32 v5, v1, v5, 0x7fff
	s_delay_alu instid0(VALU_DEP_1) | instskip(NEXT) | instid1(VALU_DEP_1)
	v_lshrrev_b32_e32 v5, 16, v5
	v_cndmask_b32_e32 v5, 0x7fc0, v5, vcc_lo
.LBB30_1094:
	s_mov_b32 s13, -1
	s_mov_b32 s10, 0
	s_cbranch_execnz .LBB30_1105
.LBB30_1095:
	s_cmp_gt_i32 s0, 14
	s_cbranch_scc0 .LBB30_1098
; %bb.1096:
	s_cmp_eq_u32 s0, 15
	s_cbranch_scc0 .LBB30_1101
; %bb.1097:
	s_wait_loadcnt 0x0
	global_load_u16 v5, v[2:3], off
	s_mov_b32 s3, 0
	s_mov_b32 s13, -1
	s_branch .LBB30_1103
.LBB30_1098:
	s_mov_b32 s10, -1
	s_branch .LBB30_1102
.LBB30_1099:
	s_or_saveexec_b32 s13, s13
	v_mov_b32_e32 v5, 0x7f800001
	s_xor_b32 exec_lo, exec_lo, s13
	s_cbranch_execz .LBB30_1081
.LBB30_1100:
	v_cmp_ne_u16_e32 vcc_lo, 0, v1
	v_mov_b32_e32 v5, 0
	s_and_not1_b32 s10, s10, exec_lo
	s_and_b32 s14, vcc_lo, exec_lo
	s_delay_alu instid0(SALU_CYCLE_1)
	s_or_b32 s10, s10, s14
	s_or_b32 exec_lo, exec_lo, s13
	s_and_saveexec_b32 s13, s10
	s_cbranch_execnz .LBB30_1082
	s_branch .LBB30_1083
.LBB30_1101:
	s_mov_b32 s3, -1
.LBB30_1102:
                                        ; implicit-def: $vgpr5
.LBB30_1103:
	s_and_b32 vcc_lo, exec_lo, s10
	s_mov_b32 s10, 0
	s_cbranch_vccz .LBB30_1105
; %bb.1104:
	s_cmp_lg_u32 s0, 11
	s_mov_b32 s10, -1
	s_cselect_b32 s3, -1, 0
.LBB30_1105:
	s_delay_alu instid0(SALU_CYCLE_1)
	s_and_b32 vcc_lo, exec_lo, s3
	s_mov_b32 s3, s12
	s_cbranch_vccnz .LBB30_1166
; %bb.1106:
	s_and_not1_b32 vcc_lo, exec_lo, s10
	s_cbranch_vccnz .LBB30_1108
.LBB30_1107:
	global_load_u8 v1, v[2:3], off
	s_mov_b32 s13, -1
	s_wait_loadcnt 0x0
	v_cmp_ne_u16_e32 vcc_lo, 0, v1
	v_cndmask_b32_e64 v1, 0, 1.0, vcc_lo
	s_delay_alu instid0(VALU_DEP_1)
	v_lshrrev_b32_e32 v5, 16, v1
.LBB30_1108:
	s_branch .LBB30_1037
.LBB30_1109:
	s_cmp_lt_i32 s0, 5
	s_cbranch_scc1 .LBB30_1114
; %bb.1110:
	s_cmp_lt_i32 s0, 8
	s_cbranch_scc1 .LBB30_1115
; %bb.1111:
	;; [unrolled: 3-line block ×3, first 2 shown]
	s_cmp_gt_i32 s0, 9
	s_cbranch_scc0 .LBB30_1117
; %bb.1113:
	global_load_b64 v[6:7], v[2:3], off
	s_mov_b32 s10, 0
	s_wait_loadcnt 0x0
	v_cvt_f32_f64_e32 v1, v[6:7]
	s_delay_alu instid0(VALU_DEP_1) | instskip(SKIP_1) | instid1(VALU_DEP_2)
	v_bfe_u32 v5, v1, 16, 1
	v_cmp_o_f32_e32 vcc_lo, v1, v1
	v_add3_u32 v5, v1, v5, 0x7fff
	s_delay_alu instid0(VALU_DEP_1) | instskip(NEXT) | instid1(VALU_DEP_1)
	v_lshrrev_b32_e32 v5, 16, v5
	v_cndmask_b32_e32 v5, 0x7fc0, v5, vcc_lo
	s_branch .LBB30_1118
.LBB30_1114:
                                        ; implicit-def: $vgpr5
	s_branch .LBB30_1135
.LBB30_1115:
                                        ; implicit-def: $vgpr5
	s_branch .LBB30_1124
.LBB30_1116:
	s_mov_b32 s10, -1
                                        ; implicit-def: $vgpr5
	s_branch .LBB30_1121
.LBB30_1117:
	s_mov_b32 s10, -1
                                        ; implicit-def: $vgpr5
.LBB30_1118:
	s_delay_alu instid0(SALU_CYCLE_1)
	s_and_not1_b32 vcc_lo, exec_lo, s10
	s_cbranch_vccnz .LBB30_1120
; %bb.1119:
	global_load_b32 v1, v[2:3], off
	s_wait_loadcnt 0x0
	v_bfe_u32 v5, v1, 16, 1
	v_cmp_o_f32_e32 vcc_lo, v1, v1
	s_delay_alu instid0(VALU_DEP_2) | instskip(NEXT) | instid1(VALU_DEP_1)
	v_add3_u32 v5, v1, v5, 0x7fff
	v_lshrrev_b32_e32 v5, 16, v5
	s_delay_alu instid0(VALU_DEP_1)
	v_cndmask_b32_e32 v5, 0x7fc0, v5, vcc_lo
.LBB30_1120:
	s_mov_b32 s10, 0
.LBB30_1121:
	s_delay_alu instid0(SALU_CYCLE_1)
	s_and_not1_b32 vcc_lo, exec_lo, s10
	s_cbranch_vccnz .LBB30_1123
; %bb.1122:
	global_load_b32 v1, v[2:3], off
	s_wait_loadcnt 0x0
	v_cvt_f32_f16_e32 v5, v1
	v_cmp_o_f16_e32 vcc_lo, v1, v1
	s_delay_alu instid0(VALU_DEP_2) | instskip(NEXT) | instid1(VALU_DEP_1)
	v_bfe_u32 v6, v5, 16, 1
	v_add3_u32 v5, v5, v6, 0x7fff
	s_delay_alu instid0(VALU_DEP_1) | instskip(NEXT) | instid1(VALU_DEP_1)
	v_lshrrev_b32_e32 v5, 16, v5
	v_cndmask_b32_e32 v5, 0x7fc0, v5, vcc_lo
.LBB30_1123:
	s_cbranch_execnz .LBB30_1134
.LBB30_1124:
	s_cmp_lt_i32 s0, 6
	s_cbranch_scc1 .LBB30_1127
; %bb.1125:
	s_cmp_gt_i32 s0, 6
	s_cbranch_scc0 .LBB30_1128
; %bb.1126:
	global_load_b64 v[6:7], v[2:3], off
	s_mov_b32 s10, 0
	s_wait_loadcnt 0x0
	v_cvt_f32_f64_e32 v1, v[6:7]
	s_delay_alu instid0(VALU_DEP_1) | instskip(SKIP_1) | instid1(VALU_DEP_2)
	v_bfe_u32 v5, v1, 16, 1
	v_cmp_o_f32_e32 vcc_lo, v1, v1
	v_add3_u32 v5, v1, v5, 0x7fff
	s_delay_alu instid0(VALU_DEP_1) | instskip(NEXT) | instid1(VALU_DEP_1)
	v_lshrrev_b32_e32 v5, 16, v5
	v_cndmask_b32_e32 v5, 0x7fc0, v5, vcc_lo
	s_branch .LBB30_1129
.LBB30_1127:
	s_mov_b32 s10, -1
                                        ; implicit-def: $vgpr5
	s_branch .LBB30_1132
.LBB30_1128:
	s_mov_b32 s10, -1
                                        ; implicit-def: $vgpr5
.LBB30_1129:
	s_delay_alu instid0(SALU_CYCLE_1)
	s_and_not1_b32 vcc_lo, exec_lo, s10
	s_cbranch_vccnz .LBB30_1131
; %bb.1130:
	global_load_b32 v1, v[2:3], off
	s_wait_loadcnt 0x0
	v_bfe_u32 v5, v1, 16, 1
	v_cmp_o_f32_e32 vcc_lo, v1, v1
	s_delay_alu instid0(VALU_DEP_2) | instskip(NEXT) | instid1(VALU_DEP_1)
	v_add3_u32 v5, v1, v5, 0x7fff
	v_lshrrev_b32_e32 v5, 16, v5
	s_delay_alu instid0(VALU_DEP_1)
	v_cndmask_b32_e32 v5, 0x7fc0, v5, vcc_lo
.LBB30_1131:
	s_mov_b32 s10, 0
.LBB30_1132:
	s_delay_alu instid0(SALU_CYCLE_1)
	s_and_not1_b32 vcc_lo, exec_lo, s10
	s_cbranch_vccnz .LBB30_1134
; %bb.1133:
	global_load_u16 v1, v[2:3], off
	s_wait_loadcnt 0x0
	v_cvt_f32_f16_e32 v5, v1
	v_cmp_o_f16_e32 vcc_lo, v1, v1
	s_delay_alu instid0(VALU_DEP_2) | instskip(NEXT) | instid1(VALU_DEP_1)
	v_bfe_u32 v6, v5, 16, 1
	v_add3_u32 v5, v5, v6, 0x7fff
	s_delay_alu instid0(VALU_DEP_1) | instskip(NEXT) | instid1(VALU_DEP_1)
	v_lshrrev_b32_e32 v5, 16, v5
	v_cndmask_b32_e32 v5, 0x7fc0, v5, vcc_lo
.LBB30_1134:
	s_cbranch_execnz .LBB30_1153
.LBB30_1135:
	s_cmp_lt_i32 s0, 2
	s_cbranch_scc1 .LBB30_1139
; %bb.1136:
	s_cmp_lt_i32 s0, 3
	s_cbranch_scc1 .LBB30_1140
; %bb.1137:
	s_cmp_gt_i32 s0, 3
	s_cbranch_scc0 .LBB30_1141
; %bb.1138:
	global_load_b64 v[6:7], v[2:3], off
	s_mov_b32 s10, 0
	s_wait_loadcnt 0x0
	v_xor_b32_e32 v1, v6, v7
	v_cls_i32_e32 v5, v7
	s_delay_alu instid0(VALU_DEP_2) | instskip(NEXT) | instid1(VALU_DEP_1)
	v_ashrrev_i32_e32 v1, 31, v1
	v_add_nc_u32_e32 v1, 32, v1
	s_delay_alu instid0(VALU_DEP_1) | instskip(NEXT) | instid1(VALU_DEP_1)
	v_add_min_u32_e64 v1, v5, -1, v1
	v_lshlrev_b64_e32 v[6:7], v1, v[6:7]
	v_sub_nc_u32_e32 v1, 32, v1
	s_delay_alu instid0(VALU_DEP_2) | instskip(NEXT) | instid1(VALU_DEP_1)
	v_min_u32_e32 v5, 1, v6
	v_or_b32_e32 v5, v7, v5
	s_delay_alu instid0(VALU_DEP_1) | instskip(NEXT) | instid1(VALU_DEP_1)
	v_cvt_f32_i32_e32 v5, v5
	v_ldexp_f32 v1, v5, v1
	s_delay_alu instid0(VALU_DEP_1) | instskip(NEXT) | instid1(VALU_DEP_1)
	v_bfe_u32 v5, v1, 16, 1
	v_add3_u32 v1, v1, v5, 0x7fff
	s_delay_alu instid0(VALU_DEP_1)
	v_lshrrev_b32_e32 v5, 16, v1
	s_branch .LBB30_1142
.LBB30_1139:
                                        ; implicit-def: $vgpr5
	s_branch .LBB30_1148
.LBB30_1140:
	s_mov_b32 s10, -1
                                        ; implicit-def: $vgpr5
	s_branch .LBB30_1145
.LBB30_1141:
	s_mov_b32 s10, -1
                                        ; implicit-def: $vgpr5
.LBB30_1142:
	s_delay_alu instid0(SALU_CYCLE_1)
	s_and_not1_b32 vcc_lo, exec_lo, s10
	s_cbranch_vccnz .LBB30_1144
; %bb.1143:
	global_load_b32 v1, v[2:3], off
	s_wait_loadcnt 0x0
	v_cvt_f32_i32_e32 v1, v1
	s_delay_alu instid0(VALU_DEP_1) | instskip(NEXT) | instid1(VALU_DEP_1)
	v_bfe_u32 v5, v1, 16, 1
	v_add3_u32 v1, v1, v5, 0x7fff
	s_delay_alu instid0(VALU_DEP_1)
	v_lshrrev_b32_e32 v5, 16, v1
.LBB30_1144:
	s_mov_b32 s10, 0
.LBB30_1145:
	s_delay_alu instid0(SALU_CYCLE_1)
	s_and_not1_b32 vcc_lo, exec_lo, s10
	s_cbranch_vccnz .LBB30_1147
; %bb.1146:
	global_load_i16 v1, v[2:3], off
	s_wait_loadcnt 0x0
	v_cvt_f32_i32_e32 v1, v1
	s_delay_alu instid0(VALU_DEP_1) | instskip(NEXT) | instid1(VALU_DEP_1)
	v_bfe_u32 v5, v1, 16, 1
	v_add3_u32 v1, v1, v5, 0x7fff
	s_delay_alu instid0(VALU_DEP_1)
	v_lshrrev_b32_e32 v5, 16, v1
.LBB30_1147:
	s_cbranch_execnz .LBB30_1153
.LBB30_1148:
	s_cmp_gt_i32 s0, 0
	s_mov_b32 s10, 0
	s_cbranch_scc0 .LBB30_1150
; %bb.1149:
	global_load_i8 v1, v[2:3], off
	s_wait_loadcnt 0x0
	v_cvt_f32_i32_e32 v1, v1
	s_delay_alu instid0(VALU_DEP_1) | instskip(NEXT) | instid1(VALU_DEP_1)
	v_bfe_u32 v5, v1, 16, 1
	v_add3_u32 v1, v1, v5, 0x7fff
	s_delay_alu instid0(VALU_DEP_1)
	v_lshrrev_b32_e32 v5, 16, v1
	s_branch .LBB30_1151
.LBB30_1150:
	s_mov_b32 s10, -1
                                        ; implicit-def: $vgpr5
.LBB30_1151:
	s_delay_alu instid0(SALU_CYCLE_1)
	s_and_not1_b32 vcc_lo, exec_lo, s10
	s_cbranch_vccnz .LBB30_1153
; %bb.1152:
	global_load_u8 v1, v[2:3], off
	s_wait_loadcnt 0x0
	v_cvt_f32_ubyte0_e32 v1, v1
	s_wait_xcnt 0x0
	s_delay_alu instid0(VALU_DEP_1) | instskip(NEXT) | instid1(VALU_DEP_1)
	v_bfe_u32 v2, v1, 16, 1
	v_add3_u32 v1, v1, v2, 0x7fff
	s_delay_alu instid0(VALU_DEP_1)
	v_lshrrev_b32_e32 v5, 16, v1
.LBB30_1153:
.LBB30_1154:
	s_lshl_b32 s9, s9, 7
	s_cmp_lt_i32 s0, 11
	v_add_nc_u32_e32 v0, s9, v0
	s_delay_alu instid0(VALU_DEP_1) | instskip(SKIP_1) | instid1(VALU_DEP_1)
	v_ashrrev_i32_e32 v1, 31, v0
	s_wait_xcnt 0x0
	v_add_nc_u64_e32 v[2:3], s[6:7], v[0:1]
	s_cbranch_scc1 .LBB30_1161
; %bb.1155:
	s_cmp_gt_i32 s0, 25
	s_mov_b32 s13, 0
	s_cbranch_scc0 .LBB30_1163
; %bb.1156:
	s_cmp_gt_i32 s0, 28
	s_cbranch_scc0 .LBB30_1164
; %bb.1157:
	s_cmp_gt_i32 s0, 43
	;; [unrolled: 3-line block ×3, first 2 shown]
	s_cbranch_scc0 .LBB30_1167
; %bb.1159:
	s_cmp_eq_u32 s0, 46
	s_mov_b32 s15, 0
	s_cbranch_scc0 .LBB30_1170
; %bb.1160:
	global_load_b32 v6, v[2:3], off
	s_mov_b32 s10, 0
	s_mov_b32 s14, -1
	s_branch .LBB30_1172
.LBB30_1161:
	s_mov_b32 s14, 0
                                        ; implicit-def: $vgpr6
	s_cbranch_execnz .LBB30_1237
.LBB30_1162:
	s_and_not1_b32 vcc_lo, exec_lo, s14
	s_cbranch_vccz .LBB30_1284
	s_branch .LBB30_1975
.LBB30_1163:
	s_mov_b32 s14, 0
	s_mov_b32 s10, 0
                                        ; implicit-def: $vgpr6
	s_cbranch_execnz .LBB30_1201
	s_branch .LBB30_1233
.LBB30_1164:
	s_mov_b32 s15, -1
	s_mov_b32 s14, 0
	s_mov_b32 s10, 0
                                        ; implicit-def: $vgpr6
	s_branch .LBB30_1182
.LBB30_1165:
	s_mov_b32 s15, -1
	s_mov_b32 s14, 0
	s_mov_b32 s10, 0
                                        ; implicit-def: $vgpr6
	s_branch .LBB30_1177
.LBB30_1166:
	s_or_b32 s3, s12, exec_lo
	s_trap 2
	s_cbranch_execz .LBB30_1107
	s_branch .LBB30_1108
.LBB30_1167:
	s_mov_b32 s15, -1
	s_mov_b32 s14, 0
	s_mov_b32 s10, 0
	s_branch .LBB30_1171
.LBB30_1168:
	s_and_not1_saveexec_b32 s20, s20
	s_cbranch_execz .LBB30_950
.LBB30_1169:
	v_add_f32_e64 v4, 0x42800000, |v5|
	s_and_not1_b32 s19, s19, exec_lo
	s_delay_alu instid0(VALU_DEP_1) | instskip(NEXT) | instid1(VALU_DEP_1)
	v_and_b32_e32 v4, 0xff, v4
	v_cmp_ne_u32_e32 vcc_lo, 0, v4
	s_and_b32 s21, vcc_lo, exec_lo
	s_delay_alu instid0(SALU_CYCLE_1)
	s_or_b32 s19, s19, s21
	s_or_b32 exec_lo, exec_lo, s20
	v_mov_b32_e32 v6, 0
	s_and_saveexec_b32 s20, s19
	s_cbranch_execnz .LBB30_951
	s_branch .LBB30_952
.LBB30_1170:
	s_mov_b32 s10, -1
	s_mov_b32 s14, 0
.LBB30_1171:
                                        ; implicit-def: $vgpr6
.LBB30_1172:
	s_and_b32 vcc_lo, exec_lo, s15
	s_cbranch_vccz .LBB30_1176
; %bb.1173:
	s_cmp_eq_u32 s0, 44
	s_cbranch_scc0 .LBB30_1175
; %bb.1174:
	global_load_u8 v1, v[2:3], off
	s_mov_b32 s10, 0
	s_mov_b32 s14, -1
	s_wait_loadcnt 0x0
	v_lshlrev_b32_e32 v6, 23, v1
	v_cmp_ne_u32_e32 vcc_lo, 0xff, v1
	s_delay_alu instid0(VALU_DEP_2) | instskip(SKIP_1) | instid1(VALU_DEP_2)
	v_cndmask_b32_e32 v6, 0x7f800001, v6, vcc_lo
	v_cmp_ne_u32_e32 vcc_lo, 0, v1
	v_cndmask_b32_e32 v1, 0x400000, v6, vcc_lo
	s_delay_alu instid0(VALU_DEP_1) | instskip(NEXT) | instid1(VALU_DEP_1)
	v_add_nc_u32_e32 v6, 0x7fff, v1
	v_lshrrev_b32_e32 v6, 16, v6
	v_cmp_o_f32_e32 vcc_lo, v1, v1
	s_delay_alu instid0(VALU_DEP_2)
	v_cndmask_b32_e32 v6, 0x7fc0, v6, vcc_lo
	s_branch .LBB30_1176
.LBB30_1175:
	s_mov_b32 s10, -1
                                        ; implicit-def: $vgpr6
.LBB30_1176:
	s_mov_b32 s15, 0
.LBB30_1177:
	s_delay_alu instid0(SALU_CYCLE_1)
	s_and_b32 vcc_lo, exec_lo, s15
	s_cbranch_vccz .LBB30_1181
; %bb.1178:
	s_cmp_eq_u32 s0, 29
	s_cbranch_scc0 .LBB30_1180
; %bb.1179:
	s_wait_loadcnt 0x0
	global_load_b64 v[6:7], v[2:3], off
	s_mov_b32 s10, 0
	s_mov_b32 s14, -1
	s_mov_b32 s15, 0
	s_wait_loadcnt 0x0
	v_clz_i32_u32_e32 v1, v7
	s_delay_alu instid0(VALU_DEP_1) | instskip(NEXT) | instid1(VALU_DEP_1)
	v_min_u32_e32 v1, 32, v1
	v_lshlrev_b64_e32 v[6:7], v1, v[6:7]
	v_sub_nc_u32_e32 v1, 32, v1
	s_delay_alu instid0(VALU_DEP_2) | instskip(NEXT) | instid1(VALU_DEP_1)
	v_min_u32_e32 v6, 1, v6
	v_or_b32_e32 v6, v7, v6
	s_delay_alu instid0(VALU_DEP_1) | instskip(NEXT) | instid1(VALU_DEP_1)
	v_cvt_f32_u32_e32 v6, v6
	v_ldexp_f32 v1, v6, v1
	s_delay_alu instid0(VALU_DEP_1) | instskip(NEXT) | instid1(VALU_DEP_1)
	v_bfe_u32 v6, v1, 16, 1
	v_add3_u32 v1, v1, v6, 0x7fff
	s_delay_alu instid0(VALU_DEP_1)
	v_lshrrev_b32_e32 v6, 16, v1
	s_branch .LBB30_1182
.LBB30_1180:
	s_mov_b32 s10, -1
                                        ; implicit-def: $vgpr6
.LBB30_1181:
	s_mov_b32 s15, 0
.LBB30_1182:
	s_delay_alu instid0(SALU_CYCLE_1)
	s_and_b32 vcc_lo, exec_lo, s15
	s_cbranch_vccz .LBB30_1200
; %bb.1183:
	s_cmp_lt_i32 s0, 27
	s_cbranch_scc1 .LBB30_1186
; %bb.1184:
	s_cmp_gt_i32 s0, 27
	s_cbranch_scc0 .LBB30_1187
; %bb.1185:
	global_load_b32 v1, v[2:3], off
	s_mov_b32 s14, 0
	s_wait_loadcnt 0x0
	v_cvt_f32_u32_e32 v1, v1
	s_delay_alu instid0(VALU_DEP_1) | instskip(NEXT) | instid1(VALU_DEP_1)
	v_bfe_u32 v6, v1, 16, 1
	v_add3_u32 v1, v1, v6, 0x7fff
	s_delay_alu instid0(VALU_DEP_1)
	v_lshrrev_b32_e32 v6, 16, v1
	s_branch .LBB30_1188
.LBB30_1186:
	s_mov_b32 s14, -1
                                        ; implicit-def: $vgpr6
	s_branch .LBB30_1191
.LBB30_1187:
	s_mov_b32 s14, -1
                                        ; implicit-def: $vgpr6
.LBB30_1188:
	s_delay_alu instid0(SALU_CYCLE_1)
	s_and_not1_b32 vcc_lo, exec_lo, s14
	s_cbranch_vccnz .LBB30_1190
; %bb.1189:
	global_load_u16 v1, v[2:3], off
	s_wait_loadcnt 0x0
	v_cvt_f32_u32_e32 v1, v1
	s_delay_alu instid0(VALU_DEP_1) | instskip(NEXT) | instid1(VALU_DEP_1)
	v_bfe_u32 v6, v1, 16, 1
	v_add3_u32 v1, v1, v6, 0x7fff
	s_delay_alu instid0(VALU_DEP_1)
	v_lshrrev_b32_e32 v6, 16, v1
.LBB30_1190:
	s_mov_b32 s14, 0
.LBB30_1191:
	s_delay_alu instid0(SALU_CYCLE_1)
	s_and_not1_b32 vcc_lo, exec_lo, s14
	s_cbranch_vccnz .LBB30_1199
; %bb.1192:
	global_load_u8 v1, v[2:3], off
	s_mov_b32 s14, 0
	s_mov_b32 s15, exec_lo
	s_wait_loadcnt 0x0
	v_cmpx_lt_i16_e32 0x7f, v1
	s_xor_b32 s15, exec_lo, s15
	s_cbranch_execz .LBB30_1212
; %bb.1193:
	s_mov_b32 s14, -1
	s_mov_b32 s16, exec_lo
	v_cmpx_eq_u16_e32 0x80, v1
; %bb.1194:
	s_xor_b32 s14, exec_lo, -1
; %bb.1195:
	s_or_b32 exec_lo, exec_lo, s16
	s_delay_alu instid0(SALU_CYCLE_1)
	s_and_b32 s14, s14, exec_lo
	s_or_saveexec_b32 s15, s15
	v_mov_b32_e32 v6, 0x7f800001
	s_xor_b32 exec_lo, exec_lo, s15
	s_cbranch_execnz .LBB30_1213
.LBB30_1196:
	s_or_b32 exec_lo, exec_lo, s15
	s_and_saveexec_b32 s15, s14
	s_cbranch_execz .LBB30_1198
.LBB30_1197:
	v_and_b32_e32 v6, 0xffff, v1
	s_delay_alu instid0(VALU_DEP_1) | instskip(SKIP_1) | instid1(VALU_DEP_2)
	v_and_b32_e32 v7, 7, v6
	v_bfe_u32 v10, v6, 3, 4
	v_clz_i32_u32_e32 v8, v7
	s_delay_alu instid0(VALU_DEP_2) | instskip(NEXT) | instid1(VALU_DEP_2)
	v_cmp_eq_u32_e32 vcc_lo, 0, v10
	v_min_u32_e32 v8, 32, v8
	s_delay_alu instid0(VALU_DEP_1) | instskip(NEXT) | instid1(VALU_DEP_1)
	v_subrev_nc_u32_e32 v9, 28, v8
	v_dual_lshlrev_b32 v6, v9, v6 :: v_dual_sub_nc_u32 v8, 29, v8
	s_delay_alu instid0(VALU_DEP_1) | instskip(NEXT) | instid1(VALU_DEP_1)
	v_dual_lshlrev_b32 v1, 24, v1 :: v_dual_bitop2_b32 v6, 7, v6 bitop3:0x40
	v_dual_cndmask_b32 v8, v10, v8, vcc_lo :: v_dual_cndmask_b32 v6, v7, v6, vcc_lo
	s_delay_alu instid0(VALU_DEP_2) | instskip(NEXT) | instid1(VALU_DEP_2)
	v_and_b32_e32 v1, 0x80000000, v1
	v_lshl_add_u32 v7, v8, 23, 0x3b800000
	s_delay_alu instid0(VALU_DEP_3) | instskip(NEXT) | instid1(VALU_DEP_1)
	v_lshlrev_b32_e32 v6, 20, v6
	v_or3_b32 v6, v1, v7, v6
.LBB30_1198:
	s_or_b32 exec_lo, exec_lo, s15
	s_delay_alu instid0(VALU_DEP_1) | instskip(SKIP_1) | instid1(VALU_DEP_2)
	v_bfe_u32 v1, v6, 16, 1
	v_cmp_o_f32_e32 vcc_lo, v6, v6
	v_add3_u32 v1, v6, v1, 0x7fff
	s_delay_alu instid0(VALU_DEP_1) | instskip(NEXT) | instid1(VALU_DEP_1)
	v_lshrrev_b32_e32 v1, 16, v1
	v_cndmask_b32_e32 v6, 0x7fc0, v1, vcc_lo
.LBB30_1199:
	s_mov_b32 s14, -1
.LBB30_1200:
	s_branch .LBB30_1233
.LBB30_1201:
	s_cmp_gt_i32 s0, 22
	s_cbranch_scc0 .LBB30_1211
; %bb.1202:
	s_cmp_lt_i32 s0, 24
	s_cbranch_scc1 .LBB30_1214
; %bb.1203:
	s_cmp_gt_i32 s0, 24
	s_cbranch_scc0 .LBB30_1215
; %bb.1204:
	global_load_u8 v1, v[2:3], off
	s_mov_b32 s14, exec_lo
	s_wait_loadcnt 0x0
	v_cmpx_lt_i16_e32 0x7f, v1
	s_xor_b32 s14, exec_lo, s14
	s_cbranch_execz .LBB30_1227
; %bb.1205:
	s_mov_b32 s13, -1
	s_mov_b32 s15, exec_lo
	v_cmpx_eq_u16_e32 0x80, v1
; %bb.1206:
	s_xor_b32 s13, exec_lo, -1
; %bb.1207:
	s_or_b32 exec_lo, exec_lo, s15
	s_delay_alu instid0(SALU_CYCLE_1)
	s_and_b32 s13, s13, exec_lo
	s_or_saveexec_b32 s14, s14
	v_mov_b32_e32 v6, 0x7f800001
	s_xor_b32 exec_lo, exec_lo, s14
	s_cbranch_execnz .LBB30_1228
.LBB30_1208:
	s_or_b32 exec_lo, exec_lo, s14
	s_and_saveexec_b32 s14, s13
	s_cbranch_execz .LBB30_1210
.LBB30_1209:
	v_and_b32_e32 v6, 0xffff, v1
	s_delay_alu instid0(VALU_DEP_1) | instskip(SKIP_1) | instid1(VALU_DEP_2)
	v_and_b32_e32 v7, 3, v6
	v_bfe_u32 v10, v6, 2, 5
	v_clz_i32_u32_e32 v8, v7
	s_delay_alu instid0(VALU_DEP_2) | instskip(NEXT) | instid1(VALU_DEP_2)
	v_cmp_eq_u32_e32 vcc_lo, 0, v10
	v_min_u32_e32 v8, 32, v8
	s_delay_alu instid0(VALU_DEP_1) | instskip(NEXT) | instid1(VALU_DEP_1)
	v_subrev_nc_u32_e32 v9, 29, v8
	v_dual_lshlrev_b32 v6, v9, v6 :: v_dual_sub_nc_u32 v8, 30, v8
	s_delay_alu instid0(VALU_DEP_1) | instskip(NEXT) | instid1(VALU_DEP_1)
	v_dual_lshlrev_b32 v1, 24, v1 :: v_dual_bitop2_b32 v6, 3, v6 bitop3:0x40
	v_dual_cndmask_b32 v8, v10, v8, vcc_lo :: v_dual_cndmask_b32 v6, v7, v6, vcc_lo
	s_delay_alu instid0(VALU_DEP_2) | instskip(NEXT) | instid1(VALU_DEP_2)
	v_and_b32_e32 v1, 0x80000000, v1
	v_lshl_add_u32 v7, v8, 23, 0x37800000
	s_delay_alu instid0(VALU_DEP_3) | instskip(NEXT) | instid1(VALU_DEP_1)
	v_lshlrev_b32_e32 v6, 21, v6
	v_or3_b32 v6, v1, v7, v6
.LBB30_1210:
	s_or_b32 exec_lo, exec_lo, s14
	s_delay_alu instid0(VALU_DEP_1) | instskip(SKIP_2) | instid1(VALU_DEP_2)
	v_bfe_u32 v1, v6, 16, 1
	v_cmp_o_f32_e32 vcc_lo, v6, v6
	s_mov_b32 s13, 0
	v_add3_u32 v1, v6, v1, 0x7fff
	s_delay_alu instid0(VALU_DEP_1) | instskip(NEXT) | instid1(VALU_DEP_1)
	v_lshrrev_b32_e32 v1, 16, v1
	v_cndmask_b32_e32 v6, 0x7fc0, v1, vcc_lo
	s_branch .LBB30_1216
.LBB30_1211:
	s_mov_b32 s13, -1
                                        ; implicit-def: $vgpr6
	s_branch .LBB30_1222
.LBB30_1212:
	s_or_saveexec_b32 s15, s15
	v_mov_b32_e32 v6, 0x7f800001
	s_xor_b32 exec_lo, exec_lo, s15
	s_cbranch_execz .LBB30_1196
.LBB30_1213:
	v_cmp_ne_u16_e32 vcc_lo, 0, v1
	v_mov_b32_e32 v6, 0
	s_and_not1_b32 s14, s14, exec_lo
	s_and_b32 s16, vcc_lo, exec_lo
	s_delay_alu instid0(SALU_CYCLE_1)
	s_or_b32 s14, s14, s16
	s_or_b32 exec_lo, exec_lo, s15
	s_and_saveexec_b32 s15, s14
	s_cbranch_execnz .LBB30_1197
	s_branch .LBB30_1198
.LBB30_1214:
	s_mov_b32 s13, -1
                                        ; implicit-def: $vgpr6
	s_branch .LBB30_1219
.LBB30_1215:
	s_mov_b32 s13, -1
                                        ; implicit-def: $vgpr6
.LBB30_1216:
	s_delay_alu instid0(SALU_CYCLE_1)
	s_and_b32 vcc_lo, exec_lo, s13
	s_cbranch_vccz .LBB30_1218
; %bb.1217:
	global_load_u8 v1, v[2:3], off
	s_wait_loadcnt 0x0
	v_lshlrev_b32_e32 v1, 24, v1
	s_delay_alu instid0(VALU_DEP_1) | instskip(NEXT) | instid1(VALU_DEP_1)
	v_and_b32_e32 v6, 0x7f000000, v1
	v_clz_i32_u32_e32 v7, v6
	v_cmp_ne_u32_e32 vcc_lo, 0, v6
	v_add_nc_u32_e32 v9, 0x1000000, v6
	s_delay_alu instid0(VALU_DEP_3) | instskip(NEXT) | instid1(VALU_DEP_1)
	v_min_u32_e32 v7, 32, v7
	v_sub_nc_u32_e64 v7, v7, 4 clamp
	s_delay_alu instid0(VALU_DEP_1) | instskip(NEXT) | instid1(VALU_DEP_1)
	v_dual_lshlrev_b32 v8, v7, v6 :: v_dual_lshlrev_b32 v7, 23, v7
	v_lshrrev_b32_e32 v8, 4, v8
	s_delay_alu instid0(VALU_DEP_1) | instskip(NEXT) | instid1(VALU_DEP_1)
	v_dual_sub_nc_u32 v7, v8, v7 :: v_dual_ashrrev_i32 v8, 8, v9
	v_add_nc_u32_e32 v7, 0x3c000000, v7
	s_delay_alu instid0(VALU_DEP_1) | instskip(NEXT) | instid1(VALU_DEP_1)
	v_and_or_b32 v7, 0x7f800000, v8, v7
	v_cndmask_b32_e32 v6, 0, v7, vcc_lo
	s_delay_alu instid0(VALU_DEP_1) | instskip(SKIP_1) | instid1(VALU_DEP_2)
	v_and_or_b32 v1, 0x80000000, v1, v6
	v_bfe_u32 v6, v6, 16, 1
	v_cmp_o_f32_e32 vcc_lo, v1, v1
	s_delay_alu instid0(VALU_DEP_2) | instskip(NEXT) | instid1(VALU_DEP_1)
	v_add3_u32 v6, v1, v6, 0x7fff
	v_lshrrev_b32_e32 v6, 16, v6
	s_delay_alu instid0(VALU_DEP_1)
	v_cndmask_b32_e32 v6, 0x7fc0, v6, vcc_lo
.LBB30_1218:
	s_mov_b32 s13, 0
.LBB30_1219:
	s_delay_alu instid0(SALU_CYCLE_1)
	s_and_not1_b32 vcc_lo, exec_lo, s13
	s_cbranch_vccnz .LBB30_1221
; %bb.1220:
	global_load_u8 v1, v[2:3], off
	s_wait_loadcnt 0x0
	v_lshlrev_b32_e32 v6, 25, v1
	v_lshlrev_b16 v1, 8, v1
	s_delay_alu instid0(VALU_DEP_1) | instskip(SKIP_1) | instid1(VALU_DEP_2)
	v_and_or_b32 v8, 0x7f00, v1, 0.5
	v_bfe_i32 v1, v1, 0, 16
	v_dual_add_f32 v8, -0.5, v8 :: v_dual_lshrrev_b32 v7, 4, v6
	v_cmp_gt_u32_e32 vcc_lo, 0x8000000, v6
	s_delay_alu instid0(VALU_DEP_2) | instskip(NEXT) | instid1(VALU_DEP_1)
	v_or_b32_e32 v7, 0x70000000, v7
	v_mul_f32_e32 v7, 0x7800000, v7
	s_delay_alu instid0(VALU_DEP_1) | instskip(NEXT) | instid1(VALU_DEP_1)
	v_cndmask_b32_e32 v6, v7, v8, vcc_lo
	v_and_or_b32 v1, 0x80000000, v1, v6
	v_bfe_u32 v6, v6, 16, 1
	s_delay_alu instid0(VALU_DEP_2) | instskip(NEXT) | instid1(VALU_DEP_2)
	v_cmp_o_f32_e32 vcc_lo, v1, v1
	v_add3_u32 v6, v1, v6, 0x7fff
	s_delay_alu instid0(VALU_DEP_1) | instskip(NEXT) | instid1(VALU_DEP_1)
	v_lshrrev_b32_e32 v6, 16, v6
	v_cndmask_b32_e32 v6, 0x7fc0, v6, vcc_lo
.LBB30_1221:
	s_mov_b32 s13, 0
	s_mov_b32 s14, -1
.LBB30_1222:
	s_and_not1_b32 vcc_lo, exec_lo, s13
	s_mov_b32 s13, 0
	s_cbranch_vccnz .LBB30_1233
; %bb.1223:
	s_cmp_gt_i32 s0, 14
	s_cbranch_scc0 .LBB30_1226
; %bb.1224:
	s_cmp_eq_u32 s0, 15
	s_cbranch_scc0 .LBB30_1229
; %bb.1225:
	s_wait_loadcnt 0x0
	global_load_u16 v6, v[2:3], off
	s_mov_b32 s10, 0
	s_mov_b32 s14, -1
	s_branch .LBB30_1231
.LBB30_1226:
	s_mov_b32 s13, -1
	s_branch .LBB30_1230
.LBB30_1227:
	s_or_saveexec_b32 s14, s14
	v_mov_b32_e32 v6, 0x7f800001
	s_xor_b32 exec_lo, exec_lo, s14
	s_cbranch_execz .LBB30_1208
.LBB30_1228:
	v_cmp_ne_u16_e32 vcc_lo, 0, v1
	v_mov_b32_e32 v6, 0
	s_and_not1_b32 s13, s13, exec_lo
	s_and_b32 s15, vcc_lo, exec_lo
	s_delay_alu instid0(SALU_CYCLE_1)
	s_or_b32 s13, s13, s15
	s_or_b32 exec_lo, exec_lo, s14
	s_and_saveexec_b32 s14, s13
	s_cbranch_execnz .LBB30_1209
	s_branch .LBB30_1210
.LBB30_1229:
	s_mov_b32 s10, -1
.LBB30_1230:
                                        ; implicit-def: $vgpr6
.LBB30_1231:
	s_and_b32 vcc_lo, exec_lo, s13
	s_mov_b32 s13, 0
	s_cbranch_vccz .LBB30_1233
; %bb.1232:
	s_cmp_lg_u32 s0, 11
	s_mov_b32 s13, -1
	s_cselect_b32 s10, -1, 0
.LBB30_1233:
	s_delay_alu instid0(SALU_CYCLE_1)
	s_and_b32 vcc_lo, exec_lo, s10
	s_cbranch_vccnz .LBB30_1296
; %bb.1234:
	s_and_not1_b32 vcc_lo, exec_lo, s13
	s_cbranch_vccnz .LBB30_1236
.LBB30_1235:
	global_load_u8 v1, v[2:3], off
	s_mov_b32 s14, -1
	s_wait_loadcnt 0x0
	v_cmp_ne_u16_e32 vcc_lo, 0, v1
	v_cndmask_b32_e64 v1, 0, 1.0, vcc_lo
	s_delay_alu instid0(VALU_DEP_1)
	v_lshrrev_b32_e32 v6, 16, v1
.LBB30_1236:
	s_branch .LBB30_1162
.LBB30_1237:
	s_cmp_lt_i32 s0, 5
	s_cbranch_scc1 .LBB30_1242
; %bb.1238:
	s_cmp_lt_i32 s0, 8
	s_cbranch_scc1 .LBB30_1243
; %bb.1239:
	;; [unrolled: 3-line block ×3, first 2 shown]
	s_cmp_gt_i32 s0, 9
	s_cbranch_scc0 .LBB30_1245
; %bb.1241:
	s_wait_loadcnt 0x0
	global_load_b64 v[6:7], v[2:3], off
	s_mov_b32 s10, 0
	s_wait_loadcnt 0x0
	v_cvt_f32_f64_e32 v1, v[6:7]
	s_delay_alu instid0(VALU_DEP_1) | instskip(SKIP_1) | instid1(VALU_DEP_2)
	v_bfe_u32 v6, v1, 16, 1
	v_cmp_o_f32_e32 vcc_lo, v1, v1
	v_add3_u32 v6, v1, v6, 0x7fff
	s_delay_alu instid0(VALU_DEP_1) | instskip(NEXT) | instid1(VALU_DEP_1)
	v_lshrrev_b32_e32 v6, 16, v6
	v_cndmask_b32_e32 v6, 0x7fc0, v6, vcc_lo
	s_branch .LBB30_1246
.LBB30_1242:
                                        ; implicit-def: $vgpr6
	s_branch .LBB30_1264
.LBB30_1243:
	s_mov_b32 s10, -1
                                        ; implicit-def: $vgpr6
	s_branch .LBB30_1252
.LBB30_1244:
	s_mov_b32 s10, -1
                                        ; implicit-def: $vgpr6
	s_branch .LBB30_1249
.LBB30_1245:
	s_mov_b32 s10, -1
                                        ; implicit-def: $vgpr6
.LBB30_1246:
	s_delay_alu instid0(SALU_CYCLE_1)
	s_and_not1_b32 vcc_lo, exec_lo, s10
	s_cbranch_vccnz .LBB30_1248
; %bb.1247:
	global_load_b32 v1, v[2:3], off
	s_wait_loadcnt 0x0
	v_bfe_u32 v6, v1, 16, 1
	v_cmp_o_f32_e32 vcc_lo, v1, v1
	s_delay_alu instid0(VALU_DEP_2) | instskip(NEXT) | instid1(VALU_DEP_1)
	v_add3_u32 v6, v1, v6, 0x7fff
	v_lshrrev_b32_e32 v6, 16, v6
	s_delay_alu instid0(VALU_DEP_1)
	v_cndmask_b32_e32 v6, 0x7fc0, v6, vcc_lo
.LBB30_1248:
	s_mov_b32 s10, 0
.LBB30_1249:
	s_delay_alu instid0(SALU_CYCLE_1)
	s_and_not1_b32 vcc_lo, exec_lo, s10
	s_cbranch_vccnz .LBB30_1251
; %bb.1250:
	global_load_b32 v1, v[2:3], off
	s_wait_loadcnt 0x0
	v_cvt_f32_f16_e32 v6, v1
	v_cmp_o_f16_e32 vcc_lo, v1, v1
	s_delay_alu instid0(VALU_DEP_2) | instskip(NEXT) | instid1(VALU_DEP_1)
	v_bfe_u32 v7, v6, 16, 1
	v_add3_u32 v6, v6, v7, 0x7fff
	s_delay_alu instid0(VALU_DEP_1) | instskip(NEXT) | instid1(VALU_DEP_1)
	v_lshrrev_b32_e32 v6, 16, v6
	v_cndmask_b32_e32 v6, 0x7fc0, v6, vcc_lo
.LBB30_1251:
	s_mov_b32 s10, 0
.LBB30_1252:
	s_delay_alu instid0(SALU_CYCLE_1)
	s_and_not1_b32 vcc_lo, exec_lo, s10
	s_cbranch_vccnz .LBB30_1263
; %bb.1253:
	s_cmp_lt_i32 s0, 6
	s_cbranch_scc1 .LBB30_1256
; %bb.1254:
	s_cmp_gt_i32 s0, 6
	s_cbranch_scc0 .LBB30_1257
; %bb.1255:
	s_wait_loadcnt 0x0
	global_load_b64 v[6:7], v[2:3], off
	s_mov_b32 s10, 0
	s_wait_loadcnt 0x0
	v_cvt_f32_f64_e32 v1, v[6:7]
	s_delay_alu instid0(VALU_DEP_1) | instskip(SKIP_1) | instid1(VALU_DEP_2)
	v_bfe_u32 v6, v1, 16, 1
	v_cmp_o_f32_e32 vcc_lo, v1, v1
	v_add3_u32 v6, v1, v6, 0x7fff
	s_delay_alu instid0(VALU_DEP_1) | instskip(NEXT) | instid1(VALU_DEP_1)
	v_lshrrev_b32_e32 v6, 16, v6
	v_cndmask_b32_e32 v6, 0x7fc0, v6, vcc_lo
	s_branch .LBB30_1258
.LBB30_1256:
	s_mov_b32 s10, -1
                                        ; implicit-def: $vgpr6
	s_branch .LBB30_1261
.LBB30_1257:
	s_mov_b32 s10, -1
                                        ; implicit-def: $vgpr6
.LBB30_1258:
	s_delay_alu instid0(SALU_CYCLE_1)
	s_and_not1_b32 vcc_lo, exec_lo, s10
	s_cbranch_vccnz .LBB30_1260
; %bb.1259:
	global_load_b32 v1, v[2:3], off
	s_wait_loadcnt 0x0
	v_bfe_u32 v6, v1, 16, 1
	v_cmp_o_f32_e32 vcc_lo, v1, v1
	s_delay_alu instid0(VALU_DEP_2) | instskip(NEXT) | instid1(VALU_DEP_1)
	v_add3_u32 v6, v1, v6, 0x7fff
	v_lshrrev_b32_e32 v6, 16, v6
	s_delay_alu instid0(VALU_DEP_1)
	v_cndmask_b32_e32 v6, 0x7fc0, v6, vcc_lo
.LBB30_1260:
	s_mov_b32 s10, 0
.LBB30_1261:
	s_delay_alu instid0(SALU_CYCLE_1)
	s_and_not1_b32 vcc_lo, exec_lo, s10
	s_cbranch_vccnz .LBB30_1263
; %bb.1262:
	global_load_u16 v1, v[2:3], off
	s_wait_loadcnt 0x0
	v_cvt_f32_f16_e32 v6, v1
	v_cmp_o_f16_e32 vcc_lo, v1, v1
	s_delay_alu instid0(VALU_DEP_2) | instskip(NEXT) | instid1(VALU_DEP_1)
	v_bfe_u32 v7, v6, 16, 1
	v_add3_u32 v6, v6, v7, 0x7fff
	s_delay_alu instid0(VALU_DEP_1) | instskip(NEXT) | instid1(VALU_DEP_1)
	v_lshrrev_b32_e32 v6, 16, v6
	v_cndmask_b32_e32 v6, 0x7fc0, v6, vcc_lo
.LBB30_1263:
	s_cbranch_execnz .LBB30_1283
.LBB30_1264:
	s_cmp_lt_i32 s0, 2
	s_cbranch_scc1 .LBB30_1268
; %bb.1265:
	s_cmp_lt_i32 s0, 3
	s_cbranch_scc1 .LBB30_1269
; %bb.1266:
	s_cmp_gt_i32 s0, 3
	s_cbranch_scc0 .LBB30_1270
; %bb.1267:
	s_wait_loadcnt 0x0
	global_load_b64 v[6:7], v[2:3], off
	s_mov_b32 s10, 0
	s_wait_loadcnt 0x0
	v_xor_b32_e32 v1, v6, v7
	v_cls_i32_e32 v8, v7
	s_delay_alu instid0(VALU_DEP_2) | instskip(NEXT) | instid1(VALU_DEP_1)
	v_ashrrev_i32_e32 v1, 31, v1
	v_add_nc_u32_e32 v1, 32, v1
	s_delay_alu instid0(VALU_DEP_1) | instskip(NEXT) | instid1(VALU_DEP_1)
	v_add_min_u32_e64 v1, v8, -1, v1
	v_lshlrev_b64_e32 v[6:7], v1, v[6:7]
	v_sub_nc_u32_e32 v1, 32, v1
	s_delay_alu instid0(VALU_DEP_2) | instskip(NEXT) | instid1(VALU_DEP_1)
	v_min_u32_e32 v6, 1, v6
	v_or_b32_e32 v6, v7, v6
	s_delay_alu instid0(VALU_DEP_1) | instskip(NEXT) | instid1(VALU_DEP_1)
	v_cvt_f32_i32_e32 v6, v6
	v_ldexp_f32 v1, v6, v1
	s_delay_alu instid0(VALU_DEP_1) | instskip(NEXT) | instid1(VALU_DEP_1)
	v_bfe_u32 v6, v1, 16, 1
	v_add3_u32 v1, v1, v6, 0x7fff
	s_delay_alu instid0(VALU_DEP_1)
	v_lshrrev_b32_e32 v6, 16, v1
	s_branch .LBB30_1271
.LBB30_1268:
	s_mov_b32 s10, -1
                                        ; implicit-def: $vgpr6
	s_branch .LBB30_1277
.LBB30_1269:
	s_mov_b32 s10, -1
                                        ; implicit-def: $vgpr6
	s_branch .LBB30_1274
.LBB30_1270:
	s_mov_b32 s10, -1
                                        ; implicit-def: $vgpr6
.LBB30_1271:
	s_delay_alu instid0(SALU_CYCLE_1)
	s_and_not1_b32 vcc_lo, exec_lo, s10
	s_cbranch_vccnz .LBB30_1273
; %bb.1272:
	global_load_b32 v1, v[2:3], off
	s_wait_loadcnt 0x0
	v_cvt_f32_i32_e32 v1, v1
	s_delay_alu instid0(VALU_DEP_1) | instskip(NEXT) | instid1(VALU_DEP_1)
	v_bfe_u32 v6, v1, 16, 1
	v_add3_u32 v1, v1, v6, 0x7fff
	s_delay_alu instid0(VALU_DEP_1)
	v_lshrrev_b32_e32 v6, 16, v1
.LBB30_1273:
	s_mov_b32 s10, 0
.LBB30_1274:
	s_delay_alu instid0(SALU_CYCLE_1)
	s_and_not1_b32 vcc_lo, exec_lo, s10
	s_cbranch_vccnz .LBB30_1276
; %bb.1275:
	global_load_i16 v1, v[2:3], off
	s_wait_loadcnt 0x0
	v_cvt_f32_i32_e32 v1, v1
	s_delay_alu instid0(VALU_DEP_1) | instskip(NEXT) | instid1(VALU_DEP_1)
	v_bfe_u32 v6, v1, 16, 1
	v_add3_u32 v1, v1, v6, 0x7fff
	s_delay_alu instid0(VALU_DEP_1)
	v_lshrrev_b32_e32 v6, 16, v1
.LBB30_1276:
	s_mov_b32 s10, 0
.LBB30_1277:
	s_delay_alu instid0(SALU_CYCLE_1)
	s_and_not1_b32 vcc_lo, exec_lo, s10
	s_cbranch_vccnz .LBB30_1283
; %bb.1278:
	s_cmp_gt_i32 s0, 0
	s_mov_b32 s10, 0
	s_cbranch_scc0 .LBB30_1280
; %bb.1279:
	global_load_i8 v1, v[2:3], off
	s_wait_loadcnt 0x0
	v_cvt_f32_i32_e32 v1, v1
	s_delay_alu instid0(VALU_DEP_1) | instskip(NEXT) | instid1(VALU_DEP_1)
	v_bfe_u32 v6, v1, 16, 1
	v_add3_u32 v1, v1, v6, 0x7fff
	s_delay_alu instid0(VALU_DEP_1)
	v_lshrrev_b32_e32 v6, 16, v1
	s_branch .LBB30_1281
.LBB30_1280:
	s_mov_b32 s10, -1
                                        ; implicit-def: $vgpr6
.LBB30_1281:
	s_delay_alu instid0(SALU_CYCLE_1)
	s_and_not1_b32 vcc_lo, exec_lo, s10
	s_cbranch_vccnz .LBB30_1283
; %bb.1282:
	global_load_u8 v1, v[2:3], off
	s_wait_loadcnt 0x0
	v_cvt_f32_ubyte0_e32 v1, v1
	s_wait_xcnt 0x0
	s_delay_alu instid0(VALU_DEP_1) | instskip(NEXT) | instid1(VALU_DEP_1)
	v_bfe_u32 v2, v1, 16, 1
	v_add3_u32 v1, v1, v2, 0x7fff
	s_delay_alu instid0(VALU_DEP_1)
	v_lshrrev_b32_e32 v6, 16, v1
.LBB30_1283:
.LBB30_1284:
	v_add_nc_u32_e32 v0, s9, v0
	s_cmp_lt_i32 s0, 11
	s_delay_alu instid0(VALU_DEP_1) | instskip(SKIP_1) | instid1(VALU_DEP_1)
	v_ashrrev_i32_e32 v1, 31, v0
	s_wait_xcnt 0x0
	v_add_nc_u64_e32 v[2:3], s[6:7], v[0:1]
	s_cbranch_scc1 .LBB30_1291
; %bb.1285:
	s_cmp_gt_i32 s0, 25
	s_mov_b32 s13, 0
	s_cbranch_scc0 .LBB30_1293
; %bb.1286:
	s_cmp_gt_i32 s0, 28
	s_cbranch_scc0 .LBB30_1294
; %bb.1287:
	s_cmp_gt_i32 s0, 43
	;; [unrolled: 3-line block ×3, first 2 shown]
	s_cbranch_scc0 .LBB30_1297
; %bb.1289:
	s_cmp_eq_u32 s0, 46
	s_mov_b32 s15, 0
	s_cbranch_scc0 .LBB30_1298
; %bb.1290:
	global_load_b32 v7, v[2:3], off
	s_mov_b32 s10, 0
	s_mov_b32 s14, -1
	s_branch .LBB30_1300
.LBB30_1291:
	s_mov_b32 s14, 0
                                        ; implicit-def: $vgpr7
	s_cbranch_execnz .LBB30_1366
.LBB30_1292:
	s_and_not1_b32 vcc_lo, exec_lo, s14
	s_cbranch_vccz .LBB30_1414
	s_branch .LBB30_1975
.LBB30_1293:
	s_mov_b32 s15, -1
	s_mov_b32 s14, 0
	s_mov_b32 s10, 0
                                        ; implicit-def: $vgpr7
	s_branch .LBB30_1329
.LBB30_1294:
	s_mov_b32 s15, -1
	s_mov_b32 s14, 0
	s_mov_b32 s10, 0
                                        ; implicit-def: $vgpr7
	s_branch .LBB30_1310
.LBB30_1295:
	s_mov_b32 s15, -1
	s_mov_b32 s14, 0
	s_mov_b32 s10, 0
                                        ; implicit-def: $vgpr7
	s_branch .LBB30_1305
.LBB30_1296:
	s_or_b32 s3, s3, exec_lo
	s_trap 2
	s_cbranch_execz .LBB30_1235
	s_branch .LBB30_1236
.LBB30_1297:
	s_mov_b32 s15, -1
	s_mov_b32 s14, 0
	s_mov_b32 s10, 0
	s_branch .LBB30_1299
.LBB30_1298:
	s_mov_b32 s10, -1
	s_mov_b32 s14, 0
.LBB30_1299:
                                        ; implicit-def: $vgpr7
.LBB30_1300:
	s_and_b32 vcc_lo, exec_lo, s15
	s_cbranch_vccz .LBB30_1304
; %bb.1301:
	s_cmp_eq_u32 s0, 44
	s_cbranch_scc0 .LBB30_1303
; %bb.1302:
	global_load_u8 v1, v[2:3], off
	s_mov_b32 s10, 0
	s_mov_b32 s14, -1
	s_wait_loadcnt 0x0
	v_lshlrev_b32_e32 v7, 23, v1
	v_cmp_ne_u32_e32 vcc_lo, 0xff, v1
	s_delay_alu instid0(VALU_DEP_2) | instskip(SKIP_1) | instid1(VALU_DEP_2)
	v_cndmask_b32_e32 v7, 0x7f800001, v7, vcc_lo
	v_cmp_ne_u32_e32 vcc_lo, 0, v1
	v_cndmask_b32_e32 v1, 0x400000, v7, vcc_lo
	s_delay_alu instid0(VALU_DEP_1) | instskip(SKIP_1) | instid1(VALU_DEP_2)
	v_add_nc_u32_e32 v7, 0x7fff, v1
	v_cmp_o_f32_e32 vcc_lo, v1, v1
	v_lshrrev_b32_e32 v7, 16, v7
	s_delay_alu instid0(VALU_DEP_1)
	v_cndmask_b32_e32 v7, 0x7fc0, v7, vcc_lo
	s_branch .LBB30_1304
.LBB30_1303:
	s_mov_b32 s10, -1
                                        ; implicit-def: $vgpr7
.LBB30_1304:
	s_mov_b32 s15, 0
.LBB30_1305:
	s_delay_alu instid0(SALU_CYCLE_1)
	s_and_b32 vcc_lo, exec_lo, s15
	s_cbranch_vccz .LBB30_1309
; %bb.1306:
	s_cmp_eq_u32 s0, 29
	s_cbranch_scc0 .LBB30_1308
; %bb.1307:
	global_load_b64 v[8:9], v[2:3], off
	s_mov_b32 s10, 0
	s_mov_b32 s14, -1
	s_mov_b32 s15, 0
	s_wait_loadcnt 0x0
	v_clz_i32_u32_e32 v1, v9
	s_delay_alu instid0(VALU_DEP_1) | instskip(NEXT) | instid1(VALU_DEP_1)
	v_min_u32_e32 v1, 32, v1
	v_lshlrev_b64_e32 v[8:9], v1, v[8:9]
	v_sub_nc_u32_e32 v1, 32, v1
	s_delay_alu instid0(VALU_DEP_2) | instskip(NEXT) | instid1(VALU_DEP_1)
	v_min_u32_e32 v7, 1, v8
	v_or_b32_e32 v7, v9, v7
	s_delay_alu instid0(VALU_DEP_1) | instskip(NEXT) | instid1(VALU_DEP_1)
	v_cvt_f32_u32_e32 v7, v7
	v_ldexp_f32 v1, v7, v1
	s_delay_alu instid0(VALU_DEP_1) | instskip(NEXT) | instid1(VALU_DEP_1)
	v_bfe_u32 v7, v1, 16, 1
	v_add3_u32 v1, v1, v7, 0x7fff
	s_delay_alu instid0(VALU_DEP_1)
	v_lshrrev_b32_e32 v7, 16, v1
	s_branch .LBB30_1310
.LBB30_1308:
	s_mov_b32 s10, -1
                                        ; implicit-def: $vgpr7
.LBB30_1309:
	s_mov_b32 s15, 0
.LBB30_1310:
	s_delay_alu instid0(SALU_CYCLE_1)
	s_and_b32 vcc_lo, exec_lo, s15
	s_cbranch_vccz .LBB30_1328
; %bb.1311:
	s_cmp_lt_i32 s0, 27
	s_cbranch_scc1 .LBB30_1314
; %bb.1312:
	s_cmp_gt_i32 s0, 27
	s_cbranch_scc0 .LBB30_1315
; %bb.1313:
	global_load_b32 v1, v[2:3], off
	s_mov_b32 s14, 0
	s_wait_loadcnt 0x0
	v_cvt_f32_u32_e32 v1, v1
	s_delay_alu instid0(VALU_DEP_1) | instskip(NEXT) | instid1(VALU_DEP_1)
	v_bfe_u32 v7, v1, 16, 1
	v_add3_u32 v1, v1, v7, 0x7fff
	s_delay_alu instid0(VALU_DEP_1)
	v_lshrrev_b32_e32 v7, 16, v1
	s_branch .LBB30_1316
.LBB30_1314:
	s_mov_b32 s14, -1
                                        ; implicit-def: $vgpr7
	s_branch .LBB30_1319
.LBB30_1315:
	s_mov_b32 s14, -1
                                        ; implicit-def: $vgpr7
.LBB30_1316:
	s_delay_alu instid0(SALU_CYCLE_1)
	s_and_not1_b32 vcc_lo, exec_lo, s14
	s_cbranch_vccnz .LBB30_1318
; %bb.1317:
	global_load_u16 v1, v[2:3], off
	s_wait_loadcnt 0x0
	v_cvt_f32_u32_e32 v1, v1
	s_delay_alu instid0(VALU_DEP_1) | instskip(NEXT) | instid1(VALU_DEP_1)
	v_bfe_u32 v7, v1, 16, 1
	v_add3_u32 v1, v1, v7, 0x7fff
	s_delay_alu instid0(VALU_DEP_1)
	v_lshrrev_b32_e32 v7, 16, v1
.LBB30_1318:
	s_mov_b32 s14, 0
.LBB30_1319:
	s_delay_alu instid0(SALU_CYCLE_1)
	s_and_not1_b32 vcc_lo, exec_lo, s14
	s_cbranch_vccnz .LBB30_1327
; %bb.1320:
	global_load_u8 v1, v[2:3], off
	s_mov_b32 s14, 0
	s_mov_b32 s15, exec_lo
	s_wait_loadcnt 0x0
	v_cmpx_lt_i16_e32 0x7f, v1
	s_xor_b32 s15, exec_lo, s15
	s_cbranch_execz .LBB30_1341
; %bb.1321:
	s_mov_b32 s14, -1
	s_mov_b32 s16, exec_lo
	v_cmpx_eq_u16_e32 0x80, v1
; %bb.1322:
	s_xor_b32 s14, exec_lo, -1
; %bb.1323:
	s_or_b32 exec_lo, exec_lo, s16
	s_delay_alu instid0(SALU_CYCLE_1)
	s_and_b32 s14, s14, exec_lo
	s_or_saveexec_b32 s15, s15
	v_mov_b32_e32 v7, 0x7f800001
	s_xor_b32 exec_lo, exec_lo, s15
	s_cbranch_execnz .LBB30_1342
.LBB30_1324:
	s_or_b32 exec_lo, exec_lo, s15
	s_and_saveexec_b32 s15, s14
	s_cbranch_execz .LBB30_1326
.LBB30_1325:
	v_and_b32_e32 v7, 0xffff, v1
	s_delay_alu instid0(VALU_DEP_1) | instskip(SKIP_1) | instid1(VALU_DEP_2)
	v_and_b32_e32 v8, 7, v7
	v_bfe_u32 v11, v7, 3, 4
	v_clz_i32_u32_e32 v9, v8
	s_delay_alu instid0(VALU_DEP_2) | instskip(NEXT) | instid1(VALU_DEP_2)
	v_cmp_eq_u32_e32 vcc_lo, 0, v11
	v_min_u32_e32 v9, 32, v9
	s_delay_alu instid0(VALU_DEP_1) | instskip(NEXT) | instid1(VALU_DEP_1)
	v_subrev_nc_u32_e32 v10, 28, v9
	v_dual_lshlrev_b32 v7, v10, v7 :: v_dual_sub_nc_u32 v9, 29, v9
	s_delay_alu instid0(VALU_DEP_1) | instskip(NEXT) | instid1(VALU_DEP_1)
	v_dual_lshlrev_b32 v1, 24, v1 :: v_dual_bitop2_b32 v7, 7, v7 bitop3:0x40
	v_dual_cndmask_b32 v7, v8, v7, vcc_lo :: v_dual_cndmask_b32 v9, v11, v9, vcc_lo
	s_delay_alu instid0(VALU_DEP_2) | instskip(NEXT) | instid1(VALU_DEP_2)
	v_and_b32_e32 v1, 0x80000000, v1
	v_lshlrev_b32_e32 v7, 20, v7
	s_delay_alu instid0(VALU_DEP_3) | instskip(NEXT) | instid1(VALU_DEP_1)
	v_lshl_add_u32 v8, v9, 23, 0x3b800000
	v_or3_b32 v7, v1, v8, v7
.LBB30_1326:
	s_or_b32 exec_lo, exec_lo, s15
	s_delay_alu instid0(VALU_DEP_1) | instskip(SKIP_1) | instid1(VALU_DEP_2)
	v_bfe_u32 v1, v7, 16, 1
	v_cmp_o_f32_e32 vcc_lo, v7, v7
	v_add3_u32 v1, v7, v1, 0x7fff
	s_delay_alu instid0(VALU_DEP_1) | instskip(NEXT) | instid1(VALU_DEP_1)
	v_lshrrev_b32_e32 v1, 16, v1
	v_cndmask_b32_e32 v7, 0x7fc0, v1, vcc_lo
.LBB30_1327:
	s_mov_b32 s14, -1
.LBB30_1328:
	s_mov_b32 s15, 0
.LBB30_1329:
	s_delay_alu instid0(SALU_CYCLE_1)
	s_and_b32 vcc_lo, exec_lo, s15
	s_cbranch_vccz .LBB30_1362
; %bb.1330:
	s_cmp_gt_i32 s0, 22
	s_cbranch_scc0 .LBB30_1340
; %bb.1331:
	s_cmp_lt_i32 s0, 24
	s_cbranch_scc1 .LBB30_1343
; %bb.1332:
	s_cmp_gt_i32 s0, 24
	s_cbranch_scc0 .LBB30_1344
; %bb.1333:
	global_load_u8 v1, v[2:3], off
	s_mov_b32 s14, exec_lo
	s_wait_loadcnt 0x0
	v_cmpx_lt_i16_e32 0x7f, v1
	s_xor_b32 s14, exec_lo, s14
	s_cbranch_execz .LBB30_1356
; %bb.1334:
	s_mov_b32 s13, -1
	s_mov_b32 s15, exec_lo
	v_cmpx_eq_u16_e32 0x80, v1
; %bb.1335:
	s_xor_b32 s13, exec_lo, -1
; %bb.1336:
	s_or_b32 exec_lo, exec_lo, s15
	s_delay_alu instid0(SALU_CYCLE_1)
	s_and_b32 s13, s13, exec_lo
	s_or_saveexec_b32 s14, s14
	v_mov_b32_e32 v7, 0x7f800001
	s_xor_b32 exec_lo, exec_lo, s14
	s_cbranch_execnz .LBB30_1357
.LBB30_1337:
	s_or_b32 exec_lo, exec_lo, s14
	s_and_saveexec_b32 s14, s13
	s_cbranch_execz .LBB30_1339
.LBB30_1338:
	v_and_b32_e32 v7, 0xffff, v1
	s_delay_alu instid0(VALU_DEP_1) | instskip(SKIP_1) | instid1(VALU_DEP_2)
	v_and_b32_e32 v8, 3, v7
	v_bfe_u32 v11, v7, 2, 5
	v_clz_i32_u32_e32 v9, v8
	s_delay_alu instid0(VALU_DEP_2) | instskip(NEXT) | instid1(VALU_DEP_2)
	v_cmp_eq_u32_e32 vcc_lo, 0, v11
	v_min_u32_e32 v9, 32, v9
	s_delay_alu instid0(VALU_DEP_1) | instskip(NEXT) | instid1(VALU_DEP_1)
	v_subrev_nc_u32_e32 v10, 29, v9
	v_dual_lshlrev_b32 v7, v10, v7 :: v_dual_sub_nc_u32 v9, 30, v9
	s_delay_alu instid0(VALU_DEP_1) | instskip(NEXT) | instid1(VALU_DEP_1)
	v_dual_lshlrev_b32 v1, 24, v1 :: v_dual_bitop2_b32 v7, 3, v7 bitop3:0x40
	v_dual_cndmask_b32 v7, v8, v7, vcc_lo :: v_dual_cndmask_b32 v9, v11, v9, vcc_lo
	s_delay_alu instid0(VALU_DEP_2) | instskip(NEXT) | instid1(VALU_DEP_2)
	v_and_b32_e32 v1, 0x80000000, v1
	v_lshlrev_b32_e32 v7, 21, v7
	s_delay_alu instid0(VALU_DEP_3) | instskip(NEXT) | instid1(VALU_DEP_1)
	v_lshl_add_u32 v8, v9, 23, 0x37800000
	v_or3_b32 v7, v1, v8, v7
.LBB30_1339:
	s_or_b32 exec_lo, exec_lo, s14
	s_delay_alu instid0(VALU_DEP_1) | instskip(SKIP_2) | instid1(VALU_DEP_2)
	v_bfe_u32 v1, v7, 16, 1
	v_cmp_o_f32_e32 vcc_lo, v7, v7
	s_mov_b32 s13, 0
	v_add3_u32 v1, v7, v1, 0x7fff
	s_delay_alu instid0(VALU_DEP_1) | instskip(NEXT) | instid1(VALU_DEP_1)
	v_lshrrev_b32_e32 v1, 16, v1
	v_cndmask_b32_e32 v7, 0x7fc0, v1, vcc_lo
	s_branch .LBB30_1345
.LBB30_1340:
	s_mov_b32 s13, -1
                                        ; implicit-def: $vgpr7
	s_branch .LBB30_1351
.LBB30_1341:
	s_or_saveexec_b32 s15, s15
	v_mov_b32_e32 v7, 0x7f800001
	s_xor_b32 exec_lo, exec_lo, s15
	s_cbranch_execz .LBB30_1324
.LBB30_1342:
	v_cmp_ne_u16_e32 vcc_lo, 0, v1
	v_mov_b32_e32 v7, 0
	s_and_not1_b32 s14, s14, exec_lo
	s_and_b32 s16, vcc_lo, exec_lo
	s_delay_alu instid0(SALU_CYCLE_1)
	s_or_b32 s14, s14, s16
	s_or_b32 exec_lo, exec_lo, s15
	s_and_saveexec_b32 s15, s14
	s_cbranch_execnz .LBB30_1325
	s_branch .LBB30_1326
.LBB30_1343:
	s_mov_b32 s13, -1
                                        ; implicit-def: $vgpr7
	s_branch .LBB30_1348
.LBB30_1344:
	s_mov_b32 s13, -1
                                        ; implicit-def: $vgpr7
.LBB30_1345:
	s_delay_alu instid0(SALU_CYCLE_1)
	s_and_b32 vcc_lo, exec_lo, s13
	s_cbranch_vccz .LBB30_1347
; %bb.1346:
	global_load_u8 v1, v[2:3], off
	s_wait_loadcnt 0x0
	v_lshlrev_b32_e32 v1, 24, v1
	s_delay_alu instid0(VALU_DEP_1) | instskip(NEXT) | instid1(VALU_DEP_1)
	v_and_b32_e32 v7, 0x7f000000, v1
	v_clz_i32_u32_e32 v8, v7
	v_cmp_ne_u32_e32 vcc_lo, 0, v7
	v_add_nc_u32_e32 v10, 0x1000000, v7
	s_delay_alu instid0(VALU_DEP_3) | instskip(NEXT) | instid1(VALU_DEP_1)
	v_min_u32_e32 v8, 32, v8
	v_sub_nc_u32_e64 v8, v8, 4 clamp
	s_delay_alu instid0(VALU_DEP_1) | instskip(NEXT) | instid1(VALU_DEP_1)
	v_dual_lshlrev_b32 v9, v8, v7 :: v_dual_lshlrev_b32 v8, 23, v8
	v_lshrrev_b32_e32 v9, 4, v9
	s_delay_alu instid0(VALU_DEP_1) | instskip(NEXT) | instid1(VALU_DEP_1)
	v_dual_sub_nc_u32 v8, v9, v8 :: v_dual_ashrrev_i32 v9, 8, v10
	v_add_nc_u32_e32 v8, 0x3c000000, v8
	s_delay_alu instid0(VALU_DEP_1) | instskip(NEXT) | instid1(VALU_DEP_1)
	v_and_or_b32 v8, 0x7f800000, v9, v8
	v_cndmask_b32_e32 v7, 0, v8, vcc_lo
	s_delay_alu instid0(VALU_DEP_1) | instskip(SKIP_1) | instid1(VALU_DEP_2)
	v_and_or_b32 v1, 0x80000000, v1, v7
	v_bfe_u32 v7, v7, 16, 1
	v_cmp_o_f32_e32 vcc_lo, v1, v1
	s_delay_alu instid0(VALU_DEP_2) | instskip(NEXT) | instid1(VALU_DEP_1)
	v_add3_u32 v7, v1, v7, 0x7fff
	v_lshrrev_b32_e32 v7, 16, v7
	s_delay_alu instid0(VALU_DEP_1)
	v_cndmask_b32_e32 v7, 0x7fc0, v7, vcc_lo
.LBB30_1347:
	s_mov_b32 s13, 0
.LBB30_1348:
	s_delay_alu instid0(SALU_CYCLE_1)
	s_and_not1_b32 vcc_lo, exec_lo, s13
	s_cbranch_vccnz .LBB30_1350
; %bb.1349:
	global_load_u8 v1, v[2:3], off
	s_wait_loadcnt 0x0
	v_lshlrev_b32_e32 v7, 25, v1
	v_lshlrev_b16 v1, 8, v1
	s_delay_alu instid0(VALU_DEP_1) | instskip(NEXT) | instid1(VALU_DEP_3)
	v_and_or_b32 v9, 0x7f00, v1, 0.5
	v_lshrrev_b32_e32 v8, 4, v7
	v_bfe_i32 v1, v1, 0, 16
	s_delay_alu instid0(VALU_DEP_3) | instskip(NEXT) | instid1(VALU_DEP_3)
	v_add_f32_e32 v9, -0.5, v9
	v_or_b32_e32 v8, 0x70000000, v8
	s_delay_alu instid0(VALU_DEP_1) | instskip(SKIP_1) | instid1(VALU_DEP_2)
	v_mul_f32_e32 v8, 0x7800000, v8
	v_cmp_gt_u32_e32 vcc_lo, 0x8000000, v7
	v_cndmask_b32_e32 v7, v8, v9, vcc_lo
	s_delay_alu instid0(VALU_DEP_1) | instskip(SKIP_1) | instid1(VALU_DEP_2)
	v_and_or_b32 v1, 0x80000000, v1, v7
	v_bfe_u32 v7, v7, 16, 1
	v_cmp_o_f32_e32 vcc_lo, v1, v1
	s_delay_alu instid0(VALU_DEP_2) | instskip(NEXT) | instid1(VALU_DEP_1)
	v_add3_u32 v7, v1, v7, 0x7fff
	v_lshrrev_b32_e32 v7, 16, v7
	s_delay_alu instid0(VALU_DEP_1)
	v_cndmask_b32_e32 v7, 0x7fc0, v7, vcc_lo
.LBB30_1350:
	s_mov_b32 s13, 0
	s_mov_b32 s14, -1
.LBB30_1351:
	s_and_not1_b32 vcc_lo, exec_lo, s13
	s_mov_b32 s13, 0
	s_cbranch_vccnz .LBB30_1362
; %bb.1352:
	s_cmp_gt_i32 s0, 14
	s_cbranch_scc0 .LBB30_1355
; %bb.1353:
	s_cmp_eq_u32 s0, 15
	s_cbranch_scc0 .LBB30_1358
; %bb.1354:
	s_wait_loadcnt 0x0
	global_load_u16 v7, v[2:3], off
	s_mov_b32 s10, 0
	s_mov_b32 s14, -1
	s_branch .LBB30_1360
.LBB30_1355:
	s_mov_b32 s13, -1
	s_branch .LBB30_1359
.LBB30_1356:
	s_or_saveexec_b32 s14, s14
	v_mov_b32_e32 v7, 0x7f800001
	s_xor_b32 exec_lo, exec_lo, s14
	s_cbranch_execz .LBB30_1337
.LBB30_1357:
	v_cmp_ne_u16_e32 vcc_lo, 0, v1
	v_mov_b32_e32 v7, 0
	s_and_not1_b32 s13, s13, exec_lo
	s_and_b32 s15, vcc_lo, exec_lo
	s_delay_alu instid0(SALU_CYCLE_1)
	s_or_b32 s13, s13, s15
	s_or_b32 exec_lo, exec_lo, s14
	s_and_saveexec_b32 s14, s13
	s_cbranch_execnz .LBB30_1338
	s_branch .LBB30_1339
.LBB30_1358:
	s_mov_b32 s10, -1
.LBB30_1359:
                                        ; implicit-def: $vgpr7
.LBB30_1360:
	s_and_b32 vcc_lo, exec_lo, s13
	s_mov_b32 s13, 0
	s_cbranch_vccz .LBB30_1362
; %bb.1361:
	s_cmp_lg_u32 s0, 11
	s_mov_b32 s13, -1
	s_cselect_b32 s10, -1, 0
.LBB30_1362:
	s_delay_alu instid0(SALU_CYCLE_1)
	s_and_b32 vcc_lo, exec_lo, s10
	s_cbranch_vccnz .LBB30_1425
; %bb.1363:
	s_and_not1_b32 vcc_lo, exec_lo, s13
	s_cbranch_vccnz .LBB30_1365
.LBB30_1364:
	global_load_u8 v1, v[2:3], off
	s_mov_b32 s14, -1
	s_wait_loadcnt 0x0
	v_cmp_ne_u16_e32 vcc_lo, 0, v1
	v_cndmask_b32_e64 v1, 0, 1.0, vcc_lo
	s_delay_alu instid0(VALU_DEP_1)
	v_lshrrev_b32_e32 v7, 16, v1
.LBB30_1365:
	s_branch .LBB30_1292
.LBB30_1366:
	s_cmp_lt_i32 s0, 5
	s_cbranch_scc1 .LBB30_1371
; %bb.1367:
	s_cmp_lt_i32 s0, 8
	s_cbranch_scc1 .LBB30_1372
; %bb.1368:
	;; [unrolled: 3-line block ×3, first 2 shown]
	s_cmp_gt_i32 s0, 9
	s_cbranch_scc0 .LBB30_1374
; %bb.1370:
	global_load_b64 v[8:9], v[2:3], off
	s_mov_b32 s10, 0
	s_wait_loadcnt 0x0
	v_cvt_f32_f64_e32 v1, v[8:9]
	s_delay_alu instid0(VALU_DEP_1) | instskip(SKIP_1) | instid1(VALU_DEP_2)
	v_bfe_u32 v7, v1, 16, 1
	v_cmp_o_f32_e32 vcc_lo, v1, v1
	v_add3_u32 v7, v1, v7, 0x7fff
	s_delay_alu instid0(VALU_DEP_1) | instskip(NEXT) | instid1(VALU_DEP_1)
	v_lshrrev_b32_e32 v7, 16, v7
	v_cndmask_b32_e32 v7, 0x7fc0, v7, vcc_lo
	s_branch .LBB30_1375
.LBB30_1371:
	s_mov_b32 s10, -1
                                        ; implicit-def: $vgpr7
	s_branch .LBB30_1393
.LBB30_1372:
	s_mov_b32 s10, -1
                                        ; implicit-def: $vgpr7
	s_branch .LBB30_1381
.LBB30_1373:
	s_mov_b32 s10, -1
                                        ; implicit-def: $vgpr7
	s_branch .LBB30_1378
.LBB30_1374:
	s_mov_b32 s10, -1
                                        ; implicit-def: $vgpr7
.LBB30_1375:
	s_delay_alu instid0(SALU_CYCLE_1)
	s_and_not1_b32 vcc_lo, exec_lo, s10
	s_cbranch_vccnz .LBB30_1377
; %bb.1376:
	global_load_b32 v1, v[2:3], off
	s_wait_loadcnt 0x0
	v_bfe_u32 v7, v1, 16, 1
	v_cmp_o_f32_e32 vcc_lo, v1, v1
	s_delay_alu instid0(VALU_DEP_2) | instskip(NEXT) | instid1(VALU_DEP_1)
	v_add3_u32 v7, v1, v7, 0x7fff
	v_lshrrev_b32_e32 v7, 16, v7
	s_delay_alu instid0(VALU_DEP_1)
	v_cndmask_b32_e32 v7, 0x7fc0, v7, vcc_lo
.LBB30_1377:
	s_mov_b32 s10, 0
.LBB30_1378:
	s_delay_alu instid0(SALU_CYCLE_1)
	s_and_not1_b32 vcc_lo, exec_lo, s10
	s_cbranch_vccnz .LBB30_1380
; %bb.1379:
	global_load_b32 v1, v[2:3], off
	s_wait_loadcnt 0x0
	v_cvt_f32_f16_e32 v7, v1
	v_cmp_o_f16_e32 vcc_lo, v1, v1
	s_delay_alu instid0(VALU_DEP_2) | instskip(NEXT) | instid1(VALU_DEP_1)
	v_bfe_u32 v8, v7, 16, 1
	v_add3_u32 v7, v7, v8, 0x7fff
	s_delay_alu instid0(VALU_DEP_1) | instskip(NEXT) | instid1(VALU_DEP_1)
	v_lshrrev_b32_e32 v7, 16, v7
	v_cndmask_b32_e32 v7, 0x7fc0, v7, vcc_lo
.LBB30_1380:
	s_mov_b32 s10, 0
.LBB30_1381:
	s_delay_alu instid0(SALU_CYCLE_1)
	s_and_not1_b32 vcc_lo, exec_lo, s10
	s_cbranch_vccnz .LBB30_1392
; %bb.1382:
	s_cmp_lt_i32 s0, 6
	s_cbranch_scc1 .LBB30_1385
; %bb.1383:
	s_cmp_gt_i32 s0, 6
	s_cbranch_scc0 .LBB30_1386
; %bb.1384:
	global_load_b64 v[8:9], v[2:3], off
	s_mov_b32 s10, 0
	s_wait_loadcnt 0x0
	v_cvt_f32_f64_e32 v1, v[8:9]
	s_delay_alu instid0(VALU_DEP_1) | instskip(SKIP_1) | instid1(VALU_DEP_2)
	v_bfe_u32 v7, v1, 16, 1
	v_cmp_o_f32_e32 vcc_lo, v1, v1
	v_add3_u32 v7, v1, v7, 0x7fff
	s_delay_alu instid0(VALU_DEP_1) | instskip(NEXT) | instid1(VALU_DEP_1)
	v_lshrrev_b32_e32 v7, 16, v7
	v_cndmask_b32_e32 v7, 0x7fc0, v7, vcc_lo
	s_branch .LBB30_1387
.LBB30_1385:
	s_mov_b32 s10, -1
                                        ; implicit-def: $vgpr7
	s_branch .LBB30_1390
.LBB30_1386:
	s_mov_b32 s10, -1
                                        ; implicit-def: $vgpr7
.LBB30_1387:
	s_delay_alu instid0(SALU_CYCLE_1)
	s_and_not1_b32 vcc_lo, exec_lo, s10
	s_cbranch_vccnz .LBB30_1389
; %bb.1388:
	global_load_b32 v1, v[2:3], off
	s_wait_loadcnt 0x0
	v_bfe_u32 v7, v1, 16, 1
	v_cmp_o_f32_e32 vcc_lo, v1, v1
	s_delay_alu instid0(VALU_DEP_2) | instskip(NEXT) | instid1(VALU_DEP_1)
	v_add3_u32 v7, v1, v7, 0x7fff
	v_lshrrev_b32_e32 v7, 16, v7
	s_delay_alu instid0(VALU_DEP_1)
	v_cndmask_b32_e32 v7, 0x7fc0, v7, vcc_lo
.LBB30_1389:
	s_mov_b32 s10, 0
.LBB30_1390:
	s_delay_alu instid0(SALU_CYCLE_1)
	s_and_not1_b32 vcc_lo, exec_lo, s10
	s_cbranch_vccnz .LBB30_1392
; %bb.1391:
	global_load_u16 v1, v[2:3], off
	s_wait_loadcnt 0x0
	v_cvt_f32_f16_e32 v7, v1
	v_cmp_o_f16_e32 vcc_lo, v1, v1
	s_delay_alu instid0(VALU_DEP_2) | instskip(NEXT) | instid1(VALU_DEP_1)
	v_bfe_u32 v8, v7, 16, 1
	v_add3_u32 v7, v7, v8, 0x7fff
	s_delay_alu instid0(VALU_DEP_1) | instskip(NEXT) | instid1(VALU_DEP_1)
	v_lshrrev_b32_e32 v7, 16, v7
	v_cndmask_b32_e32 v7, 0x7fc0, v7, vcc_lo
.LBB30_1392:
	s_mov_b32 s10, 0
.LBB30_1393:
	s_delay_alu instid0(SALU_CYCLE_1)
	s_and_not1_b32 vcc_lo, exec_lo, s10
	s_cbranch_vccnz .LBB30_1413
; %bb.1394:
	s_cmp_lt_i32 s0, 2
	s_cbranch_scc1 .LBB30_1398
; %bb.1395:
	s_cmp_lt_i32 s0, 3
	s_cbranch_scc1 .LBB30_1399
; %bb.1396:
	s_cmp_gt_i32 s0, 3
	s_cbranch_scc0 .LBB30_1400
; %bb.1397:
	global_load_b64 v[8:9], v[2:3], off
	s_mov_b32 s10, 0
	s_wait_loadcnt 0x0
	v_xor_b32_e32 v1, v8, v9
	v_cls_i32_e32 v7, v9
	s_delay_alu instid0(VALU_DEP_2) | instskip(NEXT) | instid1(VALU_DEP_1)
	v_ashrrev_i32_e32 v1, 31, v1
	v_add_nc_u32_e32 v1, 32, v1
	s_delay_alu instid0(VALU_DEP_1) | instskip(NEXT) | instid1(VALU_DEP_1)
	v_add_min_u32_e64 v1, v7, -1, v1
	v_lshlrev_b64_e32 v[8:9], v1, v[8:9]
	v_sub_nc_u32_e32 v1, 32, v1
	s_delay_alu instid0(VALU_DEP_2) | instskip(NEXT) | instid1(VALU_DEP_1)
	v_min_u32_e32 v7, 1, v8
	v_or_b32_e32 v7, v9, v7
	s_delay_alu instid0(VALU_DEP_1) | instskip(NEXT) | instid1(VALU_DEP_1)
	v_cvt_f32_i32_e32 v7, v7
	v_ldexp_f32 v1, v7, v1
	s_delay_alu instid0(VALU_DEP_1) | instskip(NEXT) | instid1(VALU_DEP_1)
	v_bfe_u32 v7, v1, 16, 1
	v_add3_u32 v1, v1, v7, 0x7fff
	s_delay_alu instid0(VALU_DEP_1)
	v_lshrrev_b32_e32 v7, 16, v1
	s_branch .LBB30_1401
.LBB30_1398:
	s_mov_b32 s10, -1
                                        ; implicit-def: $vgpr7
	s_branch .LBB30_1407
.LBB30_1399:
	s_mov_b32 s10, -1
                                        ; implicit-def: $vgpr7
	s_branch .LBB30_1404
.LBB30_1400:
	s_mov_b32 s10, -1
                                        ; implicit-def: $vgpr7
.LBB30_1401:
	s_delay_alu instid0(SALU_CYCLE_1)
	s_and_not1_b32 vcc_lo, exec_lo, s10
	s_cbranch_vccnz .LBB30_1403
; %bb.1402:
	global_load_b32 v1, v[2:3], off
	s_wait_loadcnt 0x0
	v_cvt_f32_i32_e32 v1, v1
	s_delay_alu instid0(VALU_DEP_1) | instskip(NEXT) | instid1(VALU_DEP_1)
	v_bfe_u32 v7, v1, 16, 1
	v_add3_u32 v1, v1, v7, 0x7fff
	s_delay_alu instid0(VALU_DEP_1)
	v_lshrrev_b32_e32 v7, 16, v1
.LBB30_1403:
	s_mov_b32 s10, 0
.LBB30_1404:
	s_delay_alu instid0(SALU_CYCLE_1)
	s_and_not1_b32 vcc_lo, exec_lo, s10
	s_cbranch_vccnz .LBB30_1406
; %bb.1405:
	global_load_i16 v1, v[2:3], off
	s_wait_loadcnt 0x0
	v_cvt_f32_i32_e32 v1, v1
	s_delay_alu instid0(VALU_DEP_1) | instskip(NEXT) | instid1(VALU_DEP_1)
	v_bfe_u32 v7, v1, 16, 1
	v_add3_u32 v1, v1, v7, 0x7fff
	s_delay_alu instid0(VALU_DEP_1)
	v_lshrrev_b32_e32 v7, 16, v1
.LBB30_1406:
	s_mov_b32 s10, 0
.LBB30_1407:
	s_delay_alu instid0(SALU_CYCLE_1)
	s_and_not1_b32 vcc_lo, exec_lo, s10
	s_cbranch_vccnz .LBB30_1413
; %bb.1408:
	s_cmp_gt_i32 s0, 0
	s_mov_b32 s10, 0
	s_cbranch_scc0 .LBB30_1410
; %bb.1409:
	global_load_i8 v1, v[2:3], off
	s_wait_loadcnt 0x0
	v_cvt_f32_i32_e32 v1, v1
	s_delay_alu instid0(VALU_DEP_1) | instskip(NEXT) | instid1(VALU_DEP_1)
	v_bfe_u32 v7, v1, 16, 1
	v_add3_u32 v1, v1, v7, 0x7fff
	s_delay_alu instid0(VALU_DEP_1)
	v_lshrrev_b32_e32 v7, 16, v1
	s_branch .LBB30_1411
.LBB30_1410:
	s_mov_b32 s10, -1
                                        ; implicit-def: $vgpr7
.LBB30_1411:
	s_delay_alu instid0(SALU_CYCLE_1)
	s_and_not1_b32 vcc_lo, exec_lo, s10
	s_cbranch_vccnz .LBB30_1413
; %bb.1412:
	global_load_u8 v1, v[2:3], off
	s_wait_loadcnt 0x0
	v_cvt_f32_ubyte0_e32 v1, v1
	s_wait_xcnt 0x0
	s_delay_alu instid0(VALU_DEP_1) | instskip(NEXT) | instid1(VALU_DEP_1)
	v_bfe_u32 v2, v1, 16, 1
	v_add3_u32 v1, v1, v2, 0x7fff
	s_delay_alu instid0(VALU_DEP_1)
	v_lshrrev_b32_e32 v7, 16, v1
.LBB30_1413:
.LBB30_1414:
	v_add_nc_u32_e32 v0, s9, v0
	s_cmp_lt_i32 s0, 11
	s_delay_alu instid0(VALU_DEP_1) | instskip(NEXT) | instid1(VALU_DEP_1)
	v_ashrrev_i32_e32 v1, 31, v0
	v_add_nc_u64_e32 v[0:1], s[6:7], v[0:1]
	s_cbranch_scc1 .LBB30_1421
; %bb.1415:
	s_cmp_gt_i32 s0, 25
	s_mov_b32 s7, 0
	s_cbranch_scc0 .LBB30_1422
; %bb.1416:
	s_cmp_gt_i32 s0, 28
	s_cbranch_scc0 .LBB30_1423
; %bb.1417:
	s_cmp_gt_i32 s0, 43
	;; [unrolled: 3-line block ×3, first 2 shown]
	s_cbranch_scc0 .LBB30_1426
; %bb.1419:
	s_cmp_eq_u32 s0, 46
	s_mov_b32 s10, 0
	s_cbranch_scc0 .LBB30_1427
; %bb.1420:
	global_load_b32 v8, v[0:1], off
	s_mov_b32 s6, 0
	s_mov_b32 s9, -1
	s_branch .LBB30_1429
.LBB30_1421:
	s_mov_b32 s6, -1
	s_mov_b32 s9, 0
                                        ; implicit-def: $vgpr8
	s_branch .LBB30_1495
.LBB30_1422:
	s_mov_b32 s10, -1
	s_mov_b32 s9, 0
	s_mov_b32 s6, 0
                                        ; implicit-def: $vgpr8
	s_branch .LBB30_1458
.LBB30_1423:
	s_mov_b32 s10, -1
	s_mov_b32 s9, 0
	s_mov_b32 s6, 0
                                        ; implicit-def: $vgpr8
	s_branch .LBB30_1439
.LBB30_1424:
	s_mov_b32 s10, -1
	s_mov_b32 s9, 0
	s_mov_b32 s6, 0
                                        ; implicit-def: $vgpr8
	s_branch .LBB30_1434
.LBB30_1425:
	s_or_b32 s3, s3, exec_lo
	s_trap 2
	s_cbranch_execz .LBB30_1364
	s_branch .LBB30_1365
.LBB30_1426:
	s_mov_b32 s10, -1
	s_mov_b32 s9, 0
	s_mov_b32 s6, 0
	s_branch .LBB30_1428
.LBB30_1427:
	s_mov_b32 s6, -1
	s_mov_b32 s9, 0
.LBB30_1428:
                                        ; implicit-def: $vgpr8
.LBB30_1429:
	s_and_b32 vcc_lo, exec_lo, s10
	s_cbranch_vccz .LBB30_1433
; %bb.1430:
	s_cmp_eq_u32 s0, 44
	s_cbranch_scc0 .LBB30_1432
; %bb.1431:
	global_load_u8 v2, v[0:1], off
	s_mov_b32 s6, 0
	s_mov_b32 s9, -1
	s_wait_loadcnt 0x0
	v_lshlrev_b32_e32 v3, 23, v2
	v_cmp_ne_u32_e32 vcc_lo, 0xff, v2
	s_delay_alu instid0(VALU_DEP_2) | instskip(SKIP_1) | instid1(VALU_DEP_2)
	v_cndmask_b32_e32 v3, 0x7f800001, v3, vcc_lo
	v_cmp_ne_u32_e32 vcc_lo, 0, v2
	v_cndmask_b32_e32 v2, 0x400000, v3, vcc_lo
	s_delay_alu instid0(VALU_DEP_1) | instskip(NEXT) | instid1(VALU_DEP_1)
	v_add_nc_u32_e32 v3, 0x7fff, v2
	v_lshrrev_b32_e32 v3, 16, v3
	v_cmp_o_f32_e32 vcc_lo, v2, v2
	s_delay_alu instid0(VALU_DEP_2)
	v_cndmask_b32_e32 v8, 0x7fc0, v3, vcc_lo
	s_branch .LBB30_1433
.LBB30_1432:
	s_mov_b32 s6, -1
                                        ; implicit-def: $vgpr8
.LBB30_1433:
	s_mov_b32 s10, 0
.LBB30_1434:
	s_delay_alu instid0(SALU_CYCLE_1)
	s_and_b32 vcc_lo, exec_lo, s10
	s_cbranch_vccz .LBB30_1438
; %bb.1435:
	s_cmp_eq_u32 s0, 29
	s_cbranch_scc0 .LBB30_1437
; %bb.1436:
	global_load_b64 v[2:3], v[0:1], off
	s_mov_b32 s6, 0
	s_mov_b32 s9, -1
	s_mov_b32 s10, 0
	s_wait_loadcnt 0x0
	v_clz_i32_u32_e32 v8, v3
	s_delay_alu instid0(VALU_DEP_1) | instskip(NEXT) | instid1(VALU_DEP_1)
	v_min_u32_e32 v8, 32, v8
	v_lshlrev_b64_e32 v[2:3], v8, v[2:3]
	s_delay_alu instid0(VALU_DEP_1) | instskip(NEXT) | instid1(VALU_DEP_1)
	v_min_u32_e32 v2, 1, v2
	v_dual_sub_nc_u32 v3, 32, v8 :: v_dual_bitop2_b32 v2, v3, v2 bitop3:0x54
	s_delay_alu instid0(VALU_DEP_1) | instskip(NEXT) | instid1(VALU_DEP_1)
	v_cvt_f32_u32_e32 v2, v2
	v_ldexp_f32 v2, v2, v3
	s_delay_alu instid0(VALU_DEP_1) | instskip(NEXT) | instid1(VALU_DEP_1)
	v_bfe_u32 v3, v2, 16, 1
	v_add3_u32 v2, v2, v3, 0x7fff
	s_delay_alu instid0(VALU_DEP_1)
	v_lshrrev_b32_e32 v8, 16, v2
	s_branch .LBB30_1439
.LBB30_1437:
	s_mov_b32 s6, -1
                                        ; implicit-def: $vgpr8
.LBB30_1438:
	s_mov_b32 s10, 0
.LBB30_1439:
	s_delay_alu instid0(SALU_CYCLE_1)
	s_and_b32 vcc_lo, exec_lo, s10
	s_cbranch_vccz .LBB30_1457
; %bb.1440:
	s_cmp_lt_i32 s0, 27
	s_cbranch_scc1 .LBB30_1443
; %bb.1441:
	s_cmp_gt_i32 s0, 27
	s_cbranch_scc0 .LBB30_1444
; %bb.1442:
	global_load_b32 v2, v[0:1], off
	s_mov_b32 s9, 0
	s_wait_loadcnt 0x0
	v_cvt_f32_u32_e32 v2, v2
	s_delay_alu instid0(VALU_DEP_1) | instskip(NEXT) | instid1(VALU_DEP_1)
	v_bfe_u32 v3, v2, 16, 1
	v_add3_u32 v2, v2, v3, 0x7fff
	s_delay_alu instid0(VALU_DEP_1)
	v_lshrrev_b32_e32 v8, 16, v2
	s_branch .LBB30_1445
.LBB30_1443:
	s_mov_b32 s9, -1
                                        ; implicit-def: $vgpr8
	s_branch .LBB30_1448
.LBB30_1444:
	s_mov_b32 s9, -1
                                        ; implicit-def: $vgpr8
.LBB30_1445:
	s_delay_alu instid0(SALU_CYCLE_1)
	s_and_not1_b32 vcc_lo, exec_lo, s9
	s_cbranch_vccnz .LBB30_1447
; %bb.1446:
	global_load_u16 v2, v[0:1], off
	s_wait_loadcnt 0x0
	v_cvt_f32_u32_e32 v2, v2
	s_delay_alu instid0(VALU_DEP_1) | instskip(NEXT) | instid1(VALU_DEP_1)
	v_bfe_u32 v3, v2, 16, 1
	v_add3_u32 v2, v2, v3, 0x7fff
	s_delay_alu instid0(VALU_DEP_1)
	v_lshrrev_b32_e32 v8, 16, v2
.LBB30_1447:
	s_mov_b32 s9, 0
.LBB30_1448:
	s_delay_alu instid0(SALU_CYCLE_1)
	s_and_not1_b32 vcc_lo, exec_lo, s9
	s_cbranch_vccnz .LBB30_1456
; %bb.1449:
	global_load_u8 v2, v[0:1], off
	s_mov_b32 s9, 0
	s_mov_b32 s10, exec_lo
	s_wait_loadcnt 0x0
	v_cmpx_lt_i16_e32 0x7f, v2
	s_xor_b32 s10, exec_lo, s10
	s_cbranch_execz .LBB30_1470
; %bb.1450:
	s_mov_b32 s9, -1
	s_mov_b32 s13, exec_lo
	v_cmpx_eq_u16_e32 0x80, v2
; %bb.1451:
	s_xor_b32 s9, exec_lo, -1
; %bb.1452:
	s_or_b32 exec_lo, exec_lo, s13
	s_delay_alu instid0(SALU_CYCLE_1)
	s_and_b32 s9, s9, exec_lo
	s_or_saveexec_b32 s10, s10
	v_mov_b32_e32 v3, 0x7f800001
	s_xor_b32 exec_lo, exec_lo, s10
	s_cbranch_execnz .LBB30_1471
.LBB30_1453:
	s_or_b32 exec_lo, exec_lo, s10
	s_and_saveexec_b32 s10, s9
	s_cbranch_execz .LBB30_1455
.LBB30_1454:
	v_and_b32_e32 v3, 0xffff, v2
	s_delay_alu instid0(VALU_DEP_1) | instskip(SKIP_1) | instid1(VALU_DEP_2)
	v_and_b32_e32 v8, 7, v3
	v_bfe_u32 v11, v3, 3, 4
	v_clz_i32_u32_e32 v9, v8
	s_delay_alu instid0(VALU_DEP_2) | instskip(NEXT) | instid1(VALU_DEP_2)
	v_cmp_eq_u32_e32 vcc_lo, 0, v11
	v_min_u32_e32 v9, 32, v9
	s_delay_alu instid0(VALU_DEP_1) | instskip(NEXT) | instid1(VALU_DEP_1)
	v_subrev_nc_u32_e32 v10, 28, v9
	v_dual_lshlrev_b32 v3, v10, v3 :: v_dual_sub_nc_u32 v9, 29, v9
	s_delay_alu instid0(VALU_DEP_1) | instskip(NEXT) | instid1(VALU_DEP_1)
	v_dual_lshlrev_b32 v2, 24, v2 :: v_dual_bitop2_b32 v3, 7, v3 bitop3:0x40
	v_dual_cndmask_b32 v9, v11, v9, vcc_lo :: v_dual_cndmask_b32 v3, v8, v3, vcc_lo
	s_delay_alu instid0(VALU_DEP_2) | instskip(NEXT) | instid1(VALU_DEP_2)
	v_and_b32_e32 v2, 0x80000000, v2
	v_lshl_add_u32 v8, v9, 23, 0x3b800000
	s_delay_alu instid0(VALU_DEP_3) | instskip(NEXT) | instid1(VALU_DEP_1)
	v_lshlrev_b32_e32 v3, 20, v3
	v_or3_b32 v3, v2, v8, v3
.LBB30_1455:
	s_or_b32 exec_lo, exec_lo, s10
	s_delay_alu instid0(VALU_DEP_1) | instskip(SKIP_1) | instid1(VALU_DEP_2)
	v_bfe_u32 v2, v3, 16, 1
	v_cmp_o_f32_e32 vcc_lo, v3, v3
	v_add3_u32 v2, v3, v2, 0x7fff
	s_delay_alu instid0(VALU_DEP_1) | instskip(NEXT) | instid1(VALU_DEP_1)
	v_lshrrev_b32_e32 v2, 16, v2
	v_cndmask_b32_e32 v8, 0x7fc0, v2, vcc_lo
.LBB30_1456:
	s_mov_b32 s9, -1
.LBB30_1457:
	s_mov_b32 s10, 0
.LBB30_1458:
	s_delay_alu instid0(SALU_CYCLE_1)
	s_and_b32 vcc_lo, exec_lo, s10
	s_cbranch_vccz .LBB30_1491
; %bb.1459:
	s_cmp_gt_i32 s0, 22
	s_cbranch_scc0 .LBB30_1469
; %bb.1460:
	s_cmp_lt_i32 s0, 24
	s_cbranch_scc1 .LBB30_1472
; %bb.1461:
	s_cmp_gt_i32 s0, 24
	s_cbranch_scc0 .LBB30_1473
; %bb.1462:
	global_load_u8 v2, v[0:1], off
	s_mov_b32 s9, exec_lo
	s_wait_loadcnt 0x0
	v_cmpx_lt_i16_e32 0x7f, v2
	s_xor_b32 s9, exec_lo, s9
	s_cbranch_execz .LBB30_1485
; %bb.1463:
	s_mov_b32 s7, -1
	s_mov_b32 s10, exec_lo
	v_cmpx_eq_u16_e32 0x80, v2
; %bb.1464:
	s_xor_b32 s7, exec_lo, -1
; %bb.1465:
	s_or_b32 exec_lo, exec_lo, s10
	s_delay_alu instid0(SALU_CYCLE_1)
	s_and_b32 s7, s7, exec_lo
	s_or_saveexec_b32 s9, s9
	v_mov_b32_e32 v3, 0x7f800001
	s_xor_b32 exec_lo, exec_lo, s9
	s_cbranch_execnz .LBB30_1486
.LBB30_1466:
	s_or_b32 exec_lo, exec_lo, s9
	s_and_saveexec_b32 s9, s7
	s_cbranch_execz .LBB30_1468
.LBB30_1467:
	v_and_b32_e32 v3, 0xffff, v2
	s_delay_alu instid0(VALU_DEP_1) | instskip(SKIP_1) | instid1(VALU_DEP_2)
	v_and_b32_e32 v8, 3, v3
	v_bfe_u32 v11, v3, 2, 5
	v_clz_i32_u32_e32 v9, v8
	s_delay_alu instid0(VALU_DEP_2) | instskip(NEXT) | instid1(VALU_DEP_2)
	v_cmp_eq_u32_e32 vcc_lo, 0, v11
	v_min_u32_e32 v9, 32, v9
	s_delay_alu instid0(VALU_DEP_1) | instskip(NEXT) | instid1(VALU_DEP_1)
	v_subrev_nc_u32_e32 v10, 29, v9
	v_dual_lshlrev_b32 v3, v10, v3 :: v_dual_sub_nc_u32 v9, 30, v9
	s_delay_alu instid0(VALU_DEP_1) | instskip(NEXT) | instid1(VALU_DEP_1)
	v_dual_lshlrev_b32 v2, 24, v2 :: v_dual_bitop2_b32 v3, 3, v3 bitop3:0x40
	v_dual_cndmask_b32 v9, v11, v9, vcc_lo :: v_dual_cndmask_b32 v3, v8, v3, vcc_lo
	s_delay_alu instid0(VALU_DEP_2) | instskip(NEXT) | instid1(VALU_DEP_2)
	v_and_b32_e32 v2, 0x80000000, v2
	v_lshl_add_u32 v8, v9, 23, 0x37800000
	s_delay_alu instid0(VALU_DEP_3) | instskip(NEXT) | instid1(VALU_DEP_1)
	v_lshlrev_b32_e32 v3, 21, v3
	v_or3_b32 v3, v2, v8, v3
.LBB30_1468:
	s_or_b32 exec_lo, exec_lo, s9
	s_delay_alu instid0(VALU_DEP_1) | instskip(SKIP_2) | instid1(VALU_DEP_2)
	v_bfe_u32 v2, v3, 16, 1
	v_cmp_o_f32_e32 vcc_lo, v3, v3
	s_mov_b32 s7, 0
	v_add3_u32 v2, v3, v2, 0x7fff
	s_delay_alu instid0(VALU_DEP_1) | instskip(NEXT) | instid1(VALU_DEP_1)
	v_lshrrev_b32_e32 v2, 16, v2
	v_cndmask_b32_e32 v8, 0x7fc0, v2, vcc_lo
	s_branch .LBB30_1474
.LBB30_1469:
	s_mov_b32 s7, -1
                                        ; implicit-def: $vgpr8
	s_branch .LBB30_1480
.LBB30_1470:
	s_or_saveexec_b32 s10, s10
	v_mov_b32_e32 v3, 0x7f800001
	s_xor_b32 exec_lo, exec_lo, s10
	s_cbranch_execz .LBB30_1453
.LBB30_1471:
	v_cmp_ne_u16_e32 vcc_lo, 0, v2
	v_mov_b32_e32 v3, 0
	s_and_not1_b32 s9, s9, exec_lo
	s_and_b32 s13, vcc_lo, exec_lo
	s_delay_alu instid0(SALU_CYCLE_1)
	s_or_b32 s9, s9, s13
	s_or_b32 exec_lo, exec_lo, s10
	s_and_saveexec_b32 s10, s9
	s_cbranch_execnz .LBB30_1454
	s_branch .LBB30_1455
.LBB30_1472:
	s_mov_b32 s7, -1
                                        ; implicit-def: $vgpr8
	s_branch .LBB30_1477
.LBB30_1473:
	s_mov_b32 s7, -1
                                        ; implicit-def: $vgpr8
.LBB30_1474:
	s_delay_alu instid0(SALU_CYCLE_1)
	s_and_b32 vcc_lo, exec_lo, s7
	s_cbranch_vccz .LBB30_1476
; %bb.1475:
	global_load_u8 v2, v[0:1], off
	s_wait_loadcnt 0x0
	v_lshlrev_b32_e32 v2, 24, v2
	s_delay_alu instid0(VALU_DEP_1) | instskip(NEXT) | instid1(VALU_DEP_1)
	v_and_b32_e32 v3, 0x7f000000, v2
	v_clz_i32_u32_e32 v8, v3
	v_cmp_ne_u32_e32 vcc_lo, 0, v3
	v_add_nc_u32_e32 v10, 0x1000000, v3
	s_delay_alu instid0(VALU_DEP_3) | instskip(NEXT) | instid1(VALU_DEP_1)
	v_min_u32_e32 v8, 32, v8
	v_sub_nc_u32_e64 v8, v8, 4 clamp
	s_delay_alu instid0(VALU_DEP_1) | instskip(NEXT) | instid1(VALU_DEP_1)
	v_dual_lshlrev_b32 v9, v8, v3 :: v_dual_lshlrev_b32 v8, 23, v8
	v_lshrrev_b32_e32 v9, 4, v9
	s_delay_alu instid0(VALU_DEP_1) | instskip(NEXT) | instid1(VALU_DEP_1)
	v_dual_sub_nc_u32 v8, v9, v8 :: v_dual_ashrrev_i32 v9, 8, v10
	v_add_nc_u32_e32 v8, 0x3c000000, v8
	s_delay_alu instid0(VALU_DEP_1) | instskip(NEXT) | instid1(VALU_DEP_1)
	v_and_or_b32 v8, 0x7f800000, v9, v8
	v_cndmask_b32_e32 v3, 0, v8, vcc_lo
	s_delay_alu instid0(VALU_DEP_1) | instskip(SKIP_1) | instid1(VALU_DEP_2)
	v_and_or_b32 v2, 0x80000000, v2, v3
	v_bfe_u32 v3, v3, 16, 1
	v_cmp_o_f32_e32 vcc_lo, v2, v2
	s_delay_alu instid0(VALU_DEP_2) | instskip(NEXT) | instid1(VALU_DEP_1)
	v_add3_u32 v3, v2, v3, 0x7fff
	v_lshrrev_b32_e32 v3, 16, v3
	s_delay_alu instid0(VALU_DEP_1)
	v_cndmask_b32_e32 v8, 0x7fc0, v3, vcc_lo
.LBB30_1476:
	s_mov_b32 s7, 0
.LBB30_1477:
	s_delay_alu instid0(SALU_CYCLE_1)
	s_and_not1_b32 vcc_lo, exec_lo, s7
	s_cbranch_vccnz .LBB30_1479
; %bb.1478:
	global_load_u8 v2, v[0:1], off
	s_wait_loadcnt 0x0
	v_lshlrev_b32_e32 v3, 25, v2
	v_lshlrev_b16 v2, 8, v2
	s_delay_alu instid0(VALU_DEP_1) | instskip(SKIP_1) | instid1(VALU_DEP_2)
	v_and_or_b32 v9, 0x7f00, v2, 0.5
	v_bfe_i32 v2, v2, 0, 16
	v_dual_add_f32 v9, -0.5, v9 :: v_dual_lshrrev_b32 v8, 4, v3
	v_cmp_gt_u32_e32 vcc_lo, 0x8000000, v3
	s_delay_alu instid0(VALU_DEP_2) | instskip(NEXT) | instid1(VALU_DEP_1)
	v_or_b32_e32 v8, 0x70000000, v8
	v_mul_f32_e32 v8, 0x7800000, v8
	s_delay_alu instid0(VALU_DEP_1) | instskip(NEXT) | instid1(VALU_DEP_1)
	v_cndmask_b32_e32 v3, v8, v9, vcc_lo
	v_and_or_b32 v2, 0x80000000, v2, v3
	v_bfe_u32 v3, v3, 16, 1
	s_delay_alu instid0(VALU_DEP_2) | instskip(NEXT) | instid1(VALU_DEP_2)
	v_cmp_o_f32_e32 vcc_lo, v2, v2
	v_add3_u32 v3, v2, v3, 0x7fff
	s_delay_alu instid0(VALU_DEP_1) | instskip(NEXT) | instid1(VALU_DEP_1)
	v_lshrrev_b32_e32 v3, 16, v3
	v_cndmask_b32_e32 v8, 0x7fc0, v3, vcc_lo
.LBB30_1479:
	s_mov_b32 s7, 0
	s_mov_b32 s9, -1
.LBB30_1480:
	s_and_not1_b32 vcc_lo, exec_lo, s7
	s_mov_b32 s7, 0
	s_cbranch_vccnz .LBB30_1491
; %bb.1481:
	s_cmp_gt_i32 s0, 14
	s_cbranch_scc0 .LBB30_1484
; %bb.1482:
	s_cmp_eq_u32 s0, 15
	s_cbranch_scc0 .LBB30_1487
; %bb.1483:
	s_wait_loadcnt 0x0
	global_load_u16 v8, v[0:1], off
	s_mov_b32 s6, 0
	s_mov_b32 s9, -1
	s_branch .LBB30_1489
.LBB30_1484:
	s_mov_b32 s7, -1
	s_branch .LBB30_1488
.LBB30_1485:
	s_or_saveexec_b32 s9, s9
	v_mov_b32_e32 v3, 0x7f800001
	s_xor_b32 exec_lo, exec_lo, s9
	s_cbranch_execz .LBB30_1466
.LBB30_1486:
	v_cmp_ne_u16_e32 vcc_lo, 0, v2
	v_mov_b32_e32 v3, 0
	s_and_not1_b32 s7, s7, exec_lo
	s_and_b32 s10, vcc_lo, exec_lo
	s_delay_alu instid0(SALU_CYCLE_1)
	s_or_b32 s7, s7, s10
	s_or_b32 exec_lo, exec_lo, s9
	s_and_saveexec_b32 s9, s7
	s_cbranch_execnz .LBB30_1467
	s_branch .LBB30_1468
.LBB30_1487:
	s_mov_b32 s6, -1
.LBB30_1488:
                                        ; implicit-def: $vgpr8
.LBB30_1489:
	s_and_b32 vcc_lo, exec_lo, s7
	s_mov_b32 s7, 0
	s_cbranch_vccz .LBB30_1491
; %bb.1490:
	s_cmp_lg_u32 s0, 11
	s_mov_b32 s7, -1
	s_cselect_b32 s6, -1, 0
.LBB30_1491:
	s_delay_alu instid0(SALU_CYCLE_1)
	s_and_b32 vcc_lo, exec_lo, s6
	s_cbranch_vccnz .LBB30_2020
; %bb.1492:
	s_and_not1_b32 vcc_lo, exec_lo, s7
	s_cbranch_vccnz .LBB30_1494
.LBB30_1493:
	global_load_u8 v2, v[0:1], off
	s_mov_b32 s9, -1
	s_wait_loadcnt 0x0
	v_cmp_ne_u16_e32 vcc_lo, 0, v2
	v_cndmask_b32_e64 v2, 0, 1.0, vcc_lo
	s_delay_alu instid0(VALU_DEP_1)
	v_lshrrev_b32_e32 v8, 16, v2
.LBB30_1494:
	s_mov_b32 s6, 0
.LBB30_1495:
	s_delay_alu instid0(SALU_CYCLE_1)
	s_and_b32 vcc_lo, exec_lo, s6
	s_cbranch_vccz .LBB30_1544
; %bb.1496:
	s_cmp_lt_i32 s0, 5
	s_cbranch_scc1 .LBB30_1501
; %bb.1497:
	s_cmp_lt_i32 s0, 8
	s_cbranch_scc1 .LBB30_1502
; %bb.1498:
	s_cmp_lt_i32 s0, 9
	s_cbranch_scc1 .LBB30_1503
; %bb.1499:
	s_cmp_gt_i32 s0, 9
	s_cbranch_scc0 .LBB30_1504
; %bb.1500:
	global_load_b64 v[2:3], v[0:1], off
	s_mov_b32 s6, 0
	s_wait_loadcnt 0x0
	v_cvt_f32_f64_e32 v2, v[2:3]
	s_delay_alu instid0(VALU_DEP_1) | instskip(SKIP_1) | instid1(VALU_DEP_2)
	v_bfe_u32 v3, v2, 16, 1
	v_cmp_o_f32_e32 vcc_lo, v2, v2
	v_add3_u32 v3, v2, v3, 0x7fff
	s_delay_alu instid0(VALU_DEP_1) | instskip(NEXT) | instid1(VALU_DEP_1)
	v_lshrrev_b32_e32 v3, 16, v3
	v_cndmask_b32_e32 v8, 0x7fc0, v3, vcc_lo
	s_branch .LBB30_1505
.LBB30_1501:
	s_mov_b32 s6, -1
                                        ; implicit-def: $vgpr8
	s_branch .LBB30_1523
.LBB30_1502:
	s_mov_b32 s6, -1
                                        ; implicit-def: $vgpr8
	s_branch .LBB30_1511
.LBB30_1503:
	s_mov_b32 s6, -1
                                        ; implicit-def: $vgpr8
	s_branch .LBB30_1508
.LBB30_1504:
	s_mov_b32 s6, -1
                                        ; implicit-def: $vgpr8
.LBB30_1505:
	s_delay_alu instid0(SALU_CYCLE_1)
	s_and_not1_b32 vcc_lo, exec_lo, s6
	s_cbranch_vccnz .LBB30_1507
; %bb.1506:
	global_load_b32 v2, v[0:1], off
	s_wait_loadcnt 0x0
	v_bfe_u32 v3, v2, 16, 1
	v_cmp_o_f32_e32 vcc_lo, v2, v2
	s_delay_alu instid0(VALU_DEP_2) | instskip(NEXT) | instid1(VALU_DEP_1)
	v_add3_u32 v3, v2, v3, 0x7fff
	v_lshrrev_b32_e32 v3, 16, v3
	s_delay_alu instid0(VALU_DEP_1)
	v_cndmask_b32_e32 v8, 0x7fc0, v3, vcc_lo
.LBB30_1507:
	s_mov_b32 s6, 0
.LBB30_1508:
	s_delay_alu instid0(SALU_CYCLE_1)
	s_and_not1_b32 vcc_lo, exec_lo, s6
	s_cbranch_vccnz .LBB30_1510
; %bb.1509:
	global_load_b32 v2, v[0:1], off
	s_wait_loadcnt 0x0
	v_cvt_f32_f16_e32 v3, v2
	v_cmp_o_f16_e32 vcc_lo, v2, v2
	s_delay_alu instid0(VALU_DEP_2) | instskip(NEXT) | instid1(VALU_DEP_1)
	v_bfe_u32 v8, v3, 16, 1
	v_add3_u32 v3, v3, v8, 0x7fff
	s_delay_alu instid0(VALU_DEP_1) | instskip(NEXT) | instid1(VALU_DEP_1)
	v_lshrrev_b32_e32 v3, 16, v3
	v_cndmask_b32_e32 v8, 0x7fc0, v3, vcc_lo
.LBB30_1510:
	s_mov_b32 s6, 0
.LBB30_1511:
	s_delay_alu instid0(SALU_CYCLE_1)
	s_and_not1_b32 vcc_lo, exec_lo, s6
	s_cbranch_vccnz .LBB30_1522
; %bb.1512:
	s_cmp_lt_i32 s0, 6
	s_cbranch_scc1 .LBB30_1515
; %bb.1513:
	s_cmp_gt_i32 s0, 6
	s_cbranch_scc0 .LBB30_1516
; %bb.1514:
	global_load_b64 v[2:3], v[0:1], off
	s_mov_b32 s6, 0
	s_wait_loadcnt 0x0
	v_cvt_f32_f64_e32 v2, v[2:3]
	s_delay_alu instid0(VALU_DEP_1) | instskip(SKIP_1) | instid1(VALU_DEP_2)
	v_bfe_u32 v3, v2, 16, 1
	v_cmp_o_f32_e32 vcc_lo, v2, v2
	v_add3_u32 v3, v2, v3, 0x7fff
	s_delay_alu instid0(VALU_DEP_1) | instskip(NEXT) | instid1(VALU_DEP_1)
	v_lshrrev_b32_e32 v3, 16, v3
	v_cndmask_b32_e32 v8, 0x7fc0, v3, vcc_lo
	s_branch .LBB30_1517
.LBB30_1515:
	s_mov_b32 s6, -1
                                        ; implicit-def: $vgpr8
	s_branch .LBB30_1520
.LBB30_1516:
	s_mov_b32 s6, -1
                                        ; implicit-def: $vgpr8
.LBB30_1517:
	s_delay_alu instid0(SALU_CYCLE_1)
	s_and_not1_b32 vcc_lo, exec_lo, s6
	s_cbranch_vccnz .LBB30_1519
; %bb.1518:
	global_load_b32 v2, v[0:1], off
	s_wait_loadcnt 0x0
	v_bfe_u32 v3, v2, 16, 1
	v_cmp_o_f32_e32 vcc_lo, v2, v2
	s_delay_alu instid0(VALU_DEP_2) | instskip(NEXT) | instid1(VALU_DEP_1)
	v_add3_u32 v3, v2, v3, 0x7fff
	v_lshrrev_b32_e32 v3, 16, v3
	s_delay_alu instid0(VALU_DEP_1)
	v_cndmask_b32_e32 v8, 0x7fc0, v3, vcc_lo
.LBB30_1519:
	s_mov_b32 s6, 0
.LBB30_1520:
	s_delay_alu instid0(SALU_CYCLE_1)
	s_and_not1_b32 vcc_lo, exec_lo, s6
	s_cbranch_vccnz .LBB30_1522
; %bb.1521:
	global_load_u16 v2, v[0:1], off
	s_wait_loadcnt 0x0
	v_cvt_f32_f16_e32 v3, v2
	v_cmp_o_f16_e32 vcc_lo, v2, v2
	s_delay_alu instid0(VALU_DEP_2) | instskip(NEXT) | instid1(VALU_DEP_1)
	v_bfe_u32 v8, v3, 16, 1
	v_add3_u32 v3, v3, v8, 0x7fff
	s_delay_alu instid0(VALU_DEP_1) | instskip(NEXT) | instid1(VALU_DEP_1)
	v_lshrrev_b32_e32 v3, 16, v3
	v_cndmask_b32_e32 v8, 0x7fc0, v3, vcc_lo
.LBB30_1522:
	s_mov_b32 s6, 0
.LBB30_1523:
	s_delay_alu instid0(SALU_CYCLE_1)
	s_and_not1_b32 vcc_lo, exec_lo, s6
	s_cbranch_vccnz .LBB30_1543
; %bb.1524:
	s_cmp_lt_i32 s0, 2
	s_cbranch_scc1 .LBB30_1528
; %bb.1525:
	s_cmp_lt_i32 s0, 3
	s_cbranch_scc1 .LBB30_1529
; %bb.1526:
	s_cmp_gt_i32 s0, 3
	s_cbranch_scc0 .LBB30_1530
; %bb.1527:
	global_load_b64 v[2:3], v[0:1], off
	s_mov_b32 s6, 0
	s_wait_loadcnt 0x0
	v_xor_b32_e32 v8, v2, v3
	v_cls_i32_e32 v9, v3
	s_delay_alu instid0(VALU_DEP_2) | instskip(NEXT) | instid1(VALU_DEP_1)
	v_ashrrev_i32_e32 v8, 31, v8
	v_add_nc_u32_e32 v8, 32, v8
	s_delay_alu instid0(VALU_DEP_1) | instskip(NEXT) | instid1(VALU_DEP_1)
	v_add_min_u32_e64 v8, v9, -1, v8
	v_lshlrev_b64_e32 v[2:3], v8, v[2:3]
	s_delay_alu instid0(VALU_DEP_1) | instskip(NEXT) | instid1(VALU_DEP_1)
	v_min_u32_e32 v2, 1, v2
	v_dual_sub_nc_u32 v3, 32, v8 :: v_dual_bitop2_b32 v2, v3, v2 bitop3:0x54
	s_delay_alu instid0(VALU_DEP_1) | instskip(NEXT) | instid1(VALU_DEP_1)
	v_cvt_f32_i32_e32 v2, v2
	v_ldexp_f32 v2, v2, v3
	s_delay_alu instid0(VALU_DEP_1) | instskip(NEXT) | instid1(VALU_DEP_1)
	v_bfe_u32 v3, v2, 16, 1
	v_add3_u32 v2, v2, v3, 0x7fff
	s_delay_alu instid0(VALU_DEP_1)
	v_lshrrev_b32_e32 v8, 16, v2
	s_branch .LBB30_1531
.LBB30_1528:
	s_mov_b32 s6, -1
                                        ; implicit-def: $vgpr8
	s_branch .LBB30_1537
.LBB30_1529:
	s_mov_b32 s6, -1
                                        ; implicit-def: $vgpr8
	s_branch .LBB30_1534
.LBB30_1530:
	s_mov_b32 s6, -1
                                        ; implicit-def: $vgpr8
.LBB30_1531:
	s_delay_alu instid0(SALU_CYCLE_1)
	s_and_not1_b32 vcc_lo, exec_lo, s6
	s_cbranch_vccnz .LBB30_1533
; %bb.1532:
	global_load_b32 v2, v[0:1], off
	s_wait_loadcnt 0x0
	v_cvt_f32_i32_e32 v2, v2
	s_delay_alu instid0(VALU_DEP_1) | instskip(NEXT) | instid1(VALU_DEP_1)
	v_bfe_u32 v3, v2, 16, 1
	v_add3_u32 v2, v2, v3, 0x7fff
	s_delay_alu instid0(VALU_DEP_1)
	v_lshrrev_b32_e32 v8, 16, v2
.LBB30_1533:
	s_mov_b32 s6, 0
.LBB30_1534:
	s_delay_alu instid0(SALU_CYCLE_1)
	s_and_not1_b32 vcc_lo, exec_lo, s6
	s_cbranch_vccnz .LBB30_1536
; %bb.1535:
	global_load_i16 v2, v[0:1], off
	s_wait_loadcnt 0x0
	v_cvt_f32_i32_e32 v2, v2
	s_delay_alu instid0(VALU_DEP_1) | instskip(NEXT) | instid1(VALU_DEP_1)
	v_bfe_u32 v3, v2, 16, 1
	v_add3_u32 v2, v2, v3, 0x7fff
	s_delay_alu instid0(VALU_DEP_1)
	v_lshrrev_b32_e32 v8, 16, v2
.LBB30_1536:
	s_mov_b32 s6, 0
.LBB30_1537:
	s_delay_alu instid0(SALU_CYCLE_1)
	s_and_not1_b32 vcc_lo, exec_lo, s6
	s_cbranch_vccnz .LBB30_1543
; %bb.1538:
	s_cmp_gt_i32 s0, 0
	s_mov_b32 s0, 0
	s_cbranch_scc0 .LBB30_1540
; %bb.1539:
	global_load_i8 v2, v[0:1], off
	s_wait_loadcnt 0x0
	v_cvt_f32_i32_e32 v2, v2
	s_delay_alu instid0(VALU_DEP_1) | instskip(NEXT) | instid1(VALU_DEP_1)
	v_bfe_u32 v3, v2, 16, 1
	v_add3_u32 v2, v2, v3, 0x7fff
	s_delay_alu instid0(VALU_DEP_1)
	v_lshrrev_b32_e32 v8, 16, v2
	s_branch .LBB30_1541
.LBB30_1540:
	s_mov_b32 s0, -1
                                        ; implicit-def: $vgpr8
.LBB30_1541:
	s_delay_alu instid0(SALU_CYCLE_1)
	s_and_not1_b32 vcc_lo, exec_lo, s0
	s_cbranch_vccnz .LBB30_1543
; %bb.1542:
	global_load_u8 v0, v[0:1], off
	s_wait_loadcnt 0x0
	v_cvt_f32_ubyte0_e32 v0, v0
	s_delay_alu instid0(VALU_DEP_1) | instskip(NEXT) | instid1(VALU_DEP_1)
	v_bfe_u32 v1, v0, 16, 1
	v_add3_u32 v0, v0, v1, 0x7fff
	s_delay_alu instid0(VALU_DEP_1)
	v_lshrrev_b32_e32 v8, 16, v0
.LBB30_1543:
	s_mov_b32 s9, -1
.LBB30_1544:
	s_delay_alu instid0(SALU_CYCLE_1)
	s_and_not1_b32 vcc_lo, exec_lo, s9
	s_cbranch_vccnz .LBB30_1975
; %bb.1545:
	s_lshl_b32 s1, s1, 16
	s_wait_xcnt 0x0
	v_mul_lo_u32 v0, s8, v4
	s_xor_b32 s0, s1, 0x80000000
	s_wait_loadcnt 0x0
	v_lshlrev_b32_e32 v2, 16, v5
	s_bfe_u32 s6, s0, 0x10010
	s_mov_b32 s9, 0
	s_add_co_i32 s0, s0, s6
	s_delay_alu instid0(SALU_CYCLE_1) | instskip(NEXT) | instid1(SALU_CYCLE_1)
	s_addk_co_i32 s0, 0x7fff
	s_and_b32 s0, s0, 0xffff0000
	s_cmp_o_f32 s1, s1
	s_delay_alu instid0(VALU_DEP_2)
	v_ashrrev_i32_e32 v1, 31, v0
	v_cmp_nge_f32_e32 vcc_lo, s1, v2
	s_cselect_b32 s6, s0, 0x7fc00000
	s_and_b32 s13, s2, 0xff
	v_cmp_nle_f32_e64 s0, s6, v2
	v_add_nc_u64_e32 v[2:3], s[4:5], v[0:1]
	s_or_b32 vcc_lo, vcc_lo, s0
	s_cmp_lt_i32 s13, 11
	v_cndmask_b32_e32 v1, 0, v5, vcc_lo
	s_mov_b32 s0, -1
	s_cbranch_scc1 .LBB30_1624
; %bb.1546:
	s_and_b32 s2, 0xffff, s13
	s_mov_b32 s10, -1
	s_mov_b32 s7, 0
	s_cmp_gt_i32 s2, 25
	s_mov_b32 s0, 0
	s_cbranch_scc0 .LBB30_1579
; %bb.1547:
	s_cmp_gt_i32 s2, 28
	s_cbranch_scc0 .LBB30_1562
; %bb.1548:
	s_cmp_gt_i32 s2, 43
	;; [unrolled: 3-line block ×3, first 2 shown]
	s_cbranch_scc0 .LBB30_1552
; %bb.1550:
	s_mov_b32 s0, -1
	s_mov_b32 s10, 0
	s_cmp_eq_u32 s2, 46
	s_cbranch_scc0 .LBB30_1552
; %bb.1551:
	v_and_b32_e32 v4, 0xffff, v1
	s_mov_b32 s0, 0
	s_mov_b32 s9, -1
	global_store_b32 v[2:3], v4, off
.LBB30_1552:
	s_and_b32 vcc_lo, exec_lo, s10
	s_cbranch_vccz .LBB30_1557
; %bb.1553:
	s_cmp_eq_u32 s2, 44
	s_mov_b32 s0, -1
	s_cbranch_scc0 .LBB30_1557
; %bb.1554:
	s_wait_xcnt 0x0
	v_and_b32_e32 v4, 0xffff, v1
	v_mov_b32_e32 v5, 0xff
	s_mov_b32 s9, exec_lo
	s_delay_alu instid0(VALU_DEP_2) | instskip(NEXT) | instid1(VALU_DEP_1)
	v_bfe_u32 v9, v4, 7, 8
	v_cmpx_ne_u32_e32 0xff, v9
	s_cbranch_execz .LBB30_1556
; %bb.1555:
	v_dual_lshlrev_b32 v5, 16, v4 :: v_dual_bitop2_b32 v10, 64, v4 bitop3:0x40
	v_lshrrev_b32_e32 v4, 7, v4
	s_delay_alu instid0(VALU_DEP_2) | instskip(NEXT) | instid1(VALU_DEP_3)
	v_and_or_b32 v5, 0x3f0000, v5, v9
	v_cmp_ne_u32_e32 vcc_lo, 0, v10
	s_delay_alu instid0(VALU_DEP_2) | instskip(SKIP_1) | instid1(SALU_CYCLE_1)
	v_cmp_ne_u32_e64 s0, 0, v5
	s_and_b32 s0, vcc_lo, s0
	v_cndmask_b32_e64 v5, 0, 1, s0
	s_delay_alu instid0(VALU_DEP_1)
	v_add_nc_u32_e32 v5, v4, v5
.LBB30_1556:
	s_or_b32 exec_lo, exec_lo, s9
	s_mov_b32 s0, 0
	s_mov_b32 s9, -1
	global_store_b8 v[2:3], v5, off
.LBB30_1557:
	s_mov_b32 s10, 0
.LBB30_1558:
	s_delay_alu instid0(SALU_CYCLE_1)
	s_and_b32 vcc_lo, exec_lo, s10
	s_cbranch_vccz .LBB30_1561
; %bb.1559:
	s_cmp_eq_u32 s2, 29
	s_mov_b32 s0, -1
	s_cbranch_scc0 .LBB30_1561
; %bb.1560:
	s_wait_xcnt 0x0
	v_lshlrev_b32_e32 v4, 16, v1
	s_mov_b32 s0, 0
	s_mov_b32 s9, -1
	s_delay_alu instid0(VALU_DEP_1) | instskip(NEXT) | instid1(VALU_DEP_1)
	v_trunc_f32_e32 v4, v4
	v_mul_f32_e32 v5, 0x2f800000, v4
	s_delay_alu instid0(VALU_DEP_1) | instskip(NEXT) | instid1(VALU_DEP_1)
	v_floor_f32_e32 v5, v5
	v_fmamk_f32 v4, v5, 0xcf800000, v4
	v_cvt_u32_f32_e32 v5, v5
	s_delay_alu instid0(VALU_DEP_2)
	v_cvt_u32_f32_e32 v4, v4
	global_store_b64 v[2:3], v[4:5], off
.LBB30_1561:
	s_mov_b32 s10, 0
.LBB30_1562:
	s_delay_alu instid0(SALU_CYCLE_1)
	s_and_b32 vcc_lo, exec_lo, s10
	s_cbranch_vccz .LBB30_1578
; %bb.1563:
	s_cmp_lt_i32 s2, 27
	s_mov_b32 s9, -1
	s_cbranch_scc1 .LBB30_1569
; %bb.1564:
	s_cmp_gt_i32 s2, 27
	s_cbranch_scc0 .LBB30_1566
; %bb.1565:
	s_wait_xcnt 0x0
	v_lshlrev_b32_e32 v4, 16, v1
	s_mov_b32 s9, 0
	s_delay_alu instid0(VALU_DEP_1)
	v_cvt_u32_f32_e32 v4, v4
	global_store_b32 v[2:3], v4, off
.LBB30_1566:
	s_and_not1_b32 vcc_lo, exec_lo, s9
	s_cbranch_vccnz .LBB30_1568
; %bb.1567:
	s_wait_xcnt 0x0
	v_lshlrev_b32_e32 v4, 16, v1
	s_delay_alu instid0(VALU_DEP_1)
	v_cvt_u32_f32_e32 v4, v4
	global_store_b16 v[2:3], v4, off
.LBB30_1568:
	s_mov_b32 s9, 0
.LBB30_1569:
	s_delay_alu instid0(SALU_CYCLE_1)
	s_and_not1_b32 vcc_lo, exec_lo, s9
	s_cbranch_vccnz .LBB30_1577
; %bb.1570:
	v_dual_mov_b32 v10, 0x80 :: v_dual_lshlrev_b32 v9, 16, v1
	s_mov_b32 s9, exec_lo
	s_wait_xcnt 0x0
	s_delay_alu instid0(VALU_DEP_1) | instskip(NEXT) | instid1(VALU_DEP_1)
	v_and_b32_e32 v5, 0x7fffffff, v9
	v_cmpx_gt_u32_e32 0x43800000, v5
	s_cbranch_execz .LBB30_1576
; %bb.1571:
	v_and_b32_e32 v4, 0xffff, v1
	v_cmp_lt_u32_e32 vcc_lo, 0x3bffffff, v5
	s_mov_b32 s10, 0
                                        ; implicit-def: $vgpr5
	s_and_saveexec_b32 s14, vcc_lo
	s_delay_alu instid0(SALU_CYCLE_1)
	s_xor_b32 s14, exec_lo, s14
	s_cbranch_execz .LBB30_2021
; %bb.1572:
	v_bfe_u32 v5, v4, 4, 1
	s_mov_b32 s10, exec_lo
	s_delay_alu instid0(VALU_DEP_1) | instskip(NEXT) | instid1(VALU_DEP_1)
	v_add3_u32 v5, v9, v5, 0x487ffff
                                        ; implicit-def: $vgpr9
	v_lshrrev_b32_e32 v5, 20, v5
	s_and_not1_saveexec_b32 s14, s14
	s_cbranch_execnz .LBB30_2022
.LBB30_1573:
	s_or_b32 exec_lo, exec_lo, s14
	v_mov_b32_e32 v10, 0
	s_and_saveexec_b32 s14, s10
.LBB30_1574:
	v_lshrrev_b32_e32 v4, 8, v4
	s_delay_alu instid0(VALU_DEP_1)
	v_and_or_b32 v10, 0x80, v4, v5
.LBB30_1575:
	s_or_b32 exec_lo, exec_lo, s14
.LBB30_1576:
	s_delay_alu instid0(SALU_CYCLE_1)
	s_or_b32 exec_lo, exec_lo, s9
	global_store_b8 v[2:3], v10, off
.LBB30_1577:
	s_mov_b32 s9, -1
.LBB30_1578:
	s_mov_b32 s10, 0
.LBB30_1579:
	s_delay_alu instid0(SALU_CYCLE_1)
	s_and_b32 vcc_lo, exec_lo, s10
	s_cbranch_vccz .LBB30_1619
; %bb.1580:
	s_cmp_gt_i32 s2, 22
	s_mov_b32 s7, -1
	s_cbranch_scc0 .LBB30_1612
; %bb.1581:
	s_cmp_lt_i32 s2, 24
	s_cbranch_scc1 .LBB30_1601
; %bb.1582:
	s_cmp_gt_i32 s2, 24
	s_cbranch_scc0 .LBB30_1590
; %bb.1583:
	s_wait_xcnt 0x0
	v_dual_mov_b32 v10, 0x80 :: v_dual_lshlrev_b32 v9, 16, v1
	s_mov_b32 s7, exec_lo
	s_delay_alu instid0(VALU_DEP_1) | instskip(NEXT) | instid1(VALU_DEP_1)
	v_and_b32_e32 v5, 0x7fffffff, v9
	v_cmpx_gt_u32_e32 0x47800000, v5
	s_cbranch_execz .LBB30_1589
; %bb.1584:
	v_and_b32_e32 v4, 0xffff, v1
	v_cmp_lt_u32_e32 vcc_lo, 0x37ffffff, v5
	s_mov_b32 s9, 0
                                        ; implicit-def: $vgpr5
	s_and_saveexec_b32 s10, vcc_lo
	s_delay_alu instid0(SALU_CYCLE_1)
	s_xor_b32 s10, exec_lo, s10
	s_cbranch_execz .LBB30_2024
; %bb.1585:
	v_bfe_u32 v5, v4, 5, 1
	s_mov_b32 s9, exec_lo
	s_delay_alu instid0(VALU_DEP_1) | instskip(NEXT) | instid1(VALU_DEP_1)
	v_add3_u32 v5, v9, v5, 0x88fffff
                                        ; implicit-def: $vgpr9
	v_lshrrev_b32_e32 v5, 21, v5
	s_and_not1_saveexec_b32 s10, s10
	s_cbranch_execnz .LBB30_2025
.LBB30_1586:
	s_or_b32 exec_lo, exec_lo, s10
	v_mov_b32_e32 v10, 0
	s_and_saveexec_b32 s10, s9
.LBB30_1587:
	v_lshrrev_b32_e32 v4, 8, v4
	s_delay_alu instid0(VALU_DEP_1)
	v_and_or_b32 v10, 0x80, v4, v5
.LBB30_1588:
	s_or_b32 exec_lo, exec_lo, s10
.LBB30_1589:
	s_delay_alu instid0(SALU_CYCLE_1)
	s_or_b32 exec_lo, exec_lo, s7
	s_mov_b32 s7, 0
	global_store_b8 v[2:3], v10, off
.LBB30_1590:
	s_and_b32 vcc_lo, exec_lo, s7
	s_cbranch_vccz .LBB30_1600
; %bb.1591:
	v_lshlrev_b32_e32 v9, 16, v1
	s_wait_xcnt 0x0
	v_and_b32_e32 v4, 0xffff, v1
	s_mov_b32 s7, exec_lo
                                        ; implicit-def: $vgpr5
	s_delay_alu instid0(VALU_DEP_2) | instskip(NEXT) | instid1(VALU_DEP_1)
	v_and_b32_e32 v10, 0x7fffffff, v9
	v_cmpx_gt_u32_e32 0x43f00000, v10
	s_xor_b32 s7, exec_lo, s7
	s_cbranch_execz .LBB30_1597
; %bb.1592:
	s_mov_b32 s9, exec_lo
                                        ; implicit-def: $vgpr5
	v_cmpx_lt_u32_e32 0x3c7fffff, v10
	s_xor_b32 s9, exec_lo, s9
; %bb.1593:
	v_bfe_u32 v5, v4, 4, 1
	s_delay_alu instid0(VALU_DEP_1) | instskip(NEXT) | instid1(VALU_DEP_1)
	v_add3_u32 v5, v9, v5, 0x407ffff
	v_and_b32_e32 v9, 0xff00000, v5
	v_lshrrev_b32_e32 v5, 20, v5
	s_delay_alu instid0(VALU_DEP_2) | instskip(NEXT) | instid1(VALU_DEP_2)
	v_cmp_ne_u32_e32 vcc_lo, 0x7f00000, v9
                                        ; implicit-def: $vgpr9
	v_cndmask_b32_e32 v5, 0x7e, v5, vcc_lo
; %bb.1594:
	s_and_not1_saveexec_b32 s9, s9
; %bb.1595:
	v_add_f32_e64 v5, 0x46800000, |v9|
; %bb.1596:
	s_or_b32 exec_lo, exec_lo, s9
                                        ; implicit-def: $vgpr10
.LBB30_1597:
	s_and_not1_saveexec_b32 s7, s7
; %bb.1598:
	v_mov_b32_e32 v5, 0x7f
	v_cmp_lt_u32_e32 vcc_lo, 0x7f800000, v10
	s_delay_alu instid0(VALU_DEP_2)
	v_cndmask_b32_e32 v5, 0x7e, v5, vcc_lo
; %bb.1599:
	s_or_b32 exec_lo, exec_lo, s7
	v_lshrrev_b32_e32 v4, 8, v4
	s_delay_alu instid0(VALU_DEP_1)
	v_and_or_b32 v4, 0x80, v4, v5
	global_store_b8 v[2:3], v4, off
.LBB30_1600:
	s_mov_b32 s7, 0
.LBB30_1601:
	s_delay_alu instid0(SALU_CYCLE_1)
	s_and_not1_b32 vcc_lo, exec_lo, s7
	s_cbranch_vccnz .LBB30_1611
; %bb.1602:
	v_lshlrev_b32_e32 v9, 16, v1
	s_wait_xcnt 0x0
	v_and_b32_e32 v4, 0xffff, v1
	s_mov_b32 s7, exec_lo
                                        ; implicit-def: $vgpr5
	s_delay_alu instid0(VALU_DEP_2) | instskip(NEXT) | instid1(VALU_DEP_1)
	v_and_b32_e32 v10, 0x7fffffff, v9
	v_cmpx_gt_u32_e32 0x47800000, v10
	s_xor_b32 s7, exec_lo, s7
	s_cbranch_execz .LBB30_1608
; %bb.1603:
	s_mov_b32 s9, exec_lo
                                        ; implicit-def: $vgpr5
	v_cmpx_lt_u32_e32 0x387fffff, v10
	s_xor_b32 s9, exec_lo, s9
; %bb.1604:
	v_bfe_u32 v5, v4, 5, 1
	s_delay_alu instid0(VALU_DEP_1) | instskip(NEXT) | instid1(VALU_DEP_1)
	v_add3_u32 v5, v9, v5, 0x80fffff
                                        ; implicit-def: $vgpr9
	v_lshrrev_b32_e32 v5, 21, v5
; %bb.1605:
	s_and_not1_saveexec_b32 s9, s9
; %bb.1606:
	v_add_f32_e64 v5, 0x43000000, |v9|
; %bb.1607:
	s_or_b32 exec_lo, exec_lo, s9
                                        ; implicit-def: $vgpr10
.LBB30_1608:
	s_and_not1_saveexec_b32 s7, s7
; %bb.1609:
	v_mov_b32_e32 v5, 0x7f
	v_cmp_lt_u32_e32 vcc_lo, 0x7f800000, v10
	s_delay_alu instid0(VALU_DEP_2)
	v_cndmask_b32_e32 v5, 0x7c, v5, vcc_lo
; %bb.1610:
	s_or_b32 exec_lo, exec_lo, s7
	v_lshrrev_b32_e32 v4, 8, v4
	s_delay_alu instid0(VALU_DEP_1)
	v_and_or_b32 v4, 0x80, v4, v5
	global_store_b8 v[2:3], v4, off
.LBB30_1611:
	s_mov_b32 s7, 0
	s_mov_b32 s9, -1
.LBB30_1612:
	s_and_not1_b32 vcc_lo, exec_lo, s7
	s_mov_b32 s7, 0
	s_cbranch_vccnz .LBB30_1619
; %bb.1613:
	s_cmp_gt_i32 s2, 14
	s_mov_b32 s7, -1
	s_cbranch_scc0 .LBB30_1617
; %bb.1614:
	s_cmp_eq_u32 s2, 15
	s_mov_b32 s0, -1
	s_cbranch_scc0 .LBB30_1616
; %bb.1615:
	s_mov_b32 s0, 0
	s_mov_b32 s9, -1
	global_store_b16 v[2:3], v1, off
.LBB30_1616:
	s_mov_b32 s7, 0
.LBB30_1617:
	s_delay_alu instid0(SALU_CYCLE_1)
	s_and_b32 vcc_lo, exec_lo, s7
	s_mov_b32 s7, 0
	s_cbranch_vccz .LBB30_1619
; %bb.1618:
	s_cmp_lg_u32 s2, 11
	s_mov_b32 s7, -1
	s_cselect_b32 s0, -1, 0
.LBB30_1619:
	s_delay_alu instid0(SALU_CYCLE_1)
	s_and_b32 vcc_lo, exec_lo, s0
	s_cbranch_vccnz .LBB30_2023
; %bb.1620:
	s_and_not1_b32 vcc_lo, exec_lo, s7
	s_cbranch_vccnz .LBB30_1622
.LBB30_1621:
	s_wait_xcnt 0x0
	v_and_b32_e32 v4, 0x7fff, v1
	s_mov_b32 s9, -1
	s_delay_alu instid0(VALU_DEP_1)
	v_cmp_ne_u16_e32 vcc_lo, 0, v4
	v_cndmask_b32_e64 v4, 0, 1, vcc_lo
	global_store_b8 v[2:3], v4, off
.LBB30_1622:
.LBB30_1623:
	s_and_not1_b32 vcc_lo, exec_lo, s9
	s_cbranch_vccz .LBB30_1663
	s_branch .LBB30_1975
.LBB30_1624:
	s_and_b32 vcc_lo, exec_lo, s0
	s_cbranch_vccz .LBB30_1623
; %bb.1625:
	s_and_b32 s0, 0xffff, s13
	s_mov_b32 s2, -1
	s_cmp_lt_i32 s0, 5
	s_cbranch_scc1 .LBB30_1646
; %bb.1626:
	s_cmp_lt_i32 s0, 8
	s_cbranch_scc1 .LBB30_1636
; %bb.1627:
	;; [unrolled: 3-line block ×3, first 2 shown]
	s_cmp_gt_i32 s0, 9
	s_cbranch_scc0 .LBB30_1630
; %bb.1629:
	s_wait_xcnt 0x0
	v_dual_lshlrev_b32 v4, 16, v1 :: v_dual_mov_b32 v12, 0
	s_mov_b32 s2, 0
	s_delay_alu instid0(VALU_DEP_1) | instskip(NEXT) | instid1(VALU_DEP_2)
	v_cvt_f64_f32_e32 v[10:11], v4
	v_mov_b32_e32 v13, v12
	global_store_b128 v[2:3], v[10:13], off
.LBB30_1630:
	s_and_not1_b32 vcc_lo, exec_lo, s2
	s_cbranch_vccnz .LBB30_1632
; %bb.1631:
	s_wait_xcnt 0x0
	v_dual_mov_b32 v5, 0 :: v_dual_lshlrev_b32 v4, 16, v1
	global_store_b64 v[2:3], v[4:5], off
.LBB30_1632:
	s_mov_b32 s2, 0
.LBB30_1633:
	s_delay_alu instid0(SALU_CYCLE_1)
	s_and_not1_b32 vcc_lo, exec_lo, s2
	s_cbranch_vccnz .LBB30_1635
; %bb.1634:
	s_wait_xcnt 0x0
	v_lshlrev_b32_e32 v4, 16, v1
	s_delay_alu instid0(VALU_DEP_1) | instskip(NEXT) | instid1(VALU_DEP_1)
	v_cvt_f16_f32_e32 v4, v4
	v_and_b32_e32 v4, 0xffff, v4
	global_store_b32 v[2:3], v4, off
.LBB30_1635:
	s_mov_b32 s2, 0
.LBB30_1636:
	s_delay_alu instid0(SALU_CYCLE_1)
	s_and_not1_b32 vcc_lo, exec_lo, s2
	s_cbranch_vccnz .LBB30_1645
; %bb.1637:
	s_cmp_lt_i32 s0, 6
	s_mov_b32 s2, -1
	s_cbranch_scc1 .LBB30_1643
; %bb.1638:
	s_cmp_gt_i32 s0, 6
	s_cbranch_scc0 .LBB30_1640
; %bb.1639:
	s_wait_xcnt 0x0
	v_lshlrev_b32_e32 v4, 16, v1
	s_mov_b32 s2, 0
	s_delay_alu instid0(VALU_DEP_1)
	v_cvt_f64_f32_e32 v[4:5], v4
	global_store_b64 v[2:3], v[4:5], off
.LBB30_1640:
	s_and_not1_b32 vcc_lo, exec_lo, s2
	s_cbranch_vccnz .LBB30_1642
; %bb.1641:
	s_wait_xcnt 0x0
	v_lshlrev_b32_e32 v4, 16, v1
	global_store_b32 v[2:3], v4, off
.LBB30_1642:
	s_mov_b32 s2, 0
.LBB30_1643:
	s_delay_alu instid0(SALU_CYCLE_1)
	s_and_not1_b32 vcc_lo, exec_lo, s2
	s_cbranch_vccnz .LBB30_1645
; %bb.1644:
	s_wait_xcnt 0x0
	v_lshlrev_b32_e32 v4, 16, v1
	s_delay_alu instid0(VALU_DEP_1)
	v_cvt_f16_f32_e32 v4, v4
	global_store_b16 v[2:3], v4, off
.LBB30_1645:
	s_mov_b32 s2, 0
.LBB30_1646:
	s_delay_alu instid0(SALU_CYCLE_1)
	s_and_not1_b32 vcc_lo, exec_lo, s2
	s_cbranch_vccnz .LBB30_1662
; %bb.1647:
	s_cmp_lt_i32 s0, 2
	s_mov_b32 s2, -1
	s_cbranch_scc1 .LBB30_1657
; %bb.1648:
	s_cmp_lt_i32 s0, 3
	s_cbranch_scc1 .LBB30_1654
; %bb.1649:
	s_cmp_gt_i32 s0, 3
	s_cbranch_scc0 .LBB30_1651
; %bb.1650:
	s_wait_xcnt 0x0
	v_lshlrev_b32_e32 v4, 16, v1
	s_mov_b32 s2, 0
	s_delay_alu instid0(VALU_DEP_1) | instskip(NEXT) | instid1(VALU_DEP_1)
	v_trunc_f32_e32 v4, v4
	v_mul_f32_e64 v5, 0x2f800000, |v4|
	s_delay_alu instid0(VALU_DEP_1) | instskip(NEXT) | instid1(VALU_DEP_1)
	v_floor_f32_e32 v5, v5
	v_fma_f32 v9, 0xcf800000, v5, |v4|
	v_ashrrev_i32_e32 v4, 31, v4
	v_cvt_u32_f32_e32 v10, v5
	s_delay_alu instid0(VALU_DEP_3) | instskip(NEXT) | instid1(VALU_DEP_2)
	v_cvt_u32_f32_e32 v9, v9
	v_dual_mov_b32 v5, v4 :: v_dual_bitop2_b32 v11, v10, v4 bitop3:0x14
	s_delay_alu instid0(VALU_DEP_2) | instskip(NEXT) | instid1(VALU_DEP_1)
	v_xor_b32_e32 v10, v9, v4
	v_sub_nc_u64_e32 v[4:5], v[10:11], v[4:5]
	global_store_b64 v[2:3], v[4:5], off
.LBB30_1651:
	s_and_not1_b32 vcc_lo, exec_lo, s2
	s_cbranch_vccnz .LBB30_1653
; %bb.1652:
	s_wait_xcnt 0x0
	v_lshlrev_b32_e32 v4, 16, v1
	s_delay_alu instid0(VALU_DEP_1)
	v_cvt_i32_f32_e32 v4, v4
	global_store_b32 v[2:3], v4, off
.LBB30_1653:
	s_mov_b32 s2, 0
.LBB30_1654:
	s_delay_alu instid0(SALU_CYCLE_1)
	s_and_not1_b32 vcc_lo, exec_lo, s2
	s_cbranch_vccnz .LBB30_1656
; %bb.1655:
	s_wait_xcnt 0x0
	v_lshlrev_b32_e32 v4, 16, v1
	s_delay_alu instid0(VALU_DEP_1)
	v_cvt_i32_f32_e32 v4, v4
	global_store_b16 v[2:3], v4, off
.LBB30_1656:
	s_mov_b32 s2, 0
.LBB30_1657:
	s_delay_alu instid0(SALU_CYCLE_1)
	s_and_not1_b32 vcc_lo, exec_lo, s2
	s_cbranch_vccnz .LBB30_1662
; %bb.1658:
	s_wait_xcnt 0x0
	v_lshlrev_b32_e32 v1, 16, v1
	s_cmp_gt_i32 s0, 0
	s_mov_b32 s0, -1
	s_cbranch_scc0 .LBB30_1660
; %bb.1659:
	s_delay_alu instid0(VALU_DEP_1)
	v_cvt_i32_f32_e32 v4, v1
	s_mov_b32 s0, 0
	global_store_b8 v[2:3], v4, off
.LBB30_1660:
	s_and_not1_b32 vcc_lo, exec_lo, s0
	s_cbranch_vccnz .LBB30_1662
; %bb.1661:
	v_trunc_f32_e32 v1, v1
	s_wait_xcnt 0x0
	s_delay_alu instid0(VALU_DEP_1) | instskip(NEXT) | instid1(VALU_DEP_1)
	v_mul_f32_e64 v4, 0x2f800000, |v1|
	v_floor_f32_e32 v4, v4
	s_delay_alu instid0(VALU_DEP_1) | instskip(SKIP_1) | instid1(VALU_DEP_2)
	v_fma_f32 v4, 0xcf800000, v4, |v1|
	v_ashrrev_i32_e32 v1, 31, v1
	v_cvt_u32_f32_e32 v4, v4
	s_delay_alu instid0(VALU_DEP_1) | instskip(NEXT) | instid1(VALU_DEP_1)
	v_xor_b32_e32 v4, v4, v1
	v_sub_nc_u32_e32 v1, v4, v1
	global_store_b8 v[2:3], v1, off
.LBB30_1662:
.LBB30_1663:
	s_lshl_b32 s2, s8, 7
	s_wait_xcnt 0x0
	v_dual_lshlrev_b32 v2, 16, v6 :: v_dual_add_nc_u32 v0, s2, v0
	s_mov_b32 s9, 0
	s_delay_alu instid0(VALU_DEP_1) | instskip(NEXT) | instid1(VALU_DEP_2)
	v_cmp_nle_f32_e32 vcc_lo, s6, v2
	v_ashrrev_i32_e32 v1, 31, v0
	v_cmp_nge_f32_e64 s0, s1, v2
	s_delay_alu instid0(VALU_DEP_2)
	v_add_nc_u64_e32 v[2:3], s[4:5], v[0:1]
	s_or_b32 vcc_lo, s0, vcc_lo
	s_cmp_lt_i32 s13, 11
	v_cndmask_b32_e32 v1, 0, v6, vcc_lo
	s_mov_b32 s0, -1
	s_cbranch_scc1 .LBB30_1742
; %bb.1664:
	s_and_b32 s7, 0xffff, s13
	s_mov_b32 s10, -1
	s_mov_b32 s8, 0
	s_cmp_gt_i32 s7, 25
	s_mov_b32 s0, 0
	s_cbranch_scc0 .LBB30_1697
; %bb.1665:
	s_cmp_gt_i32 s7, 28
	s_cbranch_scc0 .LBB30_1680
; %bb.1666:
	s_cmp_gt_i32 s7, 43
	;; [unrolled: 3-line block ×3, first 2 shown]
	s_cbranch_scc0 .LBB30_1670
; %bb.1668:
	s_mov_b32 s0, -1
	s_mov_b32 s10, 0
	s_cmp_eq_u32 s7, 46
	s_cbranch_scc0 .LBB30_1670
; %bb.1669:
	v_and_b32_e32 v4, 0xffff, v1
	s_mov_b32 s0, 0
	s_mov_b32 s9, -1
	global_store_b32 v[2:3], v4, off
.LBB30_1670:
	s_and_b32 vcc_lo, exec_lo, s10
	s_cbranch_vccz .LBB30_1675
; %bb.1671:
	s_cmp_eq_u32 s7, 44
	s_mov_b32 s0, -1
	s_cbranch_scc0 .LBB30_1675
; %bb.1672:
	s_wait_xcnt 0x0
	v_and_b32_e32 v4, 0xffff, v1
	v_mov_b32_e32 v5, 0xff
	s_mov_b32 s9, exec_lo
	s_delay_alu instid0(VALU_DEP_2) | instskip(NEXT) | instid1(VALU_DEP_1)
	v_bfe_u32 v6, v4, 7, 8
	v_cmpx_ne_u32_e32 0xff, v6
	s_cbranch_execz .LBB30_1674
; %bb.1673:
	v_dual_lshlrev_b32 v5, 16, v4 :: v_dual_bitop2_b32 v9, 64, v4 bitop3:0x40
	v_lshrrev_b32_e32 v4, 7, v4
	s_delay_alu instid0(VALU_DEP_2) | instskip(NEXT) | instid1(VALU_DEP_3)
	v_and_or_b32 v5, 0x3f0000, v5, v6
	v_cmp_ne_u32_e32 vcc_lo, 0, v9
	s_delay_alu instid0(VALU_DEP_2) | instskip(SKIP_1) | instid1(SALU_CYCLE_1)
	v_cmp_ne_u32_e64 s0, 0, v5
	s_and_b32 s0, vcc_lo, s0
	v_cndmask_b32_e64 v5, 0, 1, s0
	s_delay_alu instid0(VALU_DEP_1)
	v_add_nc_u32_e32 v5, v4, v5
.LBB30_1674:
	s_or_b32 exec_lo, exec_lo, s9
	s_mov_b32 s0, 0
	s_mov_b32 s9, -1
	global_store_b8 v[2:3], v5, off
.LBB30_1675:
	s_mov_b32 s10, 0
.LBB30_1676:
	s_delay_alu instid0(SALU_CYCLE_1)
	s_and_b32 vcc_lo, exec_lo, s10
	s_cbranch_vccz .LBB30_1679
; %bb.1677:
	s_cmp_eq_u32 s7, 29
	s_mov_b32 s0, -1
	s_cbranch_scc0 .LBB30_1679
; %bb.1678:
	s_wait_xcnt 0x0
	v_lshlrev_b32_e32 v4, 16, v1
	s_mov_b32 s0, 0
	s_mov_b32 s9, -1
	s_delay_alu instid0(VALU_DEP_1) | instskip(NEXT) | instid1(VALU_DEP_1)
	v_trunc_f32_e32 v4, v4
	v_mul_f32_e32 v5, 0x2f800000, v4
	s_delay_alu instid0(VALU_DEP_1) | instskip(NEXT) | instid1(VALU_DEP_1)
	v_floor_f32_e32 v5, v5
	v_fmamk_f32 v4, v5, 0xcf800000, v4
	v_cvt_u32_f32_e32 v5, v5
	s_delay_alu instid0(VALU_DEP_2)
	v_cvt_u32_f32_e32 v4, v4
	global_store_b64 v[2:3], v[4:5], off
.LBB30_1679:
	s_mov_b32 s10, 0
.LBB30_1680:
	s_delay_alu instid0(SALU_CYCLE_1)
	s_and_b32 vcc_lo, exec_lo, s10
	s_cbranch_vccz .LBB30_1696
; %bb.1681:
	s_cmp_lt_i32 s7, 27
	s_mov_b32 s9, -1
	s_cbranch_scc1 .LBB30_1687
; %bb.1682:
	s_cmp_gt_i32 s7, 27
	s_cbranch_scc0 .LBB30_1684
; %bb.1683:
	s_wait_xcnt 0x0
	v_lshlrev_b32_e32 v4, 16, v1
	s_mov_b32 s9, 0
	s_delay_alu instid0(VALU_DEP_1)
	v_cvt_u32_f32_e32 v4, v4
	global_store_b32 v[2:3], v4, off
.LBB30_1684:
	s_and_not1_b32 vcc_lo, exec_lo, s9
	s_cbranch_vccnz .LBB30_1686
; %bb.1685:
	s_wait_xcnt 0x0
	v_lshlrev_b32_e32 v4, 16, v1
	s_delay_alu instid0(VALU_DEP_1)
	v_cvt_u32_f32_e32 v4, v4
	global_store_b16 v[2:3], v4, off
.LBB30_1686:
	s_mov_b32 s9, 0
.LBB30_1687:
	s_delay_alu instid0(SALU_CYCLE_1)
	s_and_not1_b32 vcc_lo, exec_lo, s9
	s_cbranch_vccnz .LBB30_1695
; %bb.1688:
	v_dual_mov_b32 v9, 0x80 :: v_dual_lshlrev_b32 v6, 16, v1
	s_mov_b32 s9, exec_lo
	s_wait_xcnt 0x0
	s_delay_alu instid0(VALU_DEP_1) | instskip(NEXT) | instid1(VALU_DEP_1)
	v_and_b32_e32 v5, 0x7fffffff, v6
	v_cmpx_gt_u32_e32 0x43800000, v5
	s_cbranch_execz .LBB30_1694
; %bb.1689:
	v_and_b32_e32 v4, 0xffff, v1
	v_cmp_lt_u32_e32 vcc_lo, 0x3bffffff, v5
	s_mov_b32 s10, 0
                                        ; implicit-def: $vgpr5
	s_and_saveexec_b32 s14, vcc_lo
	s_delay_alu instid0(SALU_CYCLE_1)
	s_xor_b32 s14, exec_lo, s14
	s_cbranch_execz .LBB30_2026
; %bb.1690:
	v_bfe_u32 v5, v4, 4, 1
	s_mov_b32 s10, exec_lo
	s_delay_alu instid0(VALU_DEP_1) | instskip(NEXT) | instid1(VALU_DEP_1)
	v_add3_u32 v5, v6, v5, 0x487ffff
                                        ; implicit-def: $vgpr6
	v_lshrrev_b32_e32 v5, 20, v5
	s_and_not1_saveexec_b32 s14, s14
	s_cbranch_execnz .LBB30_2027
.LBB30_1691:
	s_or_b32 exec_lo, exec_lo, s14
	v_mov_b32_e32 v9, 0
	s_and_saveexec_b32 s14, s10
.LBB30_1692:
	v_lshrrev_b32_e32 v4, 8, v4
	s_delay_alu instid0(VALU_DEP_1)
	v_and_or_b32 v9, 0x80, v4, v5
.LBB30_1693:
	s_or_b32 exec_lo, exec_lo, s14
.LBB30_1694:
	s_delay_alu instid0(SALU_CYCLE_1)
	s_or_b32 exec_lo, exec_lo, s9
	global_store_b8 v[2:3], v9, off
.LBB30_1695:
	s_mov_b32 s9, -1
.LBB30_1696:
	s_mov_b32 s10, 0
.LBB30_1697:
	s_delay_alu instid0(SALU_CYCLE_1)
	s_and_b32 vcc_lo, exec_lo, s10
	s_cbranch_vccz .LBB30_1737
; %bb.1698:
	s_cmp_gt_i32 s7, 22
	s_mov_b32 s8, -1
	s_cbranch_scc0 .LBB30_1730
; %bb.1699:
	s_cmp_lt_i32 s7, 24
	s_cbranch_scc1 .LBB30_1719
; %bb.1700:
	s_cmp_gt_i32 s7, 24
	s_cbranch_scc0 .LBB30_1708
; %bb.1701:
	s_wait_xcnt 0x0
	v_dual_mov_b32 v9, 0x80 :: v_dual_lshlrev_b32 v6, 16, v1
	s_mov_b32 s8, exec_lo
	s_delay_alu instid0(VALU_DEP_1) | instskip(NEXT) | instid1(VALU_DEP_1)
	v_and_b32_e32 v5, 0x7fffffff, v6
	v_cmpx_gt_u32_e32 0x47800000, v5
	s_cbranch_execz .LBB30_1707
; %bb.1702:
	v_and_b32_e32 v4, 0xffff, v1
	v_cmp_lt_u32_e32 vcc_lo, 0x37ffffff, v5
	s_mov_b32 s9, 0
                                        ; implicit-def: $vgpr5
	s_and_saveexec_b32 s10, vcc_lo
	s_delay_alu instid0(SALU_CYCLE_1)
	s_xor_b32 s10, exec_lo, s10
	s_cbranch_execz .LBB30_2029
; %bb.1703:
	v_bfe_u32 v5, v4, 5, 1
	s_mov_b32 s9, exec_lo
	s_delay_alu instid0(VALU_DEP_1) | instskip(NEXT) | instid1(VALU_DEP_1)
	v_add3_u32 v5, v6, v5, 0x88fffff
                                        ; implicit-def: $vgpr6
	v_lshrrev_b32_e32 v5, 21, v5
	s_and_not1_saveexec_b32 s10, s10
	s_cbranch_execnz .LBB30_2030
.LBB30_1704:
	s_or_b32 exec_lo, exec_lo, s10
	v_mov_b32_e32 v9, 0
	s_and_saveexec_b32 s10, s9
.LBB30_1705:
	v_lshrrev_b32_e32 v4, 8, v4
	s_delay_alu instid0(VALU_DEP_1)
	v_and_or_b32 v9, 0x80, v4, v5
.LBB30_1706:
	s_or_b32 exec_lo, exec_lo, s10
.LBB30_1707:
	s_delay_alu instid0(SALU_CYCLE_1)
	s_or_b32 exec_lo, exec_lo, s8
	s_mov_b32 s8, 0
	global_store_b8 v[2:3], v9, off
.LBB30_1708:
	s_and_b32 vcc_lo, exec_lo, s8
	s_cbranch_vccz .LBB30_1718
; %bb.1709:
	v_lshlrev_b32_e32 v6, 16, v1
	s_wait_xcnt 0x0
	v_and_b32_e32 v4, 0xffff, v1
	s_mov_b32 s8, exec_lo
                                        ; implicit-def: $vgpr5
	s_delay_alu instid0(VALU_DEP_2) | instskip(NEXT) | instid1(VALU_DEP_1)
	v_and_b32_e32 v9, 0x7fffffff, v6
	v_cmpx_gt_u32_e32 0x43f00000, v9
	s_xor_b32 s8, exec_lo, s8
	s_cbranch_execz .LBB30_1715
; %bb.1710:
	s_mov_b32 s9, exec_lo
                                        ; implicit-def: $vgpr5
	v_cmpx_lt_u32_e32 0x3c7fffff, v9
	s_xor_b32 s9, exec_lo, s9
; %bb.1711:
	v_bfe_u32 v5, v4, 4, 1
	s_delay_alu instid0(VALU_DEP_1) | instskip(NEXT) | instid1(VALU_DEP_1)
	v_add3_u32 v5, v6, v5, 0x407ffff
	v_and_b32_e32 v6, 0xff00000, v5
	v_lshrrev_b32_e32 v5, 20, v5
	s_delay_alu instid0(VALU_DEP_2) | instskip(NEXT) | instid1(VALU_DEP_2)
	v_cmp_ne_u32_e32 vcc_lo, 0x7f00000, v6
                                        ; implicit-def: $vgpr6
	v_cndmask_b32_e32 v5, 0x7e, v5, vcc_lo
; %bb.1712:
	s_and_not1_saveexec_b32 s9, s9
; %bb.1713:
	v_add_f32_e64 v5, 0x46800000, |v6|
; %bb.1714:
	s_or_b32 exec_lo, exec_lo, s9
                                        ; implicit-def: $vgpr9
.LBB30_1715:
	s_and_not1_saveexec_b32 s8, s8
; %bb.1716:
	v_mov_b32_e32 v5, 0x7f
	v_cmp_lt_u32_e32 vcc_lo, 0x7f800000, v9
	s_delay_alu instid0(VALU_DEP_2)
	v_cndmask_b32_e32 v5, 0x7e, v5, vcc_lo
; %bb.1717:
	s_or_b32 exec_lo, exec_lo, s8
	v_lshrrev_b32_e32 v4, 8, v4
	s_delay_alu instid0(VALU_DEP_1)
	v_and_or_b32 v4, 0x80, v4, v5
	global_store_b8 v[2:3], v4, off
.LBB30_1718:
	s_mov_b32 s8, 0
.LBB30_1719:
	s_delay_alu instid0(SALU_CYCLE_1)
	s_and_not1_b32 vcc_lo, exec_lo, s8
	s_cbranch_vccnz .LBB30_1729
; %bb.1720:
	v_lshlrev_b32_e32 v6, 16, v1
	s_wait_xcnt 0x0
	v_and_b32_e32 v4, 0xffff, v1
	s_mov_b32 s8, exec_lo
                                        ; implicit-def: $vgpr5
	s_delay_alu instid0(VALU_DEP_2) | instskip(NEXT) | instid1(VALU_DEP_1)
	v_and_b32_e32 v9, 0x7fffffff, v6
	v_cmpx_gt_u32_e32 0x47800000, v9
	s_xor_b32 s8, exec_lo, s8
	s_cbranch_execz .LBB30_1726
; %bb.1721:
	s_mov_b32 s9, exec_lo
                                        ; implicit-def: $vgpr5
	v_cmpx_lt_u32_e32 0x387fffff, v9
	s_xor_b32 s9, exec_lo, s9
; %bb.1722:
	v_bfe_u32 v5, v4, 5, 1
	s_delay_alu instid0(VALU_DEP_1) | instskip(NEXT) | instid1(VALU_DEP_1)
	v_add3_u32 v5, v6, v5, 0x80fffff
                                        ; implicit-def: $vgpr6
	v_lshrrev_b32_e32 v5, 21, v5
; %bb.1723:
	s_and_not1_saveexec_b32 s9, s9
; %bb.1724:
	v_add_f32_e64 v5, 0x43000000, |v6|
; %bb.1725:
	s_or_b32 exec_lo, exec_lo, s9
                                        ; implicit-def: $vgpr9
.LBB30_1726:
	s_and_not1_saveexec_b32 s8, s8
; %bb.1727:
	v_mov_b32_e32 v5, 0x7f
	v_cmp_lt_u32_e32 vcc_lo, 0x7f800000, v9
	s_delay_alu instid0(VALU_DEP_2)
	v_cndmask_b32_e32 v5, 0x7c, v5, vcc_lo
; %bb.1728:
	s_or_b32 exec_lo, exec_lo, s8
	v_lshrrev_b32_e32 v4, 8, v4
	s_delay_alu instid0(VALU_DEP_1)
	v_and_or_b32 v4, 0x80, v4, v5
	global_store_b8 v[2:3], v4, off
.LBB30_1729:
	s_mov_b32 s8, 0
	s_mov_b32 s9, -1
.LBB30_1730:
	s_and_not1_b32 vcc_lo, exec_lo, s8
	s_mov_b32 s8, 0
	s_cbranch_vccnz .LBB30_1737
; %bb.1731:
	s_cmp_gt_i32 s7, 14
	s_mov_b32 s8, -1
	s_cbranch_scc0 .LBB30_1735
; %bb.1732:
	s_cmp_eq_u32 s7, 15
	s_mov_b32 s0, -1
	s_cbranch_scc0 .LBB30_1734
; %bb.1733:
	s_mov_b32 s0, 0
	s_mov_b32 s9, -1
	global_store_b16 v[2:3], v1, off
.LBB30_1734:
	s_mov_b32 s8, 0
.LBB30_1735:
	s_delay_alu instid0(SALU_CYCLE_1)
	s_and_b32 vcc_lo, exec_lo, s8
	s_mov_b32 s8, 0
	s_cbranch_vccz .LBB30_1737
; %bb.1736:
	s_cmp_lg_u32 s7, 11
	s_mov_b32 s8, -1
	s_cselect_b32 s0, -1, 0
.LBB30_1737:
	s_delay_alu instid0(SALU_CYCLE_1)
	s_and_b32 vcc_lo, exec_lo, s0
	s_cbranch_vccnz .LBB30_2028
; %bb.1738:
	s_and_not1_b32 vcc_lo, exec_lo, s8
	s_cbranch_vccnz .LBB30_1740
.LBB30_1739:
	s_wait_xcnt 0x0
	v_and_b32_e32 v4, 0x7fff, v1
	s_mov_b32 s9, -1
	s_delay_alu instid0(VALU_DEP_1)
	v_cmp_ne_u16_e32 vcc_lo, 0, v4
	v_cndmask_b32_e64 v4, 0, 1, vcc_lo
	global_store_b8 v[2:3], v4, off
.LBB30_1740:
.LBB30_1741:
	s_and_not1_b32 vcc_lo, exec_lo, s9
	s_cbranch_vccz .LBB30_1781
	s_branch .LBB30_1975
.LBB30_1742:
	s_and_b32 vcc_lo, exec_lo, s0
	s_cbranch_vccz .LBB30_1741
; %bb.1743:
	s_and_b32 s0, 0xffff, s13
	s_mov_b32 s7, -1
	s_cmp_lt_i32 s0, 5
	s_cbranch_scc1 .LBB30_1764
; %bb.1744:
	s_cmp_lt_i32 s0, 8
	s_cbranch_scc1 .LBB30_1754
; %bb.1745:
	;; [unrolled: 3-line block ×3, first 2 shown]
	s_cmp_gt_i32 s0, 9
	s_cbranch_scc0 .LBB30_1748
; %bb.1747:
	s_wait_xcnt 0x0
	v_dual_lshlrev_b32 v4, 16, v1 :: v_dual_mov_b32 v12, 0
	s_mov_b32 s7, 0
	s_delay_alu instid0(VALU_DEP_1) | instskip(NEXT) | instid1(VALU_DEP_2)
	v_cvt_f64_f32_e32 v[10:11], v4
	v_mov_b32_e32 v13, v12
	global_store_b128 v[2:3], v[10:13], off
.LBB30_1748:
	s_and_not1_b32 vcc_lo, exec_lo, s7
	s_cbranch_vccnz .LBB30_1750
; %bb.1749:
	s_wait_xcnt 0x0
	v_dual_mov_b32 v5, 0 :: v_dual_lshlrev_b32 v4, 16, v1
	global_store_b64 v[2:3], v[4:5], off
.LBB30_1750:
	s_mov_b32 s7, 0
.LBB30_1751:
	s_delay_alu instid0(SALU_CYCLE_1)
	s_and_not1_b32 vcc_lo, exec_lo, s7
	s_cbranch_vccnz .LBB30_1753
; %bb.1752:
	s_wait_xcnt 0x0
	v_lshlrev_b32_e32 v4, 16, v1
	s_delay_alu instid0(VALU_DEP_1) | instskip(NEXT) | instid1(VALU_DEP_1)
	v_cvt_f16_f32_e32 v4, v4
	v_and_b32_e32 v4, 0xffff, v4
	global_store_b32 v[2:3], v4, off
.LBB30_1753:
	s_mov_b32 s7, 0
.LBB30_1754:
	s_delay_alu instid0(SALU_CYCLE_1)
	s_and_not1_b32 vcc_lo, exec_lo, s7
	s_cbranch_vccnz .LBB30_1763
; %bb.1755:
	s_cmp_lt_i32 s0, 6
	s_mov_b32 s7, -1
	s_cbranch_scc1 .LBB30_1761
; %bb.1756:
	s_cmp_gt_i32 s0, 6
	s_cbranch_scc0 .LBB30_1758
; %bb.1757:
	s_wait_xcnt 0x0
	v_lshlrev_b32_e32 v4, 16, v1
	s_mov_b32 s7, 0
	s_delay_alu instid0(VALU_DEP_1)
	v_cvt_f64_f32_e32 v[4:5], v4
	global_store_b64 v[2:3], v[4:5], off
.LBB30_1758:
	s_and_not1_b32 vcc_lo, exec_lo, s7
	s_cbranch_vccnz .LBB30_1760
; %bb.1759:
	s_wait_xcnt 0x0
	v_lshlrev_b32_e32 v4, 16, v1
	global_store_b32 v[2:3], v4, off
.LBB30_1760:
	s_mov_b32 s7, 0
.LBB30_1761:
	s_delay_alu instid0(SALU_CYCLE_1)
	s_and_not1_b32 vcc_lo, exec_lo, s7
	s_cbranch_vccnz .LBB30_1763
; %bb.1762:
	s_wait_xcnt 0x0
	v_lshlrev_b32_e32 v4, 16, v1
	s_delay_alu instid0(VALU_DEP_1)
	v_cvt_f16_f32_e32 v4, v4
	global_store_b16 v[2:3], v4, off
.LBB30_1763:
	s_mov_b32 s7, 0
.LBB30_1764:
	s_delay_alu instid0(SALU_CYCLE_1)
	s_and_not1_b32 vcc_lo, exec_lo, s7
	s_cbranch_vccnz .LBB30_1780
; %bb.1765:
	s_cmp_lt_i32 s0, 2
	s_mov_b32 s7, -1
	s_cbranch_scc1 .LBB30_1775
; %bb.1766:
	s_cmp_lt_i32 s0, 3
	s_cbranch_scc1 .LBB30_1772
; %bb.1767:
	s_cmp_gt_i32 s0, 3
	s_cbranch_scc0 .LBB30_1769
; %bb.1768:
	s_wait_xcnt 0x0
	v_lshlrev_b32_e32 v4, 16, v1
	s_mov_b32 s7, 0
	s_delay_alu instid0(VALU_DEP_1) | instskip(NEXT) | instid1(VALU_DEP_1)
	v_trunc_f32_e32 v4, v4
	v_mul_f32_e64 v5, 0x2f800000, |v4|
	s_delay_alu instid0(VALU_DEP_1) | instskip(NEXT) | instid1(VALU_DEP_1)
	v_floor_f32_e32 v5, v5
	v_fma_f32 v6, 0xcf800000, v5, |v4|
	v_ashrrev_i32_e32 v4, 31, v4
	v_cvt_u32_f32_e32 v9, v5
	s_delay_alu instid0(VALU_DEP_3) | instskip(NEXT) | instid1(VALU_DEP_2)
	v_cvt_u32_f32_e32 v6, v6
	v_dual_mov_b32 v5, v4 :: v_dual_bitop2_b32 v11, v9, v4 bitop3:0x14
	s_delay_alu instid0(VALU_DEP_2) | instskip(NEXT) | instid1(VALU_DEP_1)
	v_xor_b32_e32 v10, v6, v4
	v_sub_nc_u64_e32 v[4:5], v[10:11], v[4:5]
	global_store_b64 v[2:3], v[4:5], off
.LBB30_1769:
	s_and_not1_b32 vcc_lo, exec_lo, s7
	s_cbranch_vccnz .LBB30_1771
; %bb.1770:
	s_wait_xcnt 0x0
	v_lshlrev_b32_e32 v4, 16, v1
	s_delay_alu instid0(VALU_DEP_1)
	v_cvt_i32_f32_e32 v4, v4
	global_store_b32 v[2:3], v4, off
.LBB30_1771:
	s_mov_b32 s7, 0
.LBB30_1772:
	s_delay_alu instid0(SALU_CYCLE_1)
	s_and_not1_b32 vcc_lo, exec_lo, s7
	s_cbranch_vccnz .LBB30_1774
; %bb.1773:
	s_wait_xcnt 0x0
	v_lshlrev_b32_e32 v4, 16, v1
	s_delay_alu instid0(VALU_DEP_1)
	v_cvt_i32_f32_e32 v4, v4
	global_store_b16 v[2:3], v4, off
.LBB30_1774:
	s_mov_b32 s7, 0
.LBB30_1775:
	s_delay_alu instid0(SALU_CYCLE_1)
	s_and_not1_b32 vcc_lo, exec_lo, s7
	s_cbranch_vccnz .LBB30_1780
; %bb.1776:
	s_wait_xcnt 0x0
	v_lshlrev_b32_e32 v1, 16, v1
	s_cmp_gt_i32 s0, 0
	s_mov_b32 s0, -1
	s_cbranch_scc0 .LBB30_1778
; %bb.1777:
	s_delay_alu instid0(VALU_DEP_1)
	v_cvt_i32_f32_e32 v4, v1
	s_mov_b32 s0, 0
	global_store_b8 v[2:3], v4, off
.LBB30_1778:
	s_and_not1_b32 vcc_lo, exec_lo, s0
	s_cbranch_vccnz .LBB30_1780
; %bb.1779:
	v_trunc_f32_e32 v1, v1
	s_wait_xcnt 0x0
	s_delay_alu instid0(VALU_DEP_1) | instskip(NEXT) | instid1(VALU_DEP_1)
	v_mul_f32_e64 v4, 0x2f800000, |v1|
	v_floor_f32_e32 v4, v4
	s_delay_alu instid0(VALU_DEP_1) | instskip(SKIP_1) | instid1(VALU_DEP_2)
	v_fma_f32 v4, 0xcf800000, v4, |v1|
	v_ashrrev_i32_e32 v1, 31, v1
	v_cvt_u32_f32_e32 v4, v4
	s_delay_alu instid0(VALU_DEP_1) | instskip(NEXT) | instid1(VALU_DEP_1)
	v_xor_b32_e32 v4, v4, v1
	v_sub_nc_u32_e32 v1, v4, v1
	global_store_b8 v[2:3], v1, off
.LBB30_1780:
.LBB30_1781:
	s_wait_xcnt 0x0
	v_dual_lshlrev_b32 v2, 16, v7 :: v_dual_add_nc_u32 v0, s2, v0
	s_mov_b32 s9, 0
	s_delay_alu instid0(VALU_DEP_1) | instskip(NEXT) | instid1(VALU_DEP_2)
	v_cmp_nle_f32_e32 vcc_lo, s6, v2
	v_ashrrev_i32_e32 v1, 31, v0
	v_cmp_nge_f32_e64 s0, s1, v2
	s_delay_alu instid0(VALU_DEP_2)
	v_add_nc_u64_e32 v[2:3], s[4:5], v[0:1]
	s_or_b32 vcc_lo, s0, vcc_lo
	s_cmp_lt_i32 s13, 11
	v_cndmask_b32_e32 v1, 0, v7, vcc_lo
	s_mov_b32 s0, -1
	s_cbranch_scc1 .LBB30_1936
; %bb.1782:
	s_and_b32 s7, 0xffff, s13
	s_mov_b32 s10, -1
	s_mov_b32 s8, 0
	s_cmp_gt_i32 s7, 25
	s_mov_b32 s0, 0
	s_cbranch_scc0 .LBB30_1815
; %bb.1783:
	s_cmp_gt_i32 s7, 28
	s_cbranch_scc0 .LBB30_1798
; %bb.1784:
	s_cmp_gt_i32 s7, 43
	;; [unrolled: 3-line block ×3, first 2 shown]
	s_cbranch_scc0 .LBB30_1788
; %bb.1786:
	s_mov_b32 s0, -1
	s_mov_b32 s10, 0
	s_cmp_eq_u32 s7, 46
	s_cbranch_scc0 .LBB30_1788
; %bb.1787:
	v_and_b32_e32 v4, 0xffff, v1
	s_mov_b32 s0, 0
	s_mov_b32 s9, -1
	global_store_b32 v[2:3], v4, off
.LBB30_1788:
	s_and_b32 vcc_lo, exec_lo, s10
	s_cbranch_vccz .LBB30_1793
; %bb.1789:
	s_cmp_eq_u32 s7, 44
	s_mov_b32 s0, -1
	s_cbranch_scc0 .LBB30_1793
; %bb.1790:
	s_wait_xcnt 0x0
	v_and_b32_e32 v4, 0xffff, v1
	v_mov_b32_e32 v5, 0xff
	s_mov_b32 s9, exec_lo
	s_delay_alu instid0(VALU_DEP_2) | instskip(NEXT) | instid1(VALU_DEP_1)
	v_bfe_u32 v6, v4, 7, 8
	v_cmpx_ne_u32_e32 0xff, v6
	s_cbranch_execz .LBB30_1792
; %bb.1791:
	v_dual_lshlrev_b32 v5, 16, v4 :: v_dual_bitop2_b32 v7, 64, v4 bitop3:0x40
	v_lshrrev_b32_e32 v4, 7, v4
	s_delay_alu instid0(VALU_DEP_2) | instskip(NEXT) | instid1(VALU_DEP_3)
	v_and_or_b32 v5, 0x3f0000, v5, v6
	v_cmp_ne_u32_e32 vcc_lo, 0, v7
	s_delay_alu instid0(VALU_DEP_2) | instskip(SKIP_1) | instid1(SALU_CYCLE_1)
	v_cmp_ne_u32_e64 s0, 0, v5
	s_and_b32 s0, vcc_lo, s0
	v_cndmask_b32_e64 v5, 0, 1, s0
	s_delay_alu instid0(VALU_DEP_1)
	v_add_nc_u32_e32 v5, v4, v5
.LBB30_1792:
	s_or_b32 exec_lo, exec_lo, s9
	s_mov_b32 s0, 0
	s_mov_b32 s9, -1
	global_store_b8 v[2:3], v5, off
.LBB30_1793:
	s_mov_b32 s10, 0
.LBB30_1794:
	s_delay_alu instid0(SALU_CYCLE_1)
	s_and_b32 vcc_lo, exec_lo, s10
	s_cbranch_vccz .LBB30_1797
; %bb.1795:
	s_cmp_eq_u32 s7, 29
	s_mov_b32 s0, -1
	s_cbranch_scc0 .LBB30_1797
; %bb.1796:
	s_wait_xcnt 0x0
	v_lshlrev_b32_e32 v4, 16, v1
	s_mov_b32 s0, 0
	s_mov_b32 s9, -1
	s_delay_alu instid0(VALU_DEP_1) | instskip(NEXT) | instid1(VALU_DEP_1)
	v_trunc_f32_e32 v4, v4
	v_mul_f32_e32 v5, 0x2f800000, v4
	s_delay_alu instid0(VALU_DEP_1) | instskip(NEXT) | instid1(VALU_DEP_1)
	v_floor_f32_e32 v5, v5
	v_fmamk_f32 v4, v5, 0xcf800000, v4
	v_cvt_u32_f32_e32 v5, v5
	s_delay_alu instid0(VALU_DEP_2)
	v_cvt_u32_f32_e32 v4, v4
	global_store_b64 v[2:3], v[4:5], off
.LBB30_1797:
	s_mov_b32 s10, 0
.LBB30_1798:
	s_delay_alu instid0(SALU_CYCLE_1)
	s_and_b32 vcc_lo, exec_lo, s10
	s_cbranch_vccz .LBB30_1814
; %bb.1799:
	s_cmp_lt_i32 s7, 27
	s_mov_b32 s9, -1
	s_cbranch_scc1 .LBB30_1805
; %bb.1800:
	s_cmp_gt_i32 s7, 27
	s_cbranch_scc0 .LBB30_1802
; %bb.1801:
	s_wait_xcnt 0x0
	v_lshlrev_b32_e32 v4, 16, v1
	s_mov_b32 s9, 0
	s_delay_alu instid0(VALU_DEP_1)
	v_cvt_u32_f32_e32 v4, v4
	global_store_b32 v[2:3], v4, off
.LBB30_1802:
	s_and_not1_b32 vcc_lo, exec_lo, s9
	s_cbranch_vccnz .LBB30_1804
; %bb.1803:
	s_wait_xcnt 0x0
	v_lshlrev_b32_e32 v4, 16, v1
	s_delay_alu instid0(VALU_DEP_1)
	v_cvt_u32_f32_e32 v4, v4
	global_store_b16 v[2:3], v4, off
.LBB30_1804:
	s_mov_b32 s9, 0
.LBB30_1805:
	s_delay_alu instid0(SALU_CYCLE_1)
	s_and_not1_b32 vcc_lo, exec_lo, s9
	s_cbranch_vccnz .LBB30_1813
; %bb.1806:
	v_dual_mov_b32 v7, 0x80 :: v_dual_lshlrev_b32 v6, 16, v1
	s_mov_b32 s9, exec_lo
	s_wait_xcnt 0x0
	s_delay_alu instid0(VALU_DEP_1) | instskip(NEXT) | instid1(VALU_DEP_1)
	v_and_b32_e32 v5, 0x7fffffff, v6
	v_cmpx_gt_u32_e32 0x43800000, v5
	s_cbranch_execz .LBB30_1812
; %bb.1807:
	v_and_b32_e32 v4, 0xffff, v1
	v_cmp_lt_u32_e32 vcc_lo, 0x3bffffff, v5
	s_mov_b32 s10, 0
                                        ; implicit-def: $vgpr5
	s_and_saveexec_b32 s14, vcc_lo
	s_delay_alu instid0(SALU_CYCLE_1)
	s_xor_b32 s14, exec_lo, s14
	s_cbranch_execz .LBB30_2031
; %bb.1808:
	v_bfe_u32 v5, v4, 4, 1
	s_mov_b32 s10, exec_lo
	s_delay_alu instid0(VALU_DEP_1) | instskip(NEXT) | instid1(VALU_DEP_1)
	v_add3_u32 v5, v6, v5, 0x487ffff
                                        ; implicit-def: $vgpr6
	v_lshrrev_b32_e32 v5, 20, v5
	s_and_not1_saveexec_b32 s14, s14
	s_cbranch_execnz .LBB30_2032
.LBB30_1809:
	s_or_b32 exec_lo, exec_lo, s14
	v_mov_b32_e32 v7, 0
	s_and_saveexec_b32 s14, s10
.LBB30_1810:
	v_lshrrev_b32_e32 v4, 8, v4
	s_delay_alu instid0(VALU_DEP_1)
	v_and_or_b32 v7, 0x80, v4, v5
.LBB30_1811:
	s_or_b32 exec_lo, exec_lo, s14
.LBB30_1812:
	s_delay_alu instid0(SALU_CYCLE_1)
	s_or_b32 exec_lo, exec_lo, s9
	global_store_b8 v[2:3], v7, off
.LBB30_1813:
	s_mov_b32 s9, -1
.LBB30_1814:
	s_mov_b32 s10, 0
.LBB30_1815:
	s_delay_alu instid0(SALU_CYCLE_1)
	s_and_b32 vcc_lo, exec_lo, s10
	s_cbranch_vccz .LBB30_1855
; %bb.1816:
	s_cmp_gt_i32 s7, 22
	s_mov_b32 s8, -1
	s_cbranch_scc0 .LBB30_1848
; %bb.1817:
	s_cmp_lt_i32 s7, 24
	s_cbranch_scc1 .LBB30_1837
; %bb.1818:
	s_cmp_gt_i32 s7, 24
	s_cbranch_scc0 .LBB30_1826
; %bb.1819:
	s_wait_xcnt 0x0
	v_dual_mov_b32 v7, 0x80 :: v_dual_lshlrev_b32 v6, 16, v1
	s_mov_b32 s8, exec_lo
	s_delay_alu instid0(VALU_DEP_1) | instskip(NEXT) | instid1(VALU_DEP_1)
	v_and_b32_e32 v5, 0x7fffffff, v6
	v_cmpx_gt_u32_e32 0x47800000, v5
	s_cbranch_execz .LBB30_1825
; %bb.1820:
	v_and_b32_e32 v4, 0xffff, v1
	v_cmp_lt_u32_e32 vcc_lo, 0x37ffffff, v5
	s_mov_b32 s9, 0
                                        ; implicit-def: $vgpr5
	s_and_saveexec_b32 s10, vcc_lo
	s_delay_alu instid0(SALU_CYCLE_1)
	s_xor_b32 s10, exec_lo, s10
	s_cbranch_execz .LBB30_2034
; %bb.1821:
	v_bfe_u32 v5, v4, 5, 1
	s_mov_b32 s9, exec_lo
	s_delay_alu instid0(VALU_DEP_1) | instskip(NEXT) | instid1(VALU_DEP_1)
	v_add3_u32 v5, v6, v5, 0x88fffff
                                        ; implicit-def: $vgpr6
	v_lshrrev_b32_e32 v5, 21, v5
	s_and_not1_saveexec_b32 s10, s10
	s_cbranch_execnz .LBB30_2035
.LBB30_1822:
	s_or_b32 exec_lo, exec_lo, s10
	v_mov_b32_e32 v7, 0
	s_and_saveexec_b32 s10, s9
.LBB30_1823:
	v_lshrrev_b32_e32 v4, 8, v4
	s_delay_alu instid0(VALU_DEP_1)
	v_and_or_b32 v7, 0x80, v4, v5
.LBB30_1824:
	s_or_b32 exec_lo, exec_lo, s10
.LBB30_1825:
	s_delay_alu instid0(SALU_CYCLE_1)
	s_or_b32 exec_lo, exec_lo, s8
	s_mov_b32 s8, 0
	global_store_b8 v[2:3], v7, off
.LBB30_1826:
	s_and_b32 vcc_lo, exec_lo, s8
	s_cbranch_vccz .LBB30_1836
; %bb.1827:
	v_lshlrev_b32_e32 v6, 16, v1
	s_wait_xcnt 0x0
	v_and_b32_e32 v4, 0xffff, v1
	s_mov_b32 s8, exec_lo
                                        ; implicit-def: $vgpr5
	s_delay_alu instid0(VALU_DEP_2) | instskip(NEXT) | instid1(VALU_DEP_1)
	v_and_b32_e32 v7, 0x7fffffff, v6
	v_cmpx_gt_u32_e32 0x43f00000, v7
	s_xor_b32 s8, exec_lo, s8
	s_cbranch_execz .LBB30_1833
; %bb.1828:
	s_mov_b32 s9, exec_lo
                                        ; implicit-def: $vgpr5
	v_cmpx_lt_u32_e32 0x3c7fffff, v7
	s_xor_b32 s9, exec_lo, s9
; %bb.1829:
	v_bfe_u32 v5, v4, 4, 1
	s_delay_alu instid0(VALU_DEP_1) | instskip(NEXT) | instid1(VALU_DEP_1)
	v_add3_u32 v5, v6, v5, 0x407ffff
	v_and_b32_e32 v6, 0xff00000, v5
	v_lshrrev_b32_e32 v5, 20, v5
	s_delay_alu instid0(VALU_DEP_2) | instskip(NEXT) | instid1(VALU_DEP_2)
	v_cmp_ne_u32_e32 vcc_lo, 0x7f00000, v6
                                        ; implicit-def: $vgpr6
	v_cndmask_b32_e32 v5, 0x7e, v5, vcc_lo
; %bb.1830:
	s_and_not1_saveexec_b32 s9, s9
; %bb.1831:
	v_add_f32_e64 v5, 0x46800000, |v6|
; %bb.1832:
	s_or_b32 exec_lo, exec_lo, s9
                                        ; implicit-def: $vgpr7
.LBB30_1833:
	s_and_not1_saveexec_b32 s8, s8
; %bb.1834:
	v_mov_b32_e32 v5, 0x7f
	v_cmp_lt_u32_e32 vcc_lo, 0x7f800000, v7
	s_delay_alu instid0(VALU_DEP_2)
	v_cndmask_b32_e32 v5, 0x7e, v5, vcc_lo
; %bb.1835:
	s_or_b32 exec_lo, exec_lo, s8
	v_lshrrev_b32_e32 v4, 8, v4
	s_delay_alu instid0(VALU_DEP_1)
	v_and_or_b32 v4, 0x80, v4, v5
	global_store_b8 v[2:3], v4, off
.LBB30_1836:
	s_mov_b32 s8, 0
.LBB30_1837:
	s_delay_alu instid0(SALU_CYCLE_1)
	s_and_not1_b32 vcc_lo, exec_lo, s8
	s_cbranch_vccnz .LBB30_1847
; %bb.1838:
	v_lshlrev_b32_e32 v6, 16, v1
	s_wait_xcnt 0x0
	v_and_b32_e32 v4, 0xffff, v1
	s_mov_b32 s8, exec_lo
                                        ; implicit-def: $vgpr5
	s_delay_alu instid0(VALU_DEP_2) | instskip(NEXT) | instid1(VALU_DEP_1)
	v_and_b32_e32 v7, 0x7fffffff, v6
	v_cmpx_gt_u32_e32 0x47800000, v7
	s_xor_b32 s8, exec_lo, s8
	s_cbranch_execz .LBB30_1844
; %bb.1839:
	s_mov_b32 s9, exec_lo
                                        ; implicit-def: $vgpr5
	v_cmpx_lt_u32_e32 0x387fffff, v7
	s_xor_b32 s9, exec_lo, s9
; %bb.1840:
	v_bfe_u32 v5, v4, 5, 1
	s_delay_alu instid0(VALU_DEP_1) | instskip(NEXT) | instid1(VALU_DEP_1)
	v_add3_u32 v5, v6, v5, 0x80fffff
                                        ; implicit-def: $vgpr6
	v_lshrrev_b32_e32 v5, 21, v5
; %bb.1841:
	s_and_not1_saveexec_b32 s9, s9
; %bb.1842:
	v_add_f32_e64 v5, 0x43000000, |v6|
; %bb.1843:
	s_or_b32 exec_lo, exec_lo, s9
                                        ; implicit-def: $vgpr7
.LBB30_1844:
	s_and_not1_saveexec_b32 s8, s8
; %bb.1845:
	v_mov_b32_e32 v5, 0x7f
	v_cmp_lt_u32_e32 vcc_lo, 0x7f800000, v7
	s_delay_alu instid0(VALU_DEP_2)
	v_cndmask_b32_e32 v5, 0x7c, v5, vcc_lo
; %bb.1846:
	s_or_b32 exec_lo, exec_lo, s8
	v_lshrrev_b32_e32 v4, 8, v4
	s_delay_alu instid0(VALU_DEP_1)
	v_and_or_b32 v4, 0x80, v4, v5
	global_store_b8 v[2:3], v4, off
.LBB30_1847:
	s_mov_b32 s8, 0
	s_mov_b32 s9, -1
.LBB30_1848:
	s_and_not1_b32 vcc_lo, exec_lo, s8
	s_mov_b32 s8, 0
	s_cbranch_vccnz .LBB30_1855
; %bb.1849:
	s_cmp_gt_i32 s7, 14
	s_mov_b32 s8, -1
	s_cbranch_scc0 .LBB30_1853
; %bb.1850:
	s_cmp_eq_u32 s7, 15
	s_mov_b32 s0, -1
	s_cbranch_scc0 .LBB30_1852
; %bb.1851:
	s_mov_b32 s0, 0
	s_mov_b32 s9, -1
	global_store_b16 v[2:3], v1, off
.LBB30_1852:
	s_mov_b32 s8, 0
.LBB30_1853:
	s_delay_alu instid0(SALU_CYCLE_1)
	s_and_b32 vcc_lo, exec_lo, s8
	s_mov_b32 s8, 0
	s_cbranch_vccz .LBB30_1855
; %bb.1854:
	s_cmp_lg_u32 s7, 11
	s_mov_b32 s8, -1
	s_cselect_b32 s0, -1, 0
.LBB30_1855:
	s_delay_alu instid0(SALU_CYCLE_1)
	s_and_b32 vcc_lo, exec_lo, s0
	s_cbranch_vccnz .LBB30_2033
; %bb.1856:
	s_and_not1_b32 vcc_lo, exec_lo, s8
	s_cbranch_vccnz .LBB30_1858
.LBB30_1857:
	s_wait_xcnt 0x0
	v_and_b32_e32 v4, 0x7fff, v1
	s_mov_b32 s9, -1
	s_delay_alu instid0(VALU_DEP_1)
	v_cmp_ne_u16_e32 vcc_lo, 0, v4
	v_cndmask_b32_e64 v4, 0, 1, vcc_lo
	global_store_b8 v[2:3], v4, off
.LBB30_1858:
.LBB30_1859:
	s_and_not1_b32 vcc_lo, exec_lo, s9
	s_cbranch_vccnz .LBB30_1975
.LBB30_1860:
	s_wait_xcnt 0x0
	v_lshlrev_b32_e32 v2, 16, v8
	v_add_nc_u32_e32 v0, s2, v0
	s_mov_b32 s2, 0
	s_delay_alu instid0(VALU_DEP_2) | instskip(NEXT) | instid1(VALU_DEP_2)
	v_cmp_nle_f32_e32 vcc_lo, s6, v2
	v_ashrrev_i32_e32 v1, 31, v0
	v_cmp_nge_f32_e64 s0, s1, v2
	s_delay_alu instid0(VALU_DEP_2)
	v_add_nc_u64_e32 v[0:1], s[4:5], v[0:1]
	s_or_b32 vcc_lo, s0, vcc_lo
	s_cmp_lt_i32 s13, 11
	v_cndmask_b32_e32 v2, 0, v8, vcc_lo
	s_mov_b32 s0, -1
	s_cbranch_scc1 .LBB30_1976
; %bb.1861:
	s_and_b32 s1, 0xffff, s13
	s_mov_b32 s4, -1
	s_cmp_gt_i32 s1, 25
	s_mov_b32 s0, 0
	s_cbranch_scc0 .LBB30_1894
; %bb.1862:
	s_cmp_gt_i32 s1, 28
	s_cbranch_scc0 .LBB30_1878
; %bb.1863:
	s_cmp_gt_i32 s1, 43
	;; [unrolled: 3-line block ×3, first 2 shown]
	s_cbranch_scc0 .LBB30_1868
; %bb.1865:
	s_cmp_eq_u32 s1, 46
	s_mov_b32 s0, -1
	s_cbranch_scc0 .LBB30_1867
; %bb.1866:
	v_and_b32_e32 v3, 0xffff, v2
	s_mov_b32 s0, 0
	global_store_b32 v[0:1], v3, off
.LBB30_1867:
	s_mov_b32 s4, 0
.LBB30_1868:
	s_delay_alu instid0(SALU_CYCLE_1)
	s_and_b32 vcc_lo, exec_lo, s4
	s_cbranch_vccz .LBB30_1873
; %bb.1869:
	s_cmp_eq_u32 s1, 44
	s_mov_b32 s0, -1
	s_cbranch_scc0 .LBB30_1873
; %bb.1870:
	s_wait_xcnt 0x0
	v_and_b32_e32 v3, 0xffff, v2
	v_mov_b32_e32 v4, 0xff
	s_mov_b32 s4, exec_lo
	s_delay_alu instid0(VALU_DEP_2) | instskip(NEXT) | instid1(VALU_DEP_1)
	v_bfe_u32 v5, v3, 7, 8
	v_cmpx_ne_u32_e32 0xff, v5
	s_cbranch_execz .LBB30_1872
; %bb.1871:
	v_dual_lshlrev_b32 v4, 16, v3 :: v_dual_bitop2_b32 v6, 64, v3 bitop3:0x40
	v_lshrrev_b32_e32 v3, 7, v3
	s_delay_alu instid0(VALU_DEP_2) | instskip(NEXT) | instid1(VALU_DEP_3)
	v_and_or_b32 v4, 0x3f0000, v4, v5
	v_cmp_ne_u32_e32 vcc_lo, 0, v6
	s_delay_alu instid0(VALU_DEP_2) | instskip(SKIP_1) | instid1(SALU_CYCLE_1)
	v_cmp_ne_u32_e64 s0, 0, v4
	s_and_b32 s0, vcc_lo, s0
	v_cndmask_b32_e64 v4, 0, 1, s0
	s_delay_alu instid0(VALU_DEP_1)
	v_add_nc_u32_e32 v4, v3, v4
.LBB30_1872:
	s_or_b32 exec_lo, exec_lo, s4
	s_mov_b32 s0, 0
	global_store_b8 v[0:1], v4, off
.LBB30_1873:
	s_mov_b32 s4, 0
.LBB30_1874:
	s_delay_alu instid0(SALU_CYCLE_1)
	s_and_b32 vcc_lo, exec_lo, s4
	s_cbranch_vccz .LBB30_1877
; %bb.1875:
	s_cmp_eq_u32 s1, 29
	s_mov_b32 s0, -1
	s_cbranch_scc0 .LBB30_1877
; %bb.1876:
	s_wait_xcnt 0x0
	v_lshlrev_b32_e32 v3, 16, v2
	s_mov_b32 s0, 0
	s_delay_alu instid0(VALU_DEP_1) | instskip(NEXT) | instid1(VALU_DEP_1)
	v_trunc_f32_e32 v3, v3
	v_mul_f32_e32 v4, 0x2f800000, v3
	s_delay_alu instid0(VALU_DEP_1) | instskip(NEXT) | instid1(VALU_DEP_1)
	v_floor_f32_e32 v4, v4
	v_fmamk_f32 v3, v4, 0xcf800000, v3
	v_cvt_u32_f32_e32 v5, v4
	s_delay_alu instid0(VALU_DEP_2)
	v_cvt_u32_f32_e32 v4, v3
	global_store_b64 v[0:1], v[4:5], off
.LBB30_1877:
	s_mov_b32 s4, 0
.LBB30_1878:
	s_delay_alu instid0(SALU_CYCLE_1)
	s_and_b32 vcc_lo, exec_lo, s4
	s_cbranch_vccz .LBB30_1893
; %bb.1879:
	s_cmp_lt_i32 s1, 27
	s_mov_b32 s4, -1
	s_cbranch_scc1 .LBB30_1885
; %bb.1880:
	s_cmp_gt_i32 s1, 27
	s_cbranch_scc0 .LBB30_1882
; %bb.1881:
	s_wait_xcnt 0x0
	v_lshlrev_b32_e32 v3, 16, v2
	s_mov_b32 s4, 0
	s_delay_alu instid0(VALU_DEP_1)
	v_cvt_u32_f32_e32 v3, v3
	global_store_b32 v[0:1], v3, off
.LBB30_1882:
	s_and_not1_b32 vcc_lo, exec_lo, s4
	s_cbranch_vccnz .LBB30_1884
; %bb.1883:
	s_wait_xcnt 0x0
	v_lshlrev_b32_e32 v3, 16, v2
	s_delay_alu instid0(VALU_DEP_1)
	v_cvt_u32_f32_e32 v3, v3
	global_store_b16 v[0:1], v3, off
.LBB30_1884:
	s_mov_b32 s4, 0
.LBB30_1885:
	s_delay_alu instid0(SALU_CYCLE_1)
	s_and_not1_b32 vcc_lo, exec_lo, s4
	s_cbranch_vccnz .LBB30_1893
; %bb.1886:
	s_wait_xcnt 0x0
	v_dual_mov_b32 v6, 0x80 :: v_dual_lshlrev_b32 v5, 16, v2
	s_mov_b32 s4, exec_lo
	s_delay_alu instid0(VALU_DEP_1) | instskip(NEXT) | instid1(VALU_DEP_1)
	v_and_b32_e32 v4, 0x7fffffff, v5
	v_cmpx_gt_u32_e32 0x43800000, v4
	s_cbranch_execz .LBB30_1892
; %bb.1887:
	v_and_b32_e32 v3, 0xffff, v2
	v_cmp_lt_u32_e32 vcc_lo, 0x3bffffff, v4
	s_mov_b32 s5, 0
                                        ; implicit-def: $vgpr4
	s_and_saveexec_b32 s6, vcc_lo
	s_delay_alu instid0(SALU_CYCLE_1)
	s_xor_b32 s6, exec_lo, s6
	s_cbranch_execz .LBB30_2036
; %bb.1888:
	v_bfe_u32 v4, v3, 4, 1
	s_mov_b32 s5, exec_lo
	s_delay_alu instid0(VALU_DEP_1) | instskip(NEXT) | instid1(VALU_DEP_1)
	v_add3_u32 v4, v5, v4, 0x487ffff
                                        ; implicit-def: $vgpr5
	v_lshrrev_b32_e32 v4, 20, v4
	s_and_not1_saveexec_b32 s6, s6
	s_cbranch_execnz .LBB30_2037
.LBB30_1889:
	s_or_b32 exec_lo, exec_lo, s6
	v_mov_b32_e32 v6, 0
	s_and_saveexec_b32 s6, s5
.LBB30_1890:
	v_lshrrev_b32_e32 v3, 8, v3
	s_delay_alu instid0(VALU_DEP_1)
	v_and_or_b32 v6, 0x80, v3, v4
.LBB30_1891:
	s_or_b32 exec_lo, exec_lo, s6
.LBB30_1892:
	s_delay_alu instid0(SALU_CYCLE_1)
	s_or_b32 exec_lo, exec_lo, s4
	global_store_b8 v[0:1], v6, off
.LBB30_1893:
	s_mov_b32 s4, 0
.LBB30_1894:
	s_delay_alu instid0(SALU_CYCLE_1)
	s_and_b32 vcc_lo, exec_lo, s4
	s_cbranch_vccz .LBB30_1934
; %bb.1895:
	s_cmp_gt_i32 s1, 22
	s_mov_b32 s2, -1
	s_cbranch_scc0 .LBB30_1927
; %bb.1896:
	s_cmp_lt_i32 s1, 24
	s_cbranch_scc1 .LBB30_1916
; %bb.1897:
	s_cmp_gt_i32 s1, 24
	s_cbranch_scc0 .LBB30_1905
; %bb.1898:
	s_wait_xcnt 0x0
	v_dual_mov_b32 v6, 0x80 :: v_dual_lshlrev_b32 v5, 16, v2
	s_mov_b32 s2, exec_lo
	s_delay_alu instid0(VALU_DEP_1) | instskip(NEXT) | instid1(VALU_DEP_1)
	v_and_b32_e32 v4, 0x7fffffff, v5
	v_cmpx_gt_u32_e32 0x47800000, v4
	s_cbranch_execz .LBB30_1904
; %bb.1899:
	v_and_b32_e32 v3, 0xffff, v2
	v_cmp_lt_u32_e32 vcc_lo, 0x37ffffff, v4
	s_mov_b32 s4, 0
                                        ; implicit-def: $vgpr4
	s_and_saveexec_b32 s5, vcc_lo
	s_delay_alu instid0(SALU_CYCLE_1)
	s_xor_b32 s5, exec_lo, s5
	s_cbranch_execz .LBB30_2039
; %bb.1900:
	v_bfe_u32 v4, v3, 5, 1
	s_mov_b32 s4, exec_lo
	s_delay_alu instid0(VALU_DEP_1) | instskip(NEXT) | instid1(VALU_DEP_1)
	v_add3_u32 v4, v5, v4, 0x88fffff
                                        ; implicit-def: $vgpr5
	v_lshrrev_b32_e32 v4, 21, v4
	s_and_not1_saveexec_b32 s5, s5
	s_cbranch_execnz .LBB30_2040
.LBB30_1901:
	s_or_b32 exec_lo, exec_lo, s5
	v_mov_b32_e32 v6, 0
	s_and_saveexec_b32 s5, s4
.LBB30_1902:
	v_lshrrev_b32_e32 v3, 8, v3
	s_delay_alu instid0(VALU_DEP_1)
	v_and_or_b32 v6, 0x80, v3, v4
.LBB30_1903:
	s_or_b32 exec_lo, exec_lo, s5
.LBB30_1904:
	s_delay_alu instid0(SALU_CYCLE_1)
	s_or_b32 exec_lo, exec_lo, s2
	s_mov_b32 s2, 0
	global_store_b8 v[0:1], v6, off
.LBB30_1905:
	s_and_b32 vcc_lo, exec_lo, s2
	s_cbranch_vccz .LBB30_1915
; %bb.1906:
	s_wait_xcnt 0x0
	v_lshlrev_b32_e32 v5, 16, v2
	v_and_b32_e32 v3, 0xffff, v2
	s_mov_b32 s2, exec_lo
                                        ; implicit-def: $vgpr4
	s_delay_alu instid0(VALU_DEP_2) | instskip(NEXT) | instid1(VALU_DEP_1)
	v_and_b32_e32 v6, 0x7fffffff, v5
	v_cmpx_gt_u32_e32 0x43f00000, v6
	s_xor_b32 s2, exec_lo, s2
	s_cbranch_execz .LBB30_1912
; %bb.1907:
	s_mov_b32 s4, exec_lo
                                        ; implicit-def: $vgpr4
	v_cmpx_lt_u32_e32 0x3c7fffff, v6
	s_xor_b32 s4, exec_lo, s4
; %bb.1908:
	v_bfe_u32 v4, v3, 4, 1
	s_delay_alu instid0(VALU_DEP_1) | instskip(NEXT) | instid1(VALU_DEP_1)
	v_add3_u32 v4, v5, v4, 0x407ffff
	v_and_b32_e32 v5, 0xff00000, v4
	v_lshrrev_b32_e32 v4, 20, v4
	s_delay_alu instid0(VALU_DEP_2) | instskip(NEXT) | instid1(VALU_DEP_2)
	v_cmp_ne_u32_e32 vcc_lo, 0x7f00000, v5
                                        ; implicit-def: $vgpr5
	v_cndmask_b32_e32 v4, 0x7e, v4, vcc_lo
; %bb.1909:
	s_and_not1_saveexec_b32 s4, s4
; %bb.1910:
	v_add_f32_e64 v4, 0x46800000, |v5|
; %bb.1911:
	s_or_b32 exec_lo, exec_lo, s4
                                        ; implicit-def: $vgpr6
.LBB30_1912:
	s_and_not1_saveexec_b32 s2, s2
; %bb.1913:
	v_mov_b32_e32 v4, 0x7f
	v_cmp_lt_u32_e32 vcc_lo, 0x7f800000, v6
	s_delay_alu instid0(VALU_DEP_2)
	v_cndmask_b32_e32 v4, 0x7e, v4, vcc_lo
; %bb.1914:
	s_or_b32 exec_lo, exec_lo, s2
	v_lshrrev_b32_e32 v3, 8, v3
	s_delay_alu instid0(VALU_DEP_1)
	v_and_or_b32 v3, 0x80, v3, v4
	global_store_b8 v[0:1], v3, off
.LBB30_1915:
	s_mov_b32 s2, 0
.LBB30_1916:
	s_delay_alu instid0(SALU_CYCLE_1)
	s_and_not1_b32 vcc_lo, exec_lo, s2
	s_cbranch_vccnz .LBB30_1926
; %bb.1917:
	s_wait_xcnt 0x0
	v_lshlrev_b32_e32 v5, 16, v2
	v_and_b32_e32 v3, 0xffff, v2
	s_mov_b32 s2, exec_lo
                                        ; implicit-def: $vgpr4
	s_delay_alu instid0(VALU_DEP_2) | instskip(NEXT) | instid1(VALU_DEP_1)
	v_and_b32_e32 v6, 0x7fffffff, v5
	v_cmpx_gt_u32_e32 0x47800000, v6
	s_xor_b32 s2, exec_lo, s2
	s_cbranch_execz .LBB30_1923
; %bb.1918:
	s_mov_b32 s4, exec_lo
                                        ; implicit-def: $vgpr4
	v_cmpx_lt_u32_e32 0x387fffff, v6
	s_xor_b32 s4, exec_lo, s4
; %bb.1919:
	v_bfe_u32 v4, v3, 5, 1
	s_delay_alu instid0(VALU_DEP_1) | instskip(NEXT) | instid1(VALU_DEP_1)
	v_add3_u32 v4, v5, v4, 0x80fffff
                                        ; implicit-def: $vgpr5
	v_lshrrev_b32_e32 v4, 21, v4
; %bb.1920:
	s_and_not1_saveexec_b32 s4, s4
; %bb.1921:
	v_add_f32_e64 v4, 0x43000000, |v5|
; %bb.1922:
	s_or_b32 exec_lo, exec_lo, s4
                                        ; implicit-def: $vgpr6
.LBB30_1923:
	s_and_not1_saveexec_b32 s2, s2
; %bb.1924:
	v_mov_b32_e32 v4, 0x7f
	v_cmp_lt_u32_e32 vcc_lo, 0x7f800000, v6
	s_delay_alu instid0(VALU_DEP_2)
	v_cndmask_b32_e32 v4, 0x7c, v4, vcc_lo
; %bb.1925:
	s_or_b32 exec_lo, exec_lo, s2
	v_lshrrev_b32_e32 v3, 8, v3
	s_delay_alu instid0(VALU_DEP_1)
	v_and_or_b32 v3, 0x80, v3, v4
	global_store_b8 v[0:1], v3, off
.LBB30_1926:
	s_mov_b32 s2, 0
.LBB30_1927:
	s_delay_alu instid0(SALU_CYCLE_1)
	s_and_not1_b32 vcc_lo, exec_lo, s2
	s_mov_b32 s2, 0
	s_cbranch_vccnz .LBB30_1934
; %bb.1928:
	s_cmp_gt_i32 s1, 14
	s_mov_b32 s2, -1
	s_cbranch_scc0 .LBB30_1932
; %bb.1929:
	s_cmp_eq_u32 s1, 15
	s_mov_b32 s0, -1
	s_cbranch_scc0 .LBB30_1931
; %bb.1930:
	s_mov_b32 s0, 0
	global_store_b16 v[0:1], v2, off
.LBB30_1931:
	s_mov_b32 s2, 0
.LBB30_1932:
	s_delay_alu instid0(SALU_CYCLE_1)
	s_and_b32 vcc_lo, exec_lo, s2
	s_mov_b32 s2, 0
	s_cbranch_vccz .LBB30_1934
; %bb.1933:
	s_cmp_lg_u32 s1, 11
	s_mov_b32 s2, -1
	s_cselect_b32 s0, -1, 0
.LBB30_1934:
	s_delay_alu instid0(SALU_CYCLE_1)
	s_and_b32 vcc_lo, exec_lo, s0
	s_cbranch_vccnz .LBB30_2038
.LBB30_1935:
	s_mov_b32 s0, 0
	s_branch .LBB30_1976
.LBB30_1936:
	s_and_b32 vcc_lo, exec_lo, s0
	s_cbranch_vccz .LBB30_1859
; %bb.1937:
	s_and_b32 s0, 0xffff, s13
	s_mov_b32 s7, -1
	s_cmp_lt_i32 s0, 5
	s_cbranch_scc1 .LBB30_1958
; %bb.1938:
	s_cmp_lt_i32 s0, 8
	s_cbranch_scc1 .LBB30_1948
; %bb.1939:
	;; [unrolled: 3-line block ×3, first 2 shown]
	s_cmp_gt_i32 s0, 9
	s_cbranch_scc0 .LBB30_1942
; %bb.1941:
	s_wait_xcnt 0x0
	v_dual_lshlrev_b32 v4, 16, v1 :: v_dual_mov_b32 v6, 0
	s_mov_b32 s7, 0
	s_delay_alu instid0(VALU_DEP_1) | instskip(NEXT) | instid1(VALU_DEP_2)
	v_cvt_f64_f32_e32 v[4:5], v4
	v_mov_b32_e32 v7, v6
	global_store_b128 v[2:3], v[4:7], off
.LBB30_1942:
	s_and_not1_b32 vcc_lo, exec_lo, s7
	s_cbranch_vccnz .LBB30_1944
; %bb.1943:
	s_wait_xcnt 0x0
	v_dual_mov_b32 v5, 0 :: v_dual_lshlrev_b32 v4, 16, v1
	global_store_b64 v[2:3], v[4:5], off
.LBB30_1944:
	s_mov_b32 s7, 0
.LBB30_1945:
	s_delay_alu instid0(SALU_CYCLE_1)
	s_and_not1_b32 vcc_lo, exec_lo, s7
	s_cbranch_vccnz .LBB30_1947
; %bb.1946:
	s_wait_xcnt 0x0
	v_lshlrev_b32_e32 v4, 16, v1
	s_delay_alu instid0(VALU_DEP_1) | instskip(NEXT) | instid1(VALU_DEP_1)
	v_cvt_f16_f32_e32 v4, v4
	v_and_b32_e32 v4, 0xffff, v4
	global_store_b32 v[2:3], v4, off
.LBB30_1947:
	s_mov_b32 s7, 0
.LBB30_1948:
	s_delay_alu instid0(SALU_CYCLE_1)
	s_and_not1_b32 vcc_lo, exec_lo, s7
	s_cbranch_vccnz .LBB30_1957
; %bb.1949:
	s_cmp_lt_i32 s0, 6
	s_mov_b32 s7, -1
	s_cbranch_scc1 .LBB30_1955
; %bb.1950:
	s_cmp_gt_i32 s0, 6
	s_cbranch_scc0 .LBB30_1952
; %bb.1951:
	s_wait_xcnt 0x0
	v_lshlrev_b32_e32 v4, 16, v1
	s_mov_b32 s7, 0
	s_delay_alu instid0(VALU_DEP_1)
	v_cvt_f64_f32_e32 v[4:5], v4
	global_store_b64 v[2:3], v[4:5], off
.LBB30_1952:
	s_and_not1_b32 vcc_lo, exec_lo, s7
	s_cbranch_vccnz .LBB30_1954
; %bb.1953:
	s_wait_xcnt 0x0
	v_lshlrev_b32_e32 v4, 16, v1
	global_store_b32 v[2:3], v4, off
.LBB30_1954:
	s_mov_b32 s7, 0
.LBB30_1955:
	s_delay_alu instid0(SALU_CYCLE_1)
	s_and_not1_b32 vcc_lo, exec_lo, s7
	s_cbranch_vccnz .LBB30_1957
; %bb.1956:
	s_wait_xcnt 0x0
	v_lshlrev_b32_e32 v4, 16, v1
	s_delay_alu instid0(VALU_DEP_1)
	v_cvt_f16_f32_e32 v4, v4
	global_store_b16 v[2:3], v4, off
.LBB30_1957:
	s_mov_b32 s7, 0
.LBB30_1958:
	s_delay_alu instid0(SALU_CYCLE_1)
	s_and_not1_b32 vcc_lo, exec_lo, s7
	s_cbranch_vccnz .LBB30_1974
; %bb.1959:
	s_cmp_lt_i32 s0, 2
	s_mov_b32 s7, -1
	s_cbranch_scc1 .LBB30_1969
; %bb.1960:
	s_cmp_lt_i32 s0, 3
	s_cbranch_scc1 .LBB30_1966
; %bb.1961:
	s_cmp_gt_i32 s0, 3
	s_cbranch_scc0 .LBB30_1963
; %bb.1962:
	s_wait_xcnt 0x0
	v_lshlrev_b32_e32 v4, 16, v1
	s_mov_b32 s7, 0
	s_delay_alu instid0(VALU_DEP_1) | instskip(NEXT) | instid1(VALU_DEP_1)
	v_trunc_f32_e32 v4, v4
	v_mul_f32_e64 v5, 0x2f800000, |v4|
	s_delay_alu instid0(VALU_DEP_1) | instskip(NEXT) | instid1(VALU_DEP_1)
	v_floor_f32_e32 v5, v5
	v_fma_f32 v6, 0xcf800000, v5, |v4|
	v_ashrrev_i32_e32 v4, 31, v4
	v_cvt_u32_f32_e32 v7, v5
	s_delay_alu instid0(VALU_DEP_3) | instskip(NEXT) | instid1(VALU_DEP_2)
	v_cvt_u32_f32_e32 v6, v6
	v_dual_mov_b32 v5, v4 :: v_dual_bitop2_b32 v7, v7, v4 bitop3:0x14
	s_delay_alu instid0(VALU_DEP_2) | instskip(NEXT) | instid1(VALU_DEP_1)
	v_xor_b32_e32 v6, v6, v4
	v_sub_nc_u64_e32 v[4:5], v[6:7], v[4:5]
	global_store_b64 v[2:3], v[4:5], off
.LBB30_1963:
	s_and_not1_b32 vcc_lo, exec_lo, s7
	s_cbranch_vccnz .LBB30_1965
; %bb.1964:
	s_wait_xcnt 0x0
	v_lshlrev_b32_e32 v4, 16, v1
	s_delay_alu instid0(VALU_DEP_1)
	v_cvt_i32_f32_e32 v4, v4
	global_store_b32 v[2:3], v4, off
.LBB30_1965:
	s_mov_b32 s7, 0
.LBB30_1966:
	s_delay_alu instid0(SALU_CYCLE_1)
	s_and_not1_b32 vcc_lo, exec_lo, s7
	s_cbranch_vccnz .LBB30_1968
; %bb.1967:
	s_wait_xcnt 0x0
	v_lshlrev_b32_e32 v4, 16, v1
	s_delay_alu instid0(VALU_DEP_1)
	v_cvt_i32_f32_e32 v4, v4
	global_store_b16 v[2:3], v4, off
.LBB30_1968:
	s_mov_b32 s7, 0
.LBB30_1969:
	s_delay_alu instid0(SALU_CYCLE_1)
	s_and_not1_b32 vcc_lo, exec_lo, s7
	s_cbranch_vccnz .LBB30_1974
; %bb.1970:
	s_wait_xcnt 0x0
	v_lshlrev_b32_e32 v1, 16, v1
	s_cmp_gt_i32 s0, 0
	s_mov_b32 s0, -1
	s_cbranch_scc0 .LBB30_1972
; %bb.1971:
	s_delay_alu instid0(VALU_DEP_1)
	v_cvt_i32_f32_e32 v4, v1
	s_mov_b32 s0, 0
	global_store_b8 v[2:3], v4, off
.LBB30_1972:
	s_and_not1_b32 vcc_lo, exec_lo, s0
	s_cbranch_vccnz .LBB30_1974
; %bb.1973:
	v_trunc_f32_e32 v1, v1
	s_wait_xcnt 0x0
	s_delay_alu instid0(VALU_DEP_1) | instskip(NEXT) | instid1(VALU_DEP_1)
	v_mul_f32_e64 v4, 0x2f800000, |v1|
	v_floor_f32_e32 v4, v4
	s_delay_alu instid0(VALU_DEP_1) | instskip(SKIP_1) | instid1(VALU_DEP_2)
	v_fma_f32 v4, 0xcf800000, v4, |v1|
	v_ashrrev_i32_e32 v1, 31, v1
	v_cvt_u32_f32_e32 v4, v4
	s_delay_alu instid0(VALU_DEP_1) | instskip(NEXT) | instid1(VALU_DEP_1)
	v_xor_b32_e32 v4, v4, v1
	v_sub_nc_u32_e32 v1, v4, v1
	global_store_b8 v[2:3], v1, off
.LBB30_1974:
	s_branch .LBB30_1860
.LBB30_1975:
	s_mov_b32 s0, 0
	s_mov_b32 s2, 0
                                        ; implicit-def: $sgpr13
                                        ; implicit-def: $vgpr0_vgpr1
                                        ; implicit-def: $vgpr2
.LBB30_1976:
	s_and_not1_b32 s1, s12, exec_lo
	s_and_b32 s4, s3, exec_lo
	s_and_b32 s0, s0, exec_lo
	;; [unrolled: 1-line block ×3, first 2 shown]
	s_or_b32 s12, s1, s4
.LBB30_1977:
	s_wait_xcnt 0x0
	s_or_b32 exec_lo, exec_lo, s11
	s_and_saveexec_b32 s1, s12
	s_cbranch_execz .LBB30_1980
; %bb.1978:
	; divergent unreachable
	s_or_b32 exec_lo, exec_lo, s1
	s_and_saveexec_b32 s1, s3
	s_delay_alu instid0(SALU_CYCLE_1)
	s_xor_b32 s1, exec_lo, s1
	s_cbranch_execnz .LBB30_1981
.LBB30_1979:
	s_or_b32 exec_lo, exec_lo, s1
	s_and_saveexec_b32 s1, s0
	s_cbranch_execnz .LBB30_1982
	s_branch .LBB30_2019
.LBB30_1980:
	s_or_b32 exec_lo, exec_lo, s1
	s_and_saveexec_b32 s1, s3
	s_delay_alu instid0(SALU_CYCLE_1)
	s_xor_b32 s1, exec_lo, s1
	s_cbranch_execz .LBB30_1979
.LBB30_1981:
	s_wait_loadcnt 0x0
	v_and_b32_e32 v3, 0x7fff, v2
	s_delay_alu instid0(VALU_DEP_1)
	v_cmp_ne_u16_e32 vcc_lo, 0, v3
	v_cndmask_b32_e64 v3, 0, 1, vcc_lo
	global_store_b8 v[0:1], v3, off
	s_wait_xcnt 0x0
	s_or_b32 exec_lo, exec_lo, s1
	s_and_saveexec_b32 s1, s0
	s_cbranch_execz .LBB30_2019
.LBB30_1982:
	s_sext_i32_i16 s1, s13
	s_mov_b32 s0, -1
	s_cmp_lt_i32 s1, 5
	s_cbranch_scc1 .LBB30_2003
; %bb.1983:
	s_cmp_lt_i32 s1, 8
	s_cbranch_scc1 .LBB30_1993
; %bb.1984:
	;; [unrolled: 3-line block ×3, first 2 shown]
	s_cmp_gt_i32 s1, 9
	s_cbranch_scc0 .LBB30_1987
; %bb.1986:
	s_wait_loadcnt 0x0
	v_dual_mov_b32 v6, 0 :: v_dual_lshlrev_b32 v3, 16, v2
	s_mov_b32 s0, 0
	s_delay_alu instid0(VALU_DEP_1) | instskip(NEXT) | instid1(VALU_DEP_2)
	v_cvt_f64_f32_e32 v[4:5], v3
	v_mov_b32_e32 v7, v6
	global_store_b128 v[0:1], v[4:7], off
.LBB30_1987:
	s_and_not1_b32 vcc_lo, exec_lo, s0
	s_cbranch_vccnz .LBB30_1989
; %bb.1988:
	s_wait_loadcnt 0x0
	v_dual_mov_b32 v5, 0 :: v_dual_lshlrev_b32 v4, 16, v2
	global_store_b64 v[0:1], v[4:5], off
.LBB30_1989:
	s_mov_b32 s0, 0
.LBB30_1990:
	s_delay_alu instid0(SALU_CYCLE_1)
	s_and_not1_b32 vcc_lo, exec_lo, s0
	s_cbranch_vccnz .LBB30_1992
; %bb.1991:
	s_wait_loadcnt 0x0
	v_lshlrev_b32_e32 v3, 16, v2
	s_delay_alu instid0(VALU_DEP_1) | instskip(NEXT) | instid1(VALU_DEP_1)
	v_cvt_f16_f32_e32 v3, v3
	v_and_b32_e32 v3, 0xffff, v3
	global_store_b32 v[0:1], v3, off
.LBB30_1992:
	s_mov_b32 s0, 0
.LBB30_1993:
	s_delay_alu instid0(SALU_CYCLE_1)
	s_and_not1_b32 vcc_lo, exec_lo, s0
	s_cbranch_vccnz .LBB30_2002
; %bb.1994:
	s_sext_i32_i16 s1, s13
	s_mov_b32 s0, -1
	s_cmp_lt_i32 s1, 6
	s_cbranch_scc1 .LBB30_2000
; %bb.1995:
	s_cmp_gt_i32 s1, 6
	s_cbranch_scc0 .LBB30_1997
; %bb.1996:
	s_wait_loadcnt 0x0
	v_lshlrev_b32_e32 v3, 16, v2
	s_mov_b32 s0, 0
	s_delay_alu instid0(VALU_DEP_1)
	v_cvt_f64_f32_e32 v[4:5], v3
	global_store_b64 v[0:1], v[4:5], off
.LBB30_1997:
	s_and_not1_b32 vcc_lo, exec_lo, s0
	s_cbranch_vccnz .LBB30_1999
; %bb.1998:
	s_wait_loadcnt 0x0
	v_lshlrev_b32_e32 v3, 16, v2
	global_store_b32 v[0:1], v3, off
.LBB30_1999:
	s_mov_b32 s0, 0
.LBB30_2000:
	s_delay_alu instid0(SALU_CYCLE_1)
	s_and_not1_b32 vcc_lo, exec_lo, s0
	s_cbranch_vccnz .LBB30_2002
; %bb.2001:
	s_wait_loadcnt 0x0
	v_lshlrev_b32_e32 v3, 16, v2
	s_delay_alu instid0(VALU_DEP_1)
	v_cvt_f16_f32_e32 v3, v3
	global_store_b16 v[0:1], v3, off
.LBB30_2002:
	s_mov_b32 s0, 0
.LBB30_2003:
	s_delay_alu instid0(SALU_CYCLE_1)
	s_and_not1_b32 vcc_lo, exec_lo, s0
	s_cbranch_vccnz .LBB30_2019
; %bb.2004:
	s_sext_i32_i16 s1, s13
	s_mov_b32 s0, -1
	s_cmp_lt_i32 s1, 2
	s_cbranch_scc1 .LBB30_2014
; %bb.2005:
	s_cmp_lt_i32 s1, 3
	s_cbranch_scc1 .LBB30_2011
; %bb.2006:
	s_cmp_gt_i32 s1, 3
	s_cbranch_scc0 .LBB30_2008
; %bb.2007:
	s_wait_loadcnt 0x0
	v_lshlrev_b32_e32 v3, 16, v2
	s_mov_b32 s0, 0
	s_delay_alu instid0(VALU_DEP_1) | instskip(NEXT) | instid1(VALU_DEP_1)
	v_trunc_f32_e32 v3, v3
	v_mul_f32_e64 v4, 0x2f800000, |v3|
	s_delay_alu instid0(VALU_DEP_1) | instskip(SKIP_1) | instid1(VALU_DEP_2)
	v_floor_f32_e32 v5, v4
	v_ashrrev_i32_e32 v4, 31, v3
	v_fma_f32 v6, 0xcf800000, v5, |v3|
	v_cvt_u32_f32_e32 v3, v5
	s_delay_alu instid0(VALU_DEP_3) | instskip(NEXT) | instid1(VALU_DEP_3)
	v_mov_b32_e32 v5, v4
	v_cvt_u32_f32_e32 v6, v6
	s_delay_alu instid0(VALU_DEP_3) | instskip(NEXT) | instid1(VALU_DEP_2)
	v_xor_b32_e32 v7, v3, v4
	v_xor_b32_e32 v6, v6, v4
	s_delay_alu instid0(VALU_DEP_1)
	v_sub_nc_u64_e32 v[4:5], v[6:7], v[4:5]
	global_store_b64 v[0:1], v[4:5], off
.LBB30_2008:
	s_and_not1_b32 vcc_lo, exec_lo, s0
	s_cbranch_vccnz .LBB30_2010
; %bb.2009:
	s_wait_loadcnt 0x0
	v_lshlrev_b32_e32 v3, 16, v2
	s_delay_alu instid0(VALU_DEP_1)
	v_cvt_i32_f32_e32 v3, v3
	global_store_b32 v[0:1], v3, off
.LBB30_2010:
	s_mov_b32 s0, 0
.LBB30_2011:
	s_delay_alu instid0(SALU_CYCLE_1)
	s_and_not1_b32 vcc_lo, exec_lo, s0
	s_cbranch_vccnz .LBB30_2013
; %bb.2012:
	s_wait_loadcnt 0x0
	v_lshlrev_b32_e32 v3, 16, v2
	s_delay_alu instid0(VALU_DEP_1)
	v_cvt_i32_f32_e32 v3, v3
	global_store_b16 v[0:1], v3, off
.LBB30_2013:
	s_mov_b32 s0, 0
.LBB30_2014:
	s_delay_alu instid0(SALU_CYCLE_1)
	s_and_not1_b32 vcc_lo, exec_lo, s0
	s_cbranch_vccnz .LBB30_2019
; %bb.2015:
	s_wait_loadcnt 0x0
	v_lshlrev_b32_e32 v2, 16, v2
	s_sext_i32_i16 s0, s13
	s_delay_alu instid0(SALU_CYCLE_1)
	s_cmp_gt_i32 s0, 0
	s_mov_b32 s0, -1
	s_cbranch_scc0 .LBB30_2017
; %bb.2016:
	s_wait_xcnt 0x0
	v_cvt_i32_f32_e32 v3, v2
	s_mov_b32 s0, 0
	global_store_b8 v[0:1], v3, off
.LBB30_2017:
	s_and_not1_b32 vcc_lo, exec_lo, s0
	s_cbranch_vccnz .LBB30_2019
; %bb.2018:
	v_trunc_f32_e32 v2, v2
	s_wait_xcnt 0x0
	s_delay_alu instid0(VALU_DEP_1) | instskip(NEXT) | instid1(VALU_DEP_1)
	v_mul_f32_e64 v3, 0x2f800000, |v2|
	v_floor_f32_e32 v3, v3
	s_delay_alu instid0(VALU_DEP_1) | instskip(SKIP_1) | instid1(VALU_DEP_2)
	v_fma_f32 v3, 0xcf800000, v3, |v2|
	v_ashrrev_i32_e32 v2, 31, v2
	v_cvt_u32_f32_e32 v3, v3
	s_delay_alu instid0(VALU_DEP_1) | instskip(NEXT) | instid1(VALU_DEP_1)
	v_xor_b32_e32 v3, v3, v2
	v_sub_nc_u32_e32 v2, v3, v2
	global_store_b8 v[0:1], v2, off
	s_endpgm
.LBB30_2019:
	s_endpgm
.LBB30_2020:
	s_or_b32 s3, s3, exec_lo
	s_trap 2
	s_cbranch_execz .LBB30_1493
	s_branch .LBB30_1494
.LBB30_2021:
	s_and_not1_saveexec_b32 s14, s14
	s_cbranch_execz .LBB30_1573
.LBB30_2022:
	v_add_f32_e64 v5, 0x46000000, |v9|
	s_and_not1_b32 s10, s10, exec_lo
	s_delay_alu instid0(VALU_DEP_1) | instskip(NEXT) | instid1(VALU_DEP_1)
	v_and_b32_e32 v5, 0xff, v5
	v_cmp_ne_u32_e32 vcc_lo, 0, v5
	s_and_b32 s15, vcc_lo, exec_lo
	s_delay_alu instid0(SALU_CYCLE_1)
	s_or_b32 s10, s10, s15
	s_or_b32 exec_lo, exec_lo, s14
	v_mov_b32_e32 v10, 0
	s_and_saveexec_b32 s14, s10
	s_cbranch_execnz .LBB30_1574
	s_branch .LBB30_1575
.LBB30_2023:
	s_or_b32 s3, s3, exec_lo
	s_trap 2
	s_cbranch_execz .LBB30_1621
	s_branch .LBB30_1622
.LBB30_2024:
	s_and_not1_saveexec_b32 s10, s10
	s_cbranch_execz .LBB30_1586
.LBB30_2025:
	v_add_f32_e64 v5, 0x42800000, |v9|
	s_and_not1_b32 s9, s9, exec_lo
	s_delay_alu instid0(VALU_DEP_1) | instskip(NEXT) | instid1(VALU_DEP_1)
	v_and_b32_e32 v5, 0xff, v5
	v_cmp_ne_u32_e32 vcc_lo, 0, v5
	s_and_b32 s14, vcc_lo, exec_lo
	s_delay_alu instid0(SALU_CYCLE_1)
	s_or_b32 s9, s9, s14
	s_or_b32 exec_lo, exec_lo, s10
	v_mov_b32_e32 v10, 0
	s_and_saveexec_b32 s10, s9
	s_cbranch_execnz .LBB30_1587
	s_branch .LBB30_1588
.LBB30_2026:
	s_and_not1_saveexec_b32 s14, s14
	s_cbranch_execz .LBB30_1691
.LBB30_2027:
	v_add_f32_e64 v5, 0x46000000, |v6|
	s_and_not1_b32 s10, s10, exec_lo
	s_delay_alu instid0(VALU_DEP_1) | instskip(NEXT) | instid1(VALU_DEP_1)
	v_and_b32_e32 v5, 0xff, v5
	v_cmp_ne_u32_e32 vcc_lo, 0, v5
	s_and_b32 s15, vcc_lo, exec_lo
	s_delay_alu instid0(SALU_CYCLE_1)
	s_or_b32 s10, s10, s15
	s_or_b32 exec_lo, exec_lo, s14
	v_mov_b32_e32 v9, 0
	s_and_saveexec_b32 s14, s10
	s_cbranch_execnz .LBB30_1692
	s_branch .LBB30_1693
.LBB30_2028:
	s_or_b32 s3, s3, exec_lo
	s_trap 2
	s_cbranch_execz .LBB30_1739
	s_branch .LBB30_1740
.LBB30_2029:
	s_and_not1_saveexec_b32 s10, s10
	s_cbranch_execz .LBB30_1704
.LBB30_2030:
	v_add_f32_e64 v5, 0x42800000, |v6|
	s_and_not1_b32 s9, s9, exec_lo
	s_delay_alu instid0(VALU_DEP_1) | instskip(NEXT) | instid1(VALU_DEP_1)
	v_and_b32_e32 v5, 0xff, v5
	v_cmp_ne_u32_e32 vcc_lo, 0, v5
	s_and_b32 s14, vcc_lo, exec_lo
	s_delay_alu instid0(SALU_CYCLE_1)
	s_or_b32 s9, s9, s14
	s_or_b32 exec_lo, exec_lo, s10
	v_mov_b32_e32 v9, 0
	s_and_saveexec_b32 s10, s9
	s_cbranch_execnz .LBB30_1705
	s_branch .LBB30_1706
.LBB30_2031:
	s_and_not1_saveexec_b32 s14, s14
	s_cbranch_execz .LBB30_1809
.LBB30_2032:
	v_add_f32_e64 v5, 0x46000000, |v6|
	s_and_not1_b32 s10, s10, exec_lo
	s_delay_alu instid0(VALU_DEP_1) | instskip(NEXT) | instid1(VALU_DEP_1)
	v_and_b32_e32 v5, 0xff, v5
	v_cmp_ne_u32_e32 vcc_lo, 0, v5
	s_and_b32 s15, vcc_lo, exec_lo
	s_delay_alu instid0(SALU_CYCLE_1)
	s_or_b32 s10, s10, s15
	s_or_b32 exec_lo, exec_lo, s14
	v_mov_b32_e32 v7, 0
	s_and_saveexec_b32 s14, s10
	s_cbranch_execnz .LBB30_1810
	s_branch .LBB30_1811
.LBB30_2033:
	s_or_b32 s3, s3, exec_lo
	s_trap 2
	s_cbranch_execz .LBB30_1857
	s_branch .LBB30_1858
.LBB30_2034:
	s_and_not1_saveexec_b32 s10, s10
	s_cbranch_execz .LBB30_1822
.LBB30_2035:
	v_add_f32_e64 v5, 0x42800000, |v6|
	s_and_not1_b32 s9, s9, exec_lo
	s_delay_alu instid0(VALU_DEP_1) | instskip(NEXT) | instid1(VALU_DEP_1)
	v_and_b32_e32 v5, 0xff, v5
	v_cmp_ne_u32_e32 vcc_lo, 0, v5
	s_and_b32 s14, vcc_lo, exec_lo
	s_delay_alu instid0(SALU_CYCLE_1)
	s_or_b32 s9, s9, s14
	s_or_b32 exec_lo, exec_lo, s10
	v_mov_b32_e32 v7, 0
	s_and_saveexec_b32 s10, s9
	s_cbranch_execnz .LBB30_1823
	s_branch .LBB30_1824
.LBB30_2036:
	s_and_not1_saveexec_b32 s6, s6
	s_cbranch_execz .LBB30_1889
.LBB30_2037:
	v_add_f32_e64 v4, 0x46000000, |v5|
	s_and_not1_b32 s5, s5, exec_lo
	s_delay_alu instid0(VALU_DEP_1) | instskip(NEXT) | instid1(VALU_DEP_1)
	v_and_b32_e32 v4, 0xff, v4
	v_cmp_ne_u32_e32 vcc_lo, 0, v4
	s_and_b32 s7, vcc_lo, exec_lo
	s_delay_alu instid0(SALU_CYCLE_1)
	s_or_b32 s5, s5, s7
	s_or_b32 exec_lo, exec_lo, s6
	v_mov_b32_e32 v6, 0
	s_and_saveexec_b32 s6, s5
	s_cbranch_execnz .LBB30_1890
	s_branch .LBB30_1891
.LBB30_2038:
	s_mov_b32 s2, 0
	s_or_b32 s3, s3, exec_lo
	s_trap 2
	s_branch .LBB30_1935
.LBB30_2039:
	s_and_not1_saveexec_b32 s5, s5
	s_cbranch_execz .LBB30_1901
.LBB30_2040:
	v_add_f32_e64 v4, 0x42800000, |v5|
	s_and_not1_b32 s4, s4, exec_lo
	s_delay_alu instid0(VALU_DEP_1) | instskip(NEXT) | instid1(VALU_DEP_1)
	v_and_b32_e32 v4, 0xff, v4
	v_cmp_ne_u32_e32 vcc_lo, 0, v4
	s_and_b32 s6, vcc_lo, exec_lo
	s_delay_alu instid0(SALU_CYCLE_1)
	s_or_b32 s4, s4, s6
	s_or_b32 exec_lo, exec_lo, s5
	v_mov_b32_e32 v6, 0
	s_and_saveexec_b32 s5, s4
	s_cbranch_execnz .LBB30_1902
	s_branch .LBB30_1903
	.section	.rodata,"a",@progbits
	.p2align	6, 0x0
	.amdhsa_kernel _ZN2at6native32elementwise_kernel_manual_unrollILi128ELi4EZNS0_15gpu_kernel_implIZZZNS0_12_GLOBAL__N_117hardshrink_kernelERNS_18TensorIteratorBaseERKN3c106ScalarEENKUlvE_clEvENKUlvE2_clEvEUlNS6_8BFloat16EE_EEvS5_RKT_EUlibE_EEviT1_
		.amdhsa_group_segment_fixed_size 0
		.amdhsa_private_segment_fixed_size 0
		.amdhsa_kernarg_size 40
		.amdhsa_user_sgpr_count 2
		.amdhsa_user_sgpr_dispatch_ptr 0
		.amdhsa_user_sgpr_queue_ptr 0
		.amdhsa_user_sgpr_kernarg_segment_ptr 1
		.amdhsa_user_sgpr_dispatch_id 0
		.amdhsa_user_sgpr_kernarg_preload_length 0
		.amdhsa_user_sgpr_kernarg_preload_offset 0
		.amdhsa_user_sgpr_private_segment_size 0
		.amdhsa_wavefront_size32 1
		.amdhsa_uses_dynamic_stack 0
		.amdhsa_enable_private_segment 0
		.amdhsa_system_sgpr_workgroup_id_x 1
		.amdhsa_system_sgpr_workgroup_id_y 0
		.amdhsa_system_sgpr_workgroup_id_z 0
		.amdhsa_system_sgpr_workgroup_info 0
		.amdhsa_system_vgpr_workitem_id 0
		.amdhsa_next_free_vgpr 14
		.amdhsa_next_free_sgpr 29
		.amdhsa_named_barrier_count 0
		.amdhsa_reserve_vcc 1
		.amdhsa_float_round_mode_32 0
		.amdhsa_float_round_mode_16_64 0
		.amdhsa_float_denorm_mode_32 3
		.amdhsa_float_denorm_mode_16_64 3
		.amdhsa_fp16_overflow 0
		.amdhsa_memory_ordered 1
		.amdhsa_forward_progress 1
		.amdhsa_inst_pref_size 255
		.amdhsa_round_robin_scheduling 0
		.amdhsa_exception_fp_ieee_invalid_op 0
		.amdhsa_exception_fp_denorm_src 0
		.amdhsa_exception_fp_ieee_div_zero 0
		.amdhsa_exception_fp_ieee_overflow 0
		.amdhsa_exception_fp_ieee_underflow 0
		.amdhsa_exception_fp_ieee_inexact 0
		.amdhsa_exception_int_div_zero 0
	.end_amdhsa_kernel
	.section	.text._ZN2at6native32elementwise_kernel_manual_unrollILi128ELi4EZNS0_15gpu_kernel_implIZZZNS0_12_GLOBAL__N_117hardshrink_kernelERNS_18TensorIteratorBaseERKN3c106ScalarEENKUlvE_clEvENKUlvE2_clEvEUlNS6_8BFloat16EE_EEvS5_RKT_EUlibE_EEviT1_,"axG",@progbits,_ZN2at6native32elementwise_kernel_manual_unrollILi128ELi4EZNS0_15gpu_kernel_implIZZZNS0_12_GLOBAL__N_117hardshrink_kernelERNS_18TensorIteratorBaseERKN3c106ScalarEENKUlvE_clEvENKUlvE2_clEvEUlNS6_8BFloat16EE_EEvS5_RKT_EUlibE_EEviT1_,comdat
.Lfunc_end30:
	.size	_ZN2at6native32elementwise_kernel_manual_unrollILi128ELi4EZNS0_15gpu_kernel_implIZZZNS0_12_GLOBAL__N_117hardshrink_kernelERNS_18TensorIteratorBaseERKN3c106ScalarEENKUlvE_clEvENKUlvE2_clEvEUlNS6_8BFloat16EE_EEvS5_RKT_EUlibE_EEviT1_, .Lfunc_end30-_ZN2at6native32elementwise_kernel_manual_unrollILi128ELi4EZNS0_15gpu_kernel_implIZZZNS0_12_GLOBAL__N_117hardshrink_kernelERNS_18TensorIteratorBaseERKN3c106ScalarEENKUlvE_clEvENKUlvE2_clEvEUlNS6_8BFloat16EE_EEvS5_RKT_EUlibE_EEviT1_
                                        ; -- End function
	.set _ZN2at6native32elementwise_kernel_manual_unrollILi128ELi4EZNS0_15gpu_kernel_implIZZZNS0_12_GLOBAL__N_117hardshrink_kernelERNS_18TensorIteratorBaseERKN3c106ScalarEENKUlvE_clEvENKUlvE2_clEvEUlNS6_8BFloat16EE_EEvS5_RKT_EUlibE_EEviT1_.num_vgpr, 14
	.set _ZN2at6native32elementwise_kernel_manual_unrollILi128ELi4EZNS0_15gpu_kernel_implIZZZNS0_12_GLOBAL__N_117hardshrink_kernelERNS_18TensorIteratorBaseERKN3c106ScalarEENKUlvE_clEvENKUlvE2_clEvEUlNS6_8BFloat16EE_EEvS5_RKT_EUlibE_EEviT1_.num_agpr, 0
	.set _ZN2at6native32elementwise_kernel_manual_unrollILi128ELi4EZNS0_15gpu_kernel_implIZZZNS0_12_GLOBAL__N_117hardshrink_kernelERNS_18TensorIteratorBaseERKN3c106ScalarEENKUlvE_clEvENKUlvE2_clEvEUlNS6_8BFloat16EE_EEvS5_RKT_EUlibE_EEviT1_.numbered_sgpr, 29
	.set _ZN2at6native32elementwise_kernel_manual_unrollILi128ELi4EZNS0_15gpu_kernel_implIZZZNS0_12_GLOBAL__N_117hardshrink_kernelERNS_18TensorIteratorBaseERKN3c106ScalarEENKUlvE_clEvENKUlvE2_clEvEUlNS6_8BFloat16EE_EEvS5_RKT_EUlibE_EEviT1_.num_named_barrier, 0
	.set _ZN2at6native32elementwise_kernel_manual_unrollILi128ELi4EZNS0_15gpu_kernel_implIZZZNS0_12_GLOBAL__N_117hardshrink_kernelERNS_18TensorIteratorBaseERKN3c106ScalarEENKUlvE_clEvENKUlvE2_clEvEUlNS6_8BFloat16EE_EEvS5_RKT_EUlibE_EEviT1_.private_seg_size, 0
	.set _ZN2at6native32elementwise_kernel_manual_unrollILi128ELi4EZNS0_15gpu_kernel_implIZZZNS0_12_GLOBAL__N_117hardshrink_kernelERNS_18TensorIteratorBaseERKN3c106ScalarEENKUlvE_clEvENKUlvE2_clEvEUlNS6_8BFloat16EE_EEvS5_RKT_EUlibE_EEviT1_.uses_vcc, 1
	.set _ZN2at6native32elementwise_kernel_manual_unrollILi128ELi4EZNS0_15gpu_kernel_implIZZZNS0_12_GLOBAL__N_117hardshrink_kernelERNS_18TensorIteratorBaseERKN3c106ScalarEENKUlvE_clEvENKUlvE2_clEvEUlNS6_8BFloat16EE_EEvS5_RKT_EUlibE_EEviT1_.uses_flat_scratch, 0
	.set _ZN2at6native32elementwise_kernel_manual_unrollILi128ELi4EZNS0_15gpu_kernel_implIZZZNS0_12_GLOBAL__N_117hardshrink_kernelERNS_18TensorIteratorBaseERKN3c106ScalarEENKUlvE_clEvENKUlvE2_clEvEUlNS6_8BFloat16EE_EEvS5_RKT_EUlibE_EEviT1_.has_dyn_sized_stack, 0
	.set _ZN2at6native32elementwise_kernel_manual_unrollILi128ELi4EZNS0_15gpu_kernel_implIZZZNS0_12_GLOBAL__N_117hardshrink_kernelERNS_18TensorIteratorBaseERKN3c106ScalarEENKUlvE_clEvENKUlvE2_clEvEUlNS6_8BFloat16EE_EEvS5_RKT_EUlibE_EEviT1_.has_recursion, 0
	.set _ZN2at6native32elementwise_kernel_manual_unrollILi128ELi4EZNS0_15gpu_kernel_implIZZZNS0_12_GLOBAL__N_117hardshrink_kernelERNS_18TensorIteratorBaseERKN3c106ScalarEENKUlvE_clEvENKUlvE2_clEvEUlNS6_8BFloat16EE_EEvS5_RKT_EUlibE_EEviT1_.has_indirect_call, 0
	.section	.AMDGPU.csdata,"",@progbits
; Kernel info:
; codeLenInByte = 43972
; TotalNumSgprs: 31
; NumVgprs: 14
; ScratchSize: 0
; MemoryBound: 0
; FloatMode: 240
; IeeeMode: 1
; LDSByteSize: 0 bytes/workgroup (compile time only)
; SGPRBlocks: 0
; VGPRBlocks: 0
; NumSGPRsForWavesPerEU: 31
; NumVGPRsForWavesPerEU: 14
; NamedBarCnt: 0
; Occupancy: 16
; WaveLimiterHint : 0
; COMPUTE_PGM_RSRC2:SCRATCH_EN: 0
; COMPUTE_PGM_RSRC2:USER_SGPR: 2
; COMPUTE_PGM_RSRC2:TRAP_HANDLER: 0
; COMPUTE_PGM_RSRC2:TGID_X_EN: 1
; COMPUTE_PGM_RSRC2:TGID_Y_EN: 0
; COMPUTE_PGM_RSRC2:TGID_Z_EN: 0
; COMPUTE_PGM_RSRC2:TIDIG_COMP_CNT: 0
	.section	.text._ZN2at6native32elementwise_kernel_manual_unrollILi128ELi4EZNS0_15gpu_kernel_implIZZZNS0_12_GLOBAL__N_117hardshrink_kernelERNS_18TensorIteratorBaseERKN3c106ScalarEENKUlvE_clEvENKUlvE2_clEvEUlNS6_8BFloat16EE_EEvS5_RKT_EUlibE0_EEviT1_,"axG",@progbits,_ZN2at6native32elementwise_kernel_manual_unrollILi128ELi4EZNS0_15gpu_kernel_implIZZZNS0_12_GLOBAL__N_117hardshrink_kernelERNS_18TensorIteratorBaseERKN3c106ScalarEENKUlvE_clEvENKUlvE2_clEvEUlNS6_8BFloat16EE_EEvS5_RKT_EUlibE0_EEviT1_,comdat
	.globl	_ZN2at6native32elementwise_kernel_manual_unrollILi128ELi4EZNS0_15gpu_kernel_implIZZZNS0_12_GLOBAL__N_117hardshrink_kernelERNS_18TensorIteratorBaseERKN3c106ScalarEENKUlvE_clEvENKUlvE2_clEvEUlNS6_8BFloat16EE_EEvS5_RKT_EUlibE0_EEviT1_ ; -- Begin function _ZN2at6native32elementwise_kernel_manual_unrollILi128ELi4EZNS0_15gpu_kernel_implIZZZNS0_12_GLOBAL__N_117hardshrink_kernelERNS_18TensorIteratorBaseERKN3c106ScalarEENKUlvE_clEvENKUlvE2_clEvEUlNS6_8BFloat16EE_EEvS5_RKT_EUlibE0_EEviT1_
	.p2align	8
	.type	_ZN2at6native32elementwise_kernel_manual_unrollILi128ELi4EZNS0_15gpu_kernel_implIZZZNS0_12_GLOBAL__N_117hardshrink_kernelERNS_18TensorIteratorBaseERKN3c106ScalarEENKUlvE_clEvENKUlvE2_clEvEUlNS6_8BFloat16EE_EEvS5_RKT_EUlibE0_EEviT1_,@function
_ZN2at6native32elementwise_kernel_manual_unrollILi128ELi4EZNS0_15gpu_kernel_implIZZZNS0_12_GLOBAL__N_117hardshrink_kernelERNS_18TensorIteratorBaseERKN3c106ScalarEENKUlvE_clEvENKUlvE2_clEvEUlNS6_8BFloat16EE_EEvS5_RKT_EUlibE0_EEviT1_: ; @_ZN2at6native32elementwise_kernel_manual_unrollILi128ELi4EZNS0_15gpu_kernel_implIZZZNS0_12_GLOBAL__N_117hardshrink_kernelERNS_18TensorIteratorBaseERKN3c106ScalarEENKUlvE_clEvENKUlvE2_clEvEUlNS6_8BFloat16EE_EEvS5_RKT_EUlibE0_EEviT1_
; %bb.0:
	s_clause 0x1
	s_load_b32 s28, s[0:1], 0x8
	s_load_b32 s38, s[0:1], 0x0
	s_bfe_u32 s2, ttmp6, 0x4000c
	s_and_b32 s3, ttmp6, 15
	s_add_co_i32 s2, s2, 1
	s_getreg_b32 s4, hwreg(HW_REG_IB_STS2, 6, 4)
	s_mul_i32 s2, ttmp9, s2
	s_mov_b32 s30, 0
	s_add_co_i32 s3, s3, s2
	s_cmp_eq_u32 s4, 0
	s_mov_b32 s22, -1
	s_cselect_b32 s2, ttmp9, s3
	s_mov_b32 s8, 0
	v_lshl_or_b32 v0, s2, 9, v0
	s_add_nc_u64 s[2:3], s[0:1], 8
	s_wait_xcnt 0x0
	s_mov_b32 s0, exec_lo
	s_delay_alu instid0(VALU_DEP_1) | instskip(SKIP_2) | instid1(SALU_CYCLE_1)
	v_or_b32_e32 v9, 0x180, v0
	s_wait_kmcnt 0x0
	s_add_co_i32 s29, s28, -1
	s_cmp_gt_u32 s29, 1
	s_cselect_b32 s31, -1, 0
	v_cmpx_le_i32_e64 s38, v9
	s_xor_b32 s33, exec_lo, s0
	s_cbranch_execz .LBB31_1093
; %bb.1:
	v_mov_b32_e32 v1, 0
	s_cmp_lg_u32 s28, 0
	s_clause 0x1
	s_load_b128 s[8:11], s[2:3], 0x4
	s_load_b64 s[0:1], s[2:3], 0x14
	s_cselect_b32 s40, -1, 0
	s_min_u32 s39, s29, 15
	global_load_u16 v1, v1, s[2:3] offset:346
	s_clause 0x2
	s_load_b32 s16, s[2:3], 0x158
	s_load_b128 s[12:15], s[2:3], 0xc4
	s_load_b128 s[4:7], s[2:3], 0x148
	s_cmp_gt_u32 s28, 1
	s_mov_b32 s17, 0
	s_cselect_b32 s37, -1, 0
	s_add_nc_u64 s[20:21], s[2:3], 0xc4
	s_mov_b32 s19, s17
	s_mov_b32 s42, s17
	;; [unrolled: 1-line block ×3, first 2 shown]
	s_mov_b32 s43, exec_lo
	s_wait_kmcnt 0x0
	s_lshl_b32 s35, s16, 16
	s_delay_alu instid0(SALU_CYCLE_1) | instskip(NEXT) | instid1(SALU_CYCLE_1)
	s_xor_b32 s16, s35, 0x80000000
	s_bfe_u32 s18, s16, 0x10010
	s_delay_alu instid0(SALU_CYCLE_1) | instskip(NEXT) | instid1(SALU_CYCLE_1)
	s_add_co_i32 s16, s16, s18
	s_addk_co_i32 s16, 0x7fff
	s_delay_alu instid0(SALU_CYCLE_1) | instskip(SKIP_4) | instid1(SALU_CYCLE_1)
	s_and_b32 s23, s16, 0xffff0000
	s_mov_b32 s16, s9
	s_wait_loadcnt 0x0
	v_readfirstlane_b32 s34, v1
	s_and_b32 s18, 0xffff, s34
	s_lshr_b32 s36, s18, 8
	s_cmp_o_f32 s35, s35
	s_mov_b32 s18, s0
	s_cselect_b32 s9, s23, 0x7fc00000
	v_cmpx_gt_i32_e64 s38, v0
	s_cbranch_execz .LBB31_267
; %bb.2:
	s_and_not1_b32 vcc_lo, exec_lo, s31
	s_cbranch_vccnz .LBB31_8
; %bb.3:
	s_and_not1_b32 vcc_lo, exec_lo, s40
	s_cbranch_vccnz .LBB31_9
; %bb.4:
	s_add_co_i32 s0, s39, 1
	s_cmp_eq_u32 s29, 2
	s_cbranch_scc1 .LBB31_10
; %bb.5:
	v_dual_mov_b32 v2, 0 :: v_dual_mov_b32 v4, 0
	v_mov_b32_e32 v1, v0
	s_and_b32 s22, s0, 28
	s_mov_b32 s23, 0
	s_mov_b64 s[24:25], s[2:3]
	s_mov_b64 s[26:27], s[20:21]
.LBB31_6:                               ; =>This Inner Loop Header: Depth=1
	s_clause 0x1
	s_load_b256 s[44:51], s[24:25], 0x4
	s_load_b128 s[60:63], s[24:25], 0x24
	s_load_b256 s[52:59], s[26:27], 0x0
	s_add_co_i32 s23, s23, 4
	s_wait_xcnt 0x0
	s_add_nc_u64 s[24:25], s[24:25], 48
	s_cmp_lg_u32 s22, s23
	s_add_nc_u64 s[26:27], s[26:27], 32
	s_wait_kmcnt 0x0
	v_mul_hi_u32 v3, s45, v1
	s_delay_alu instid0(VALU_DEP_1) | instskip(NEXT) | instid1(VALU_DEP_1)
	v_add_nc_u32_e32 v3, v1, v3
	v_lshrrev_b32_e32 v3, s46, v3
	s_delay_alu instid0(VALU_DEP_1) | instskip(NEXT) | instid1(VALU_DEP_1)
	v_mul_hi_u32 v5, s48, v3
	v_add_nc_u32_e32 v5, v3, v5
	s_delay_alu instid0(VALU_DEP_1) | instskip(NEXT) | instid1(VALU_DEP_1)
	v_lshrrev_b32_e32 v5, s49, v5
	v_mul_hi_u32 v6, s51, v5
	s_delay_alu instid0(VALU_DEP_1) | instskip(SKIP_1) | instid1(VALU_DEP_1)
	v_add_nc_u32_e32 v6, v5, v6
	v_mul_lo_u32 v7, v3, s44
	v_sub_nc_u32_e32 v1, v1, v7
	v_mul_lo_u32 v7, v5, s47
	s_delay_alu instid0(VALU_DEP_4) | instskip(NEXT) | instid1(VALU_DEP_3)
	v_lshrrev_b32_e32 v6, s60, v6
	v_mad_u32 v4, v1, s53, v4
	v_mad_u32 v1, v1, s52, v2
	s_delay_alu instid0(VALU_DEP_4) | instskip(NEXT) | instid1(VALU_DEP_4)
	v_sub_nc_u32_e32 v2, v3, v7
	v_mul_hi_u32 v8, s62, v6
	v_mul_lo_u32 v3, v6, s50
	s_delay_alu instid0(VALU_DEP_3) | instskip(SKIP_1) | instid1(VALU_DEP_3)
	v_mad_u32 v4, v2, s55, v4
	v_mad_u32 v2, v2, s54, v1
	v_dual_add_nc_u32 v7, v6, v8 :: v_dual_sub_nc_u32 v3, v5, v3
	s_delay_alu instid0(VALU_DEP_1) | instskip(NEXT) | instid1(VALU_DEP_2)
	v_lshrrev_b32_e32 v1, s63, v7
	v_mad_u32 v4, v3, s57, v4
	s_delay_alu instid0(VALU_DEP_4) | instskip(NEXT) | instid1(VALU_DEP_3)
	v_mad_u32 v2, v3, s56, v2
	v_mul_lo_u32 v5, v1, s61
	s_delay_alu instid0(VALU_DEP_1) | instskip(NEXT) | instid1(VALU_DEP_1)
	v_sub_nc_u32_e32 v3, v6, v5
	v_mad_u32 v4, v3, s59, v4
	s_delay_alu instid0(VALU_DEP_4)
	v_mad_u32 v2, v3, s58, v2
	s_cbranch_scc1 .LBB31_6
; %bb.7:
	s_delay_alu instid0(VALU_DEP_2)
	v_mov_b32_e32 v3, v4
	s_and_b32 s0, s0, 3
	s_mov_b32 s23, 0
	s_cmp_eq_u32 s0, 0
	s_cbranch_scc0 .LBB31_11
	s_branch .LBB31_14
.LBB31_8:
                                        ; implicit-def: $vgpr4
                                        ; implicit-def: $vgpr2
	s_branch .LBB31_15
.LBB31_9:
	v_dual_mov_b32 v4, 0 :: v_dual_mov_b32 v2, 0
	s_branch .LBB31_14
.LBB31_10:
	v_mov_b64_e32 v[2:3], 0
	v_mov_b32_e32 v1, v0
	s_mov_b32 s22, 0
                                        ; implicit-def: $vgpr4
	s_and_b32 s0, s0, 3
	s_mov_b32 s23, 0
	s_cmp_eq_u32 s0, 0
	s_cbranch_scc1 .LBB31_14
.LBB31_11:
	s_lshl_b32 s24, s22, 3
	s_mov_b32 s25, s23
	s_mul_u64 s[26:27], s[22:23], 12
	s_add_nc_u64 s[24:25], s[2:3], s[24:25]
	s_delay_alu instid0(SALU_CYCLE_1)
	s_add_nc_u64 s[22:23], s[24:25], 0xc4
	s_add_nc_u64 s[24:25], s[2:3], s[26:27]
.LBB31_12:                              ; =>This Inner Loop Header: Depth=1
	s_load_b96 s[44:46], s[24:25], 0x4
	s_load_b64 s[26:27], s[22:23], 0x0
	s_add_co_i32 s0, s0, -1
	s_wait_xcnt 0x0
	s_add_nc_u64 s[24:25], s[24:25], 12
	s_cmp_lg_u32 s0, 0
	s_add_nc_u64 s[22:23], s[22:23], 8
	s_wait_kmcnt 0x0
	v_mul_hi_u32 v4, s45, v1
	s_delay_alu instid0(VALU_DEP_1) | instskip(NEXT) | instid1(VALU_DEP_1)
	v_add_nc_u32_e32 v4, v1, v4
	v_lshrrev_b32_e32 v4, s46, v4
	s_delay_alu instid0(VALU_DEP_1) | instskip(NEXT) | instid1(VALU_DEP_1)
	v_mul_lo_u32 v5, v4, s44
	v_sub_nc_u32_e32 v1, v1, v5
	s_delay_alu instid0(VALU_DEP_1)
	v_mad_u32 v3, v1, s27, v3
	v_mad_u32 v2, v1, s26, v2
	v_mov_b32_e32 v1, v4
	s_cbranch_scc1 .LBB31_12
; %bb.13:
	s_delay_alu instid0(VALU_DEP_3)
	v_mov_b32_e32 v4, v3
.LBB31_14:
	s_cbranch_execnz .LBB31_17
.LBB31_15:
	v_mov_b32_e32 v1, 0
	s_and_not1_b32 vcc_lo, exec_lo, s37
	s_delay_alu instid0(VALU_DEP_1) | instskip(NEXT) | instid1(VALU_DEP_1)
	v_mul_u64_e32 v[2:3], s[16:17], v[0:1]
	v_add_nc_u32_e32 v2, v0, v3
	s_delay_alu instid0(VALU_DEP_1) | instskip(NEXT) | instid1(VALU_DEP_1)
	v_lshrrev_b32_e32 v6, s10, v2
	v_mul_lo_u32 v2, v6, s8
	s_delay_alu instid0(VALU_DEP_1) | instskip(NEXT) | instid1(VALU_DEP_1)
	v_sub_nc_u32_e32 v2, v0, v2
	v_mul_lo_u32 v4, v2, s13
	v_mul_lo_u32 v2, v2, s12
	s_cbranch_vccnz .LBB31_17
; %bb.16:
	v_mov_b32_e32 v7, v1
	s_delay_alu instid0(VALU_DEP_1) | instskip(NEXT) | instid1(VALU_DEP_1)
	v_mul_u64_e32 v[8:9], s[18:19], v[6:7]
	v_add_nc_u32_e32 v1, v6, v9
	s_delay_alu instid0(VALU_DEP_1) | instskip(NEXT) | instid1(VALU_DEP_1)
	v_lshrrev_b32_e32 v1, s1, v1
	v_mul_lo_u32 v1, v1, s11
	s_delay_alu instid0(VALU_DEP_1) | instskip(NEXT) | instid1(VALU_DEP_1)
	v_sub_nc_u32_e32 v1, v6, v1
	v_mad_u32 v2, v1, s14, v2
	v_mad_u32 v4, v1, s15, v4
.LBB31_17:
	v_mov_b32_e32 v5, 0
	s_and_b32 s0, 0xffff, s36
	s_delay_alu instid0(SALU_CYCLE_1) | instskip(NEXT) | instid1(VALU_DEP_1)
	s_cmp_lt_i32 s0, 11
	v_add_nc_u64_e32 v[4:5], s[6:7], v[4:5]
	s_cbranch_scc1 .LBB31_24
; %bb.18:
	s_cmp_gt_i32 s0, 25
	s_cbranch_scc0 .LBB31_72
; %bb.19:
	s_cmp_gt_i32 s0, 28
	s_cbranch_scc0 .LBB31_73
	;; [unrolled: 3-line block ×4, first 2 shown]
; %bb.22:
	s_cmp_eq_u32 s0, 46
	s_mov_b32 s24, 0
	s_cbranch_scc0 .LBB31_79
; %bb.23:
	global_load_b32 v1, v[4:5], off
	s_mov_b32 s23, -1
	s_mov_b32 s22, 0
	s_branch .LBB31_81
.LBB31_24:
	s_mov_b32 s22, 0
	s_mov_b32 s23, 0
                                        ; implicit-def: $vgpr1
	s_cbranch_execnz .LBB31_217
.LBB31_25:
	s_and_not1_b32 vcc_lo, exec_lo, s23
	s_cbranch_vccnz .LBB31_264
.LBB31_26:
	s_wait_loadcnt 0x0
	s_delay_alu instid0(VALU_DEP_1) | instskip(SKIP_3) | instid1(VALU_DEP_1)
	v_dual_mov_b32 v3, 0 :: v_dual_lshlrev_b32 v4, 16, v1
	s_and_b32 s24, s34, 0xff
	s_mov_b32 s23, 0
	s_mov_b32 s25, -1
	v_cmp_nle_f32_e32 vcc_lo, s9, v4
	v_cmp_nge_f32_e64 s0, s35, v4
	v_add_nc_u64_e32 v[2:3], s[4:5], v[2:3]
	s_or_b32 vcc_lo, s0, vcc_lo
	s_cmp_lt_i32 s24, 11
	v_cndmask_b32_e32 v1, 0, v1, vcc_lo
	s_mov_b32 s0, 0
	s_cbranch_scc1 .LBB31_33
; %bb.27:
	s_and_b32 s25, 0xffff, s24
	s_delay_alu instid0(SALU_CYCLE_1)
	s_cmp_gt_i32 s25, 25
	s_cbranch_scc0 .LBB31_74
; %bb.28:
	s_cmp_gt_i32 s25, 28
	s_cbranch_scc0 .LBB31_76
; %bb.29:
	;; [unrolled: 3-line block ×4, first 2 shown]
	s_mov_b32 s26, 0
	s_mov_b32 s23, -1
	s_cmp_eq_u32 s25, 46
	s_cbranch_scc0 .LBB31_85
; %bb.32:
	v_and_b32_e32 v4, 0xffff, v1
	s_mov_b32 s0, -1
	s_mov_b32 s23, 0
	global_store_b32 v[2:3], v4, off
	s_branch .LBB31_85
.LBB31_33:
	s_and_b32 vcc_lo, exec_lo, s25
	s_cbranch_vccz .LBB31_154
; %bb.34:
	s_and_b32 s0, 0xffff, s24
	s_mov_b32 s24, -1
	s_cmp_lt_i32 s0, 5
	s_cbranch_scc1 .LBB31_55
; %bb.35:
	s_cmp_lt_i32 s0, 8
	s_cbranch_scc1 .LBB31_45
; %bb.36:
	;; [unrolled: 3-line block ×3, first 2 shown]
	s_cmp_gt_i32 s0, 9
	s_cbranch_scc0 .LBB31_39
; %bb.38:
	s_wait_xcnt 0x0
	v_dual_lshlrev_b32 v4, 16, v1 :: v_dual_mov_b32 v6, 0
	s_mov_b32 s24, 0
	s_delay_alu instid0(VALU_DEP_1) | instskip(NEXT) | instid1(VALU_DEP_2)
	v_cvt_f64_f32_e32 v[4:5], v4
	v_mov_b32_e32 v7, v6
	global_store_b128 v[2:3], v[4:7], off
.LBB31_39:
	s_and_not1_b32 vcc_lo, exec_lo, s24
	s_cbranch_vccnz .LBB31_41
; %bb.40:
	s_wait_xcnt 0x0
	v_dual_mov_b32 v5, 0 :: v_dual_lshlrev_b32 v4, 16, v1
	global_store_b64 v[2:3], v[4:5], off
.LBB31_41:
	s_mov_b32 s24, 0
.LBB31_42:
	s_delay_alu instid0(SALU_CYCLE_1)
	s_and_not1_b32 vcc_lo, exec_lo, s24
	s_cbranch_vccnz .LBB31_44
; %bb.43:
	s_wait_xcnt 0x0
	v_lshlrev_b32_e32 v4, 16, v1
	s_delay_alu instid0(VALU_DEP_1) | instskip(NEXT) | instid1(VALU_DEP_1)
	v_cvt_f16_f32_e32 v4, v4
	v_and_b32_e32 v4, 0xffff, v4
	global_store_b32 v[2:3], v4, off
.LBB31_44:
	s_mov_b32 s24, 0
.LBB31_45:
	s_delay_alu instid0(SALU_CYCLE_1)
	s_and_not1_b32 vcc_lo, exec_lo, s24
	s_cbranch_vccnz .LBB31_54
; %bb.46:
	s_cmp_lt_i32 s0, 6
	s_mov_b32 s24, -1
	s_cbranch_scc1 .LBB31_52
; %bb.47:
	s_cmp_gt_i32 s0, 6
	s_cbranch_scc0 .LBB31_49
; %bb.48:
	s_wait_xcnt 0x0
	v_lshlrev_b32_e32 v4, 16, v1
	s_mov_b32 s24, 0
	s_delay_alu instid0(VALU_DEP_1)
	v_cvt_f64_f32_e32 v[4:5], v4
	global_store_b64 v[2:3], v[4:5], off
.LBB31_49:
	s_and_not1_b32 vcc_lo, exec_lo, s24
	s_cbranch_vccnz .LBB31_51
; %bb.50:
	s_wait_xcnt 0x0
	v_lshlrev_b32_e32 v4, 16, v1
	global_store_b32 v[2:3], v4, off
.LBB31_51:
	s_mov_b32 s24, 0
.LBB31_52:
	s_delay_alu instid0(SALU_CYCLE_1)
	s_and_not1_b32 vcc_lo, exec_lo, s24
	s_cbranch_vccnz .LBB31_54
; %bb.53:
	s_wait_xcnt 0x0
	v_lshlrev_b32_e32 v4, 16, v1
	s_delay_alu instid0(VALU_DEP_1)
	v_cvt_f16_f32_e32 v4, v4
	global_store_b16 v[2:3], v4, off
.LBB31_54:
	s_mov_b32 s24, 0
.LBB31_55:
	s_delay_alu instid0(SALU_CYCLE_1)
	s_and_not1_b32 vcc_lo, exec_lo, s24
	s_cbranch_vccnz .LBB31_71
; %bb.56:
	s_cmp_lt_i32 s0, 2
	s_mov_b32 s24, -1
	s_cbranch_scc1 .LBB31_66
; %bb.57:
	s_cmp_lt_i32 s0, 3
	s_cbranch_scc1 .LBB31_63
; %bb.58:
	s_cmp_gt_i32 s0, 3
	s_cbranch_scc0 .LBB31_60
; %bb.59:
	s_wait_xcnt 0x0
	v_lshlrev_b32_e32 v4, 16, v1
	s_mov_b32 s24, 0
	s_delay_alu instid0(VALU_DEP_1) | instskip(NEXT) | instid1(VALU_DEP_1)
	v_trunc_f32_e32 v4, v4
	v_mul_f32_e64 v5, 0x2f800000, |v4|
	s_delay_alu instid0(VALU_DEP_1) | instskip(NEXT) | instid1(VALU_DEP_1)
	v_floor_f32_e32 v5, v5
	v_fma_f32 v6, 0xcf800000, v5, |v4|
	v_ashrrev_i32_e32 v4, 31, v4
	v_cvt_u32_f32_e32 v7, v5
	s_delay_alu instid0(VALU_DEP_3) | instskip(NEXT) | instid1(VALU_DEP_2)
	v_cvt_u32_f32_e32 v6, v6
	v_dual_mov_b32 v5, v4 :: v_dual_bitop2_b32 v7, v7, v4 bitop3:0x14
	s_delay_alu instid0(VALU_DEP_2) | instskip(NEXT) | instid1(VALU_DEP_1)
	v_xor_b32_e32 v6, v6, v4
	v_sub_nc_u64_e32 v[4:5], v[6:7], v[4:5]
	global_store_b64 v[2:3], v[4:5], off
.LBB31_60:
	s_and_not1_b32 vcc_lo, exec_lo, s24
	s_cbranch_vccnz .LBB31_62
; %bb.61:
	s_wait_xcnt 0x0
	v_lshlrev_b32_e32 v4, 16, v1
	s_delay_alu instid0(VALU_DEP_1)
	v_cvt_i32_f32_e32 v4, v4
	global_store_b32 v[2:3], v4, off
.LBB31_62:
	s_mov_b32 s24, 0
.LBB31_63:
	s_delay_alu instid0(SALU_CYCLE_1)
	s_and_not1_b32 vcc_lo, exec_lo, s24
	s_cbranch_vccnz .LBB31_65
; %bb.64:
	s_wait_xcnt 0x0
	v_lshlrev_b32_e32 v4, 16, v1
	s_delay_alu instid0(VALU_DEP_1)
	v_cvt_i32_f32_e32 v4, v4
	global_store_b16 v[2:3], v4, off
.LBB31_65:
	s_mov_b32 s24, 0
.LBB31_66:
	s_delay_alu instid0(SALU_CYCLE_1)
	s_and_not1_b32 vcc_lo, exec_lo, s24
	s_cbranch_vccnz .LBB31_71
; %bb.67:
	s_cmp_gt_i32 s0, 0
	s_mov_b32 s0, -1
	s_cbranch_scc0 .LBB31_69
; %bb.68:
	s_wait_xcnt 0x0
	v_lshlrev_b32_e32 v4, 16, v1
	s_mov_b32 s0, 0
	s_delay_alu instid0(VALU_DEP_1)
	v_cvt_i32_f32_e32 v4, v4
	global_store_b8 v[2:3], v4, off
.LBB31_69:
	s_and_not1_b32 vcc_lo, exec_lo, s0
	s_cbranch_vccnz .LBB31_71
; %bb.70:
	s_wait_xcnt 0x0
	v_lshlrev_b32_e32 v1, 16, v1
	s_delay_alu instid0(VALU_DEP_1) | instskip(NEXT) | instid1(VALU_DEP_1)
	v_trunc_f32_e32 v1, v1
	v_mul_f32_e64 v4, 0x2f800000, |v1|
	s_delay_alu instid0(VALU_DEP_1) | instskip(NEXT) | instid1(VALU_DEP_1)
	v_floor_f32_e32 v4, v4
	v_fma_f32 v4, 0xcf800000, v4, |v1|
	v_ashrrev_i32_e32 v1, 31, v1
	s_delay_alu instid0(VALU_DEP_2) | instskip(NEXT) | instid1(VALU_DEP_1)
	v_cvt_u32_f32_e32 v4, v4
	v_xor_b32_e32 v4, v4, v1
	s_delay_alu instid0(VALU_DEP_1)
	v_sub_nc_u32_e32 v1, v4, v1
	global_store_b8 v[2:3], v1, off
.LBB31_71:
	s_branch .LBB31_155
.LBB31_72:
	s_mov_b32 s22, 0
	s_mov_b32 s23, 0
                                        ; implicit-def: $vgpr1
	s_cbranch_execnz .LBB31_182
	s_branch .LBB31_216
.LBB31_73:
	s_mov_b32 s24, -1
	s_mov_b32 s22, 0
	s_mov_b32 s23, 0
                                        ; implicit-def: $vgpr1
	s_branch .LBB31_163
.LBB31_74:
	s_mov_b32 s26, -1
	s_branch .LBB31_112
.LBB31_75:
	s_mov_b32 s24, -1
	s_mov_b32 s22, 0
	s_mov_b32 s23, 0
                                        ; implicit-def: $vgpr1
	s_branch .LBB31_158
.LBB31_76:
	s_mov_b32 s26, -1
	s_branch .LBB31_95
.LBB31_77:
	s_mov_b32 s24, -1
	s_mov_b32 s22, 0
	s_branch .LBB31_80
.LBB31_78:
	s_mov_b32 s26, -1
	s_branch .LBB31_91
.LBB31_79:
	s_mov_b32 s22, -1
.LBB31_80:
	s_mov_b32 s23, 0
                                        ; implicit-def: $vgpr1
.LBB31_81:
	s_and_b32 vcc_lo, exec_lo, s24
	s_cbranch_vccz .LBB31_157
; %bb.82:
	s_cmp_eq_u32 s0, 44
	s_cbranch_scc0 .LBB31_156
; %bb.83:
	s_wait_loadcnt 0x0
	global_load_u8 v1, v[4:5], off
	s_mov_b32 s22, 0
	s_mov_b32 s23, -1
	s_wait_loadcnt 0x0
	v_lshlrev_b32_e32 v3, 23, v1
	v_cmp_ne_u32_e32 vcc_lo, 0xff, v1
	s_delay_alu instid0(VALU_DEP_2) | instskip(SKIP_1) | instid1(VALU_DEP_2)
	v_cndmask_b32_e32 v3, 0x7f800001, v3, vcc_lo
	v_cmp_ne_u32_e32 vcc_lo, 0, v1
	v_cndmask_b32_e32 v1, 0x400000, v3, vcc_lo
	s_delay_alu instid0(VALU_DEP_1) | instskip(SKIP_1) | instid1(VALU_DEP_2)
	v_add_nc_u32_e32 v3, 0x7fff, v1
	v_cmp_o_f32_e32 vcc_lo, v1, v1
	v_lshrrev_b32_e32 v3, 16, v3
	s_delay_alu instid0(VALU_DEP_1)
	v_cndmask_b32_e32 v1, 0x7fc0, v3, vcc_lo
	s_branch .LBB31_157
.LBB31_84:
	s_mov_b32 s26, -1
.LBB31_85:
	s_delay_alu instid0(SALU_CYCLE_1)
	s_and_b32 vcc_lo, exec_lo, s26
	s_cbranch_vccz .LBB31_90
; %bb.86:
	s_cmp_eq_u32 s25, 44
	s_mov_b32 s23, -1
	s_cbranch_scc0 .LBB31_90
; %bb.87:
	s_wait_xcnt 0x0
	v_and_b32_e32 v4, 0xffff, v1
	v_mov_b32_e32 v5, 0xff
	s_mov_b32 s23, exec_lo
	s_delay_alu instid0(VALU_DEP_2) | instskip(NEXT) | instid1(VALU_DEP_1)
	v_bfe_u32 v6, v4, 7, 8
	v_cmpx_ne_u32_e32 0xff, v6
	s_cbranch_execz .LBB31_89
; %bb.88:
	v_dual_lshlrev_b32 v5, 16, v4 :: v_dual_bitop2_b32 v7, 64, v4 bitop3:0x40
	v_lshrrev_b32_e32 v4, 7, v4
	s_delay_alu instid0(VALU_DEP_2) | instskip(NEXT) | instid1(VALU_DEP_3)
	v_and_or_b32 v5, 0x3f0000, v5, v6
	v_cmp_ne_u32_e32 vcc_lo, 0, v7
	s_delay_alu instid0(VALU_DEP_2) | instskip(SKIP_1) | instid1(SALU_CYCLE_1)
	v_cmp_ne_u32_e64 s0, 0, v5
	s_and_b32 s0, vcc_lo, s0
	v_cndmask_b32_e64 v5, 0, 1, s0
	s_delay_alu instid0(VALU_DEP_1)
	v_add_nc_u32_e32 v5, v4, v5
.LBB31_89:
	s_or_b32 exec_lo, exec_lo, s23
	s_mov_b32 s0, -1
	s_mov_b32 s23, 0
	global_store_b8 v[2:3], v5, off
.LBB31_90:
	s_mov_b32 s26, 0
.LBB31_91:
	s_delay_alu instid0(SALU_CYCLE_1)
	s_and_b32 vcc_lo, exec_lo, s26
	s_cbranch_vccz .LBB31_94
; %bb.92:
	s_cmp_eq_u32 s25, 29
	s_mov_b32 s23, -1
	s_cbranch_scc0 .LBB31_94
; %bb.93:
	s_wait_xcnt 0x0
	v_lshlrev_b32_e32 v4, 16, v1
	s_mov_b32 s0, -1
	s_mov_b32 s23, 0
	s_mov_b32 s26, 0
	s_delay_alu instid0(VALU_DEP_1) | instskip(NEXT) | instid1(VALU_DEP_1)
	v_trunc_f32_e32 v4, v4
	v_mul_f32_e32 v5, 0x2f800000, v4
	s_delay_alu instid0(VALU_DEP_1) | instskip(NEXT) | instid1(VALU_DEP_1)
	v_floor_f32_e32 v5, v5
	v_fmamk_f32 v4, v5, 0xcf800000, v4
	v_cvt_u32_f32_e32 v5, v5
	s_delay_alu instid0(VALU_DEP_2)
	v_cvt_u32_f32_e32 v4, v4
	global_store_b64 v[2:3], v[4:5], off
	s_branch .LBB31_95
.LBB31_94:
	s_mov_b32 s26, 0
.LBB31_95:
	s_delay_alu instid0(SALU_CYCLE_1)
	s_and_b32 vcc_lo, exec_lo, s26
	s_cbranch_vccz .LBB31_111
; %bb.96:
	s_cmp_lt_i32 s25, 27
	s_mov_b32 s0, -1
	s_cbranch_scc1 .LBB31_102
; %bb.97:
	s_cmp_gt_i32 s25, 27
	s_cbranch_scc0 .LBB31_99
; %bb.98:
	s_wait_xcnt 0x0
	v_lshlrev_b32_e32 v4, 16, v1
	s_mov_b32 s0, 0
	s_delay_alu instid0(VALU_DEP_1)
	v_cvt_u32_f32_e32 v4, v4
	global_store_b32 v[2:3], v4, off
.LBB31_99:
	s_and_not1_b32 vcc_lo, exec_lo, s0
	s_cbranch_vccnz .LBB31_101
; %bb.100:
	s_wait_xcnt 0x0
	v_lshlrev_b32_e32 v4, 16, v1
	s_delay_alu instid0(VALU_DEP_1)
	v_cvt_u32_f32_e32 v4, v4
	global_store_b16 v[2:3], v4, off
.LBB31_101:
	s_mov_b32 s0, 0
.LBB31_102:
	s_delay_alu instid0(SALU_CYCLE_1)
	s_and_not1_b32 vcc_lo, exec_lo, s0
	s_cbranch_vccnz .LBB31_110
; %bb.103:
	v_dual_mov_b32 v7, 0x80 :: v_dual_lshlrev_b32 v6, 16, v1
	s_mov_b32 s0, exec_lo
	s_wait_xcnt 0x0
	s_delay_alu instid0(VALU_DEP_1) | instskip(NEXT) | instid1(VALU_DEP_1)
	v_and_b32_e32 v5, 0x7fffffff, v6
	v_cmpx_gt_u32_e32 0x43800000, v5
	s_cbranch_execz .LBB31_109
; %bb.104:
	v_and_b32_e32 v4, 0xffff, v1
	v_cmp_lt_u32_e32 vcc_lo, 0x3bffffff, v5
	s_mov_b32 s26, 0
                                        ; implicit-def: $vgpr5
	s_and_saveexec_b32 s27, vcc_lo
	s_delay_alu instid0(SALU_CYCLE_1)
	s_xor_b32 s27, exec_lo, s27
	s_cbranch_execz .LBB31_349
; %bb.105:
	v_bfe_u32 v5, v4, 4, 1
	s_mov_b32 s26, exec_lo
	s_delay_alu instid0(VALU_DEP_1) | instskip(NEXT) | instid1(VALU_DEP_1)
	v_add3_u32 v5, v6, v5, 0x487ffff
                                        ; implicit-def: $vgpr6
	v_lshrrev_b32_e32 v5, 20, v5
	s_and_not1_saveexec_b32 s27, s27
	s_cbranch_execnz .LBB31_350
.LBB31_106:
	s_or_b32 exec_lo, exec_lo, s27
	v_mov_b32_e32 v7, 0
	s_and_saveexec_b32 s27, s26
.LBB31_107:
	v_lshrrev_b32_e32 v4, 8, v4
	s_delay_alu instid0(VALU_DEP_1)
	v_and_or_b32 v7, 0x80, v4, v5
.LBB31_108:
	s_or_b32 exec_lo, exec_lo, s27
.LBB31_109:
	s_delay_alu instid0(SALU_CYCLE_1)
	s_or_b32 exec_lo, exec_lo, s0
	global_store_b8 v[2:3], v7, off
.LBB31_110:
	s_mov_b32 s0, -1
.LBB31_111:
	s_mov_b32 s26, 0
.LBB31_112:
	s_delay_alu instid0(SALU_CYCLE_1)
	s_and_b32 vcc_lo, exec_lo, s26
	s_cbranch_vccz .LBB31_153
; %bb.113:
	s_cmp_gt_i32 s25, 22
	s_mov_b32 s26, -1
	s_cbranch_scc0 .LBB31_145
; %bb.114:
	s_cmp_lt_i32 s25, 24
	s_mov_b32 s0, -1
	s_cbranch_scc1 .LBB31_134
; %bb.115:
	s_cmp_gt_i32 s25, 24
	s_cbranch_scc0 .LBB31_123
; %bb.116:
	s_wait_xcnt 0x0
	v_dual_mov_b32 v7, 0x80 :: v_dual_lshlrev_b32 v6, 16, v1
	s_mov_b32 s0, exec_lo
	s_delay_alu instid0(VALU_DEP_1) | instskip(NEXT) | instid1(VALU_DEP_1)
	v_and_b32_e32 v5, 0x7fffffff, v6
	v_cmpx_gt_u32_e32 0x47800000, v5
	s_cbranch_execz .LBB31_122
; %bb.117:
	v_and_b32_e32 v4, 0xffff, v1
	v_cmp_lt_u32_e32 vcc_lo, 0x37ffffff, v5
	s_mov_b32 s26, 0
                                        ; implicit-def: $vgpr5
	s_and_saveexec_b32 s27, vcc_lo
	s_delay_alu instid0(SALU_CYCLE_1)
	s_xor_b32 s27, exec_lo, s27
	s_cbranch_execz .LBB31_353
; %bb.118:
	v_bfe_u32 v5, v4, 5, 1
	s_mov_b32 s26, exec_lo
	s_delay_alu instid0(VALU_DEP_1) | instskip(NEXT) | instid1(VALU_DEP_1)
	v_add3_u32 v5, v6, v5, 0x88fffff
                                        ; implicit-def: $vgpr6
	v_lshrrev_b32_e32 v5, 21, v5
	s_and_not1_saveexec_b32 s27, s27
	s_cbranch_execnz .LBB31_354
.LBB31_119:
	s_or_b32 exec_lo, exec_lo, s27
	v_mov_b32_e32 v7, 0
	s_and_saveexec_b32 s27, s26
.LBB31_120:
	v_lshrrev_b32_e32 v4, 8, v4
	s_delay_alu instid0(VALU_DEP_1)
	v_and_or_b32 v7, 0x80, v4, v5
.LBB31_121:
	s_or_b32 exec_lo, exec_lo, s27
.LBB31_122:
	s_delay_alu instid0(SALU_CYCLE_1)
	s_or_b32 exec_lo, exec_lo, s0
	s_mov_b32 s0, 0
	global_store_b8 v[2:3], v7, off
.LBB31_123:
	s_and_b32 vcc_lo, exec_lo, s0
	s_cbranch_vccz .LBB31_133
; %bb.124:
	v_lshlrev_b32_e32 v6, 16, v1
	s_wait_xcnt 0x0
	v_and_b32_e32 v4, 0xffff, v1
	s_mov_b32 s0, exec_lo
                                        ; implicit-def: $vgpr5
	s_delay_alu instid0(VALU_DEP_2) | instskip(NEXT) | instid1(VALU_DEP_1)
	v_and_b32_e32 v7, 0x7fffffff, v6
	v_cmpx_gt_u32_e32 0x43f00000, v7
	s_xor_b32 s0, exec_lo, s0
	s_cbranch_execz .LBB31_130
; %bb.125:
	s_mov_b32 s26, exec_lo
                                        ; implicit-def: $vgpr5
	v_cmpx_lt_u32_e32 0x3c7fffff, v7
	s_xor_b32 s26, exec_lo, s26
; %bb.126:
	v_bfe_u32 v5, v4, 4, 1
	s_delay_alu instid0(VALU_DEP_1) | instskip(NEXT) | instid1(VALU_DEP_1)
	v_add3_u32 v5, v6, v5, 0x407ffff
	v_and_b32_e32 v6, 0xff00000, v5
	v_lshrrev_b32_e32 v5, 20, v5
	s_delay_alu instid0(VALU_DEP_2) | instskip(NEXT) | instid1(VALU_DEP_2)
	v_cmp_ne_u32_e32 vcc_lo, 0x7f00000, v6
                                        ; implicit-def: $vgpr6
	v_cndmask_b32_e32 v5, 0x7e, v5, vcc_lo
; %bb.127:
	s_and_not1_saveexec_b32 s26, s26
; %bb.128:
	v_add_f32_e64 v5, 0x46800000, |v6|
; %bb.129:
	s_or_b32 exec_lo, exec_lo, s26
                                        ; implicit-def: $vgpr7
.LBB31_130:
	s_and_not1_saveexec_b32 s0, s0
; %bb.131:
	v_mov_b32_e32 v5, 0x7f
	v_cmp_lt_u32_e32 vcc_lo, 0x7f800000, v7
	s_delay_alu instid0(VALU_DEP_2)
	v_cndmask_b32_e32 v5, 0x7e, v5, vcc_lo
; %bb.132:
	s_or_b32 exec_lo, exec_lo, s0
	v_lshrrev_b32_e32 v4, 8, v4
	s_delay_alu instid0(VALU_DEP_1)
	v_and_or_b32 v4, 0x80, v4, v5
	global_store_b8 v[2:3], v4, off
.LBB31_133:
	s_mov_b32 s0, 0
.LBB31_134:
	s_delay_alu instid0(SALU_CYCLE_1)
	s_and_not1_b32 vcc_lo, exec_lo, s0
	s_cbranch_vccnz .LBB31_144
; %bb.135:
	v_lshlrev_b32_e32 v6, 16, v1
	s_wait_xcnt 0x0
	v_and_b32_e32 v4, 0xffff, v1
	s_mov_b32 s0, exec_lo
                                        ; implicit-def: $vgpr5
	s_delay_alu instid0(VALU_DEP_2) | instskip(NEXT) | instid1(VALU_DEP_1)
	v_and_b32_e32 v7, 0x7fffffff, v6
	v_cmpx_gt_u32_e32 0x47800000, v7
	s_xor_b32 s0, exec_lo, s0
	s_cbranch_execz .LBB31_141
; %bb.136:
	s_mov_b32 s26, exec_lo
                                        ; implicit-def: $vgpr5
	v_cmpx_lt_u32_e32 0x387fffff, v7
	s_xor_b32 s26, exec_lo, s26
; %bb.137:
	v_bfe_u32 v5, v4, 5, 1
	s_delay_alu instid0(VALU_DEP_1) | instskip(NEXT) | instid1(VALU_DEP_1)
	v_add3_u32 v5, v6, v5, 0x80fffff
                                        ; implicit-def: $vgpr6
	v_lshrrev_b32_e32 v5, 21, v5
; %bb.138:
	s_and_not1_saveexec_b32 s26, s26
; %bb.139:
	v_add_f32_e64 v5, 0x43000000, |v6|
; %bb.140:
	s_or_b32 exec_lo, exec_lo, s26
                                        ; implicit-def: $vgpr7
.LBB31_141:
	s_and_not1_saveexec_b32 s0, s0
; %bb.142:
	v_mov_b32_e32 v5, 0x7f
	v_cmp_lt_u32_e32 vcc_lo, 0x7f800000, v7
	s_delay_alu instid0(VALU_DEP_2)
	v_cndmask_b32_e32 v5, 0x7c, v5, vcc_lo
; %bb.143:
	s_or_b32 exec_lo, exec_lo, s0
	v_lshrrev_b32_e32 v4, 8, v4
	s_delay_alu instid0(VALU_DEP_1)
	v_and_or_b32 v4, 0x80, v4, v5
	global_store_b8 v[2:3], v4, off
.LBB31_144:
	s_mov_b32 s26, 0
	s_mov_b32 s0, -1
.LBB31_145:
	s_and_not1_b32 vcc_lo, exec_lo, s26
	s_cbranch_vccnz .LBB31_153
; %bb.146:
	s_cmp_gt_i32 s25, 14
	s_mov_b32 s26, -1
	s_cbranch_scc0 .LBB31_150
; %bb.147:
	s_cmp_eq_u32 s25, 15
	s_mov_b32 s23, -1
	s_cbranch_scc0 .LBB31_149
; %bb.148:
	s_mov_b32 s0, -1
	s_mov_b32 s23, 0
	global_store_b16 v[2:3], v1, off
.LBB31_149:
	s_mov_b32 s26, 0
.LBB31_150:
	s_delay_alu instid0(SALU_CYCLE_1)
	s_and_b32 vcc_lo, exec_lo, s26
	s_cbranch_vccz .LBB31_153
; %bb.151:
	s_cmp_eq_u32 s25, 11
	s_mov_b32 s23, -1
	s_cbranch_scc0 .LBB31_153
; %bb.152:
	s_wait_xcnt 0x0
	v_and_b32_e32 v4, 0x7fff, v1
	s_mov_b32 s23, 0
	s_mov_b32 s0, -1
	s_delay_alu instid0(VALU_DEP_1)
	v_cmp_ne_u16_e32 vcc_lo, 0, v4
	v_cndmask_b32_e64 v4, 0, 1, vcc_lo
	global_store_b8 v[2:3], v4, off
.LBB31_153:
.LBB31_154:
	s_and_not1_b32 vcc_lo, exec_lo, s0
	s_cbranch_vccnz .LBB31_265
.LBB31_155:
	v_add_nc_u32_e32 v0, 0x80, v0
	s_mov_b32 s0, -1
	s_branch .LBB31_266
.LBB31_156:
	s_mov_b32 s22, -1
                                        ; implicit-def: $vgpr1
.LBB31_157:
	s_mov_b32 s24, 0
.LBB31_158:
	s_delay_alu instid0(SALU_CYCLE_1)
	s_and_b32 vcc_lo, exec_lo, s24
	s_cbranch_vccz .LBB31_162
; %bb.159:
	s_cmp_eq_u32 s0, 29
	s_cbranch_scc0 .LBB31_161
; %bb.160:
	global_load_b64 v[6:7], v[4:5], off
	s_mov_b32 s23, -1
	s_mov_b32 s22, 0
	s_mov_b32 s24, 0
	s_wait_loadcnt 0x0
	v_clz_i32_u32_e32 v1, v7
	s_delay_alu instid0(VALU_DEP_1) | instskip(NEXT) | instid1(VALU_DEP_1)
	v_min_u32_e32 v1, 32, v1
	v_lshlrev_b64_e32 v[6:7], v1, v[6:7]
	v_sub_nc_u32_e32 v1, 32, v1
	s_delay_alu instid0(VALU_DEP_2) | instskip(NEXT) | instid1(VALU_DEP_1)
	v_min_u32_e32 v3, 1, v6
	v_or_b32_e32 v3, v7, v3
	s_delay_alu instid0(VALU_DEP_1) | instskip(NEXT) | instid1(VALU_DEP_1)
	v_cvt_f32_u32_e32 v3, v3
	v_ldexp_f32 v1, v3, v1
	s_delay_alu instid0(VALU_DEP_1) | instskip(NEXT) | instid1(VALU_DEP_1)
	v_bfe_u32 v3, v1, 16, 1
	v_add3_u32 v1, v1, v3, 0x7fff
	s_delay_alu instid0(VALU_DEP_1)
	v_lshrrev_b32_e32 v1, 16, v1
	s_branch .LBB31_163
.LBB31_161:
	s_mov_b32 s22, -1
                                        ; implicit-def: $vgpr1
.LBB31_162:
	s_mov_b32 s24, 0
.LBB31_163:
	s_delay_alu instid0(SALU_CYCLE_1)
	s_and_b32 vcc_lo, exec_lo, s24
	s_cbranch_vccz .LBB31_181
; %bb.164:
	s_cmp_lt_i32 s0, 27
	s_cbranch_scc1 .LBB31_167
; %bb.165:
	s_cmp_gt_i32 s0, 27
	s_cbranch_scc0 .LBB31_168
; %bb.166:
	s_wait_loadcnt 0x0
	global_load_b32 v1, v[4:5], off
	s_mov_b32 s23, 0
	s_wait_loadcnt 0x0
	v_cvt_f32_u32_e32 v1, v1
	s_delay_alu instid0(VALU_DEP_1) | instskip(NEXT) | instid1(VALU_DEP_1)
	v_bfe_u32 v3, v1, 16, 1
	v_add3_u32 v1, v1, v3, 0x7fff
	s_delay_alu instid0(VALU_DEP_1)
	v_lshrrev_b32_e32 v1, 16, v1
	s_branch .LBB31_169
.LBB31_167:
	s_mov_b32 s23, -1
                                        ; implicit-def: $vgpr1
	s_branch .LBB31_172
.LBB31_168:
	s_mov_b32 s23, -1
                                        ; implicit-def: $vgpr1
.LBB31_169:
	s_delay_alu instid0(SALU_CYCLE_1)
	s_and_not1_b32 vcc_lo, exec_lo, s23
	s_cbranch_vccnz .LBB31_171
; %bb.170:
	s_wait_loadcnt 0x0
	global_load_u16 v1, v[4:5], off
	s_wait_loadcnt 0x0
	v_cvt_f32_u32_e32 v1, v1
	s_delay_alu instid0(VALU_DEP_1) | instskip(NEXT) | instid1(VALU_DEP_1)
	v_bfe_u32 v3, v1, 16, 1
	v_add3_u32 v1, v1, v3, 0x7fff
	s_delay_alu instid0(VALU_DEP_1)
	v_lshrrev_b32_e32 v1, 16, v1
.LBB31_171:
	s_mov_b32 s23, 0
.LBB31_172:
	s_delay_alu instid0(SALU_CYCLE_1)
	s_and_not1_b32 vcc_lo, exec_lo, s23
	s_cbranch_vccnz .LBB31_180
; %bb.173:
	s_wait_loadcnt 0x0
	global_load_u8 v1, v[4:5], off
	s_mov_b32 s23, 0
	s_mov_b32 s24, exec_lo
	s_wait_loadcnt 0x0
	v_cmpx_lt_i16_e32 0x7f, v1
	s_xor_b32 s24, exec_lo, s24
	s_cbranch_execz .LBB31_193
; %bb.174:
	s_mov_b32 s23, -1
	s_mov_b32 s25, exec_lo
	v_cmpx_eq_u16_e32 0x80, v1
; %bb.175:
	s_xor_b32 s23, exec_lo, -1
; %bb.176:
	s_or_b32 exec_lo, exec_lo, s25
	s_delay_alu instid0(SALU_CYCLE_1)
	s_and_b32 s23, s23, exec_lo
	s_or_saveexec_b32 s24, s24
	v_mov_b32_e32 v3, 0x7f800001
	s_xor_b32 exec_lo, exec_lo, s24
	s_cbranch_execnz .LBB31_194
.LBB31_177:
	s_or_b32 exec_lo, exec_lo, s24
	s_and_saveexec_b32 s24, s23
	s_cbranch_execz .LBB31_179
.LBB31_178:
	v_and_b32_e32 v3, 0xffff, v1
	s_delay_alu instid0(VALU_DEP_1) | instskip(SKIP_1) | instid1(VALU_DEP_2)
	v_dual_lshlrev_b32 v1, 24, v1 :: v_dual_bitop2_b32 v6, 7, v3 bitop3:0x40
	v_bfe_u32 v9, v3, 3, 4
	v_and_b32_e32 v1, 0x80000000, v1
	s_delay_alu instid0(VALU_DEP_3) | instskip(NEXT) | instid1(VALU_DEP_3)
	v_clz_i32_u32_e32 v7, v6
	v_cmp_eq_u32_e32 vcc_lo, 0, v9
	s_delay_alu instid0(VALU_DEP_2) | instskip(NEXT) | instid1(VALU_DEP_1)
	v_min_u32_e32 v7, 32, v7
	v_subrev_nc_u32_e32 v8, 28, v7
	v_sub_nc_u32_e32 v7, 29, v7
	s_delay_alu instid0(VALU_DEP_2) | instskip(NEXT) | instid1(VALU_DEP_2)
	v_lshlrev_b32_e32 v3, v8, v3
	v_cndmask_b32_e32 v7, v9, v7, vcc_lo
	s_delay_alu instid0(VALU_DEP_2) | instskip(NEXT) | instid1(VALU_DEP_1)
	v_and_b32_e32 v3, 7, v3
	v_cndmask_b32_e32 v3, v6, v3, vcc_lo
	s_delay_alu instid0(VALU_DEP_3) | instskip(NEXT) | instid1(VALU_DEP_2)
	v_lshl_add_u32 v6, v7, 23, 0x3b800000
	v_lshlrev_b32_e32 v3, 20, v3
	s_delay_alu instid0(VALU_DEP_1)
	v_or3_b32 v3, v1, v6, v3
.LBB31_179:
	s_or_b32 exec_lo, exec_lo, s24
	s_delay_alu instid0(VALU_DEP_1) | instskip(SKIP_1) | instid1(VALU_DEP_2)
	v_bfe_u32 v1, v3, 16, 1
	v_cmp_o_f32_e32 vcc_lo, v3, v3
	v_add3_u32 v1, v3, v1, 0x7fff
	s_delay_alu instid0(VALU_DEP_1) | instskip(NEXT) | instid1(VALU_DEP_1)
	v_lshrrev_b32_e32 v1, 16, v1
	v_cndmask_b32_e32 v1, 0x7fc0, v1, vcc_lo
.LBB31_180:
	s_mov_b32 s23, -1
.LBB31_181:
	s_branch .LBB31_216
.LBB31_182:
	s_cmp_gt_i32 s0, 22
	s_cbranch_scc0 .LBB31_192
; %bb.183:
	s_cmp_lt_i32 s0, 24
	s_cbranch_scc1 .LBB31_195
; %bb.184:
	s_cmp_gt_i32 s0, 24
	s_cbranch_scc0 .LBB31_196
; %bb.185:
	s_wait_loadcnt 0x0
	global_load_u8 v1, v[4:5], off
	s_mov_b32 s23, 0
	s_mov_b32 s24, exec_lo
	s_wait_loadcnt 0x0
	v_cmpx_lt_i16_e32 0x7f, v1
	s_xor_b32 s24, exec_lo, s24
	s_cbranch_execz .LBB31_208
; %bb.186:
	s_mov_b32 s23, -1
	s_mov_b32 s25, exec_lo
	v_cmpx_eq_u16_e32 0x80, v1
; %bb.187:
	s_xor_b32 s23, exec_lo, -1
; %bb.188:
	s_or_b32 exec_lo, exec_lo, s25
	s_delay_alu instid0(SALU_CYCLE_1)
	s_and_b32 s23, s23, exec_lo
	s_or_saveexec_b32 s24, s24
	v_mov_b32_e32 v3, 0x7f800001
	s_xor_b32 exec_lo, exec_lo, s24
	s_cbranch_execnz .LBB31_209
.LBB31_189:
	s_or_b32 exec_lo, exec_lo, s24
	s_and_saveexec_b32 s24, s23
	s_cbranch_execz .LBB31_191
.LBB31_190:
	v_and_b32_e32 v3, 0xffff, v1
	s_delay_alu instid0(VALU_DEP_1) | instskip(SKIP_1) | instid1(VALU_DEP_2)
	v_dual_lshlrev_b32 v1, 24, v1 :: v_dual_bitop2_b32 v6, 3, v3 bitop3:0x40
	v_bfe_u32 v9, v3, 2, 5
	v_and_b32_e32 v1, 0x80000000, v1
	s_delay_alu instid0(VALU_DEP_3) | instskip(NEXT) | instid1(VALU_DEP_3)
	v_clz_i32_u32_e32 v7, v6
	v_cmp_eq_u32_e32 vcc_lo, 0, v9
	s_delay_alu instid0(VALU_DEP_2) | instskip(NEXT) | instid1(VALU_DEP_1)
	v_min_u32_e32 v7, 32, v7
	v_subrev_nc_u32_e32 v8, 29, v7
	v_sub_nc_u32_e32 v7, 30, v7
	s_delay_alu instid0(VALU_DEP_2) | instskip(NEXT) | instid1(VALU_DEP_2)
	v_lshlrev_b32_e32 v3, v8, v3
	v_cndmask_b32_e32 v7, v9, v7, vcc_lo
	s_delay_alu instid0(VALU_DEP_2) | instskip(NEXT) | instid1(VALU_DEP_1)
	v_and_b32_e32 v3, 3, v3
	v_cndmask_b32_e32 v3, v6, v3, vcc_lo
	s_delay_alu instid0(VALU_DEP_3) | instskip(NEXT) | instid1(VALU_DEP_2)
	v_lshl_add_u32 v6, v7, 23, 0x37800000
	v_lshlrev_b32_e32 v3, 21, v3
	s_delay_alu instid0(VALU_DEP_1)
	v_or3_b32 v3, v1, v6, v3
.LBB31_191:
	s_or_b32 exec_lo, exec_lo, s24
	s_delay_alu instid0(VALU_DEP_1) | instskip(SKIP_2) | instid1(VALU_DEP_2)
	v_bfe_u32 v1, v3, 16, 1
	v_cmp_o_f32_e32 vcc_lo, v3, v3
	s_mov_b32 s23, 0
	v_add3_u32 v1, v3, v1, 0x7fff
	s_delay_alu instid0(VALU_DEP_1) | instskip(NEXT) | instid1(VALU_DEP_1)
	v_lshrrev_b32_e32 v1, 16, v1
	v_cndmask_b32_e32 v1, 0x7fc0, v1, vcc_lo
	s_branch .LBB31_197
.LBB31_192:
	s_mov_b32 s24, -1
                                        ; implicit-def: $vgpr1
	s_branch .LBB31_203
.LBB31_193:
	s_or_saveexec_b32 s24, s24
	v_mov_b32_e32 v3, 0x7f800001
	s_xor_b32 exec_lo, exec_lo, s24
	s_cbranch_execz .LBB31_177
.LBB31_194:
	v_cmp_ne_u16_e32 vcc_lo, 0, v1
	v_mov_b32_e32 v3, 0
	s_and_not1_b32 s23, s23, exec_lo
	s_and_b32 s25, vcc_lo, exec_lo
	s_delay_alu instid0(SALU_CYCLE_1)
	s_or_b32 s23, s23, s25
	s_or_b32 exec_lo, exec_lo, s24
	s_and_saveexec_b32 s24, s23
	s_cbranch_execnz .LBB31_178
	s_branch .LBB31_179
.LBB31_195:
	s_mov_b32 s23, -1
                                        ; implicit-def: $vgpr1
	s_branch .LBB31_200
.LBB31_196:
	s_mov_b32 s23, -1
                                        ; implicit-def: $vgpr1
.LBB31_197:
	s_delay_alu instid0(SALU_CYCLE_1)
	s_and_b32 vcc_lo, exec_lo, s23
	s_cbranch_vccz .LBB31_199
; %bb.198:
	s_wait_loadcnt 0x0
	global_load_u8 v1, v[4:5], off
	s_wait_loadcnt 0x0
	v_lshlrev_b32_e32 v1, 24, v1
	s_delay_alu instid0(VALU_DEP_1) | instskip(NEXT) | instid1(VALU_DEP_1)
	v_and_b32_e32 v3, 0x7f000000, v1
	v_clz_i32_u32_e32 v6, v3
	v_cmp_ne_u32_e32 vcc_lo, 0, v3
	v_add_nc_u32_e32 v8, 0x1000000, v3
	s_delay_alu instid0(VALU_DEP_3) | instskip(NEXT) | instid1(VALU_DEP_1)
	v_min_u32_e32 v6, 32, v6
	v_sub_nc_u32_e64 v6, v6, 4 clamp
	s_delay_alu instid0(VALU_DEP_1) | instskip(NEXT) | instid1(VALU_DEP_1)
	v_dual_lshlrev_b32 v7, v6, v3 :: v_dual_lshlrev_b32 v6, 23, v6
	v_lshrrev_b32_e32 v7, 4, v7
	s_delay_alu instid0(VALU_DEP_1) | instskip(NEXT) | instid1(VALU_DEP_1)
	v_dual_sub_nc_u32 v6, v7, v6 :: v_dual_ashrrev_i32 v7, 8, v8
	v_add_nc_u32_e32 v6, 0x3c000000, v6
	s_delay_alu instid0(VALU_DEP_1) | instskip(NEXT) | instid1(VALU_DEP_1)
	v_and_or_b32 v6, 0x7f800000, v7, v6
	v_cndmask_b32_e32 v3, 0, v6, vcc_lo
	s_delay_alu instid0(VALU_DEP_1) | instskip(SKIP_1) | instid1(VALU_DEP_2)
	v_and_or_b32 v1, 0x80000000, v1, v3
	v_bfe_u32 v3, v3, 16, 1
	v_cmp_o_f32_e32 vcc_lo, v1, v1
	s_delay_alu instid0(VALU_DEP_2) | instskip(NEXT) | instid1(VALU_DEP_1)
	v_add3_u32 v3, v1, v3, 0x7fff
	v_lshrrev_b32_e32 v3, 16, v3
	s_delay_alu instid0(VALU_DEP_1)
	v_cndmask_b32_e32 v1, 0x7fc0, v3, vcc_lo
.LBB31_199:
	s_mov_b32 s23, 0
.LBB31_200:
	s_delay_alu instid0(SALU_CYCLE_1)
	s_and_not1_b32 vcc_lo, exec_lo, s23
	s_cbranch_vccnz .LBB31_202
; %bb.201:
	s_wait_loadcnt 0x0
	global_load_u8 v1, v[4:5], off
	s_wait_loadcnt 0x0
	v_lshlrev_b32_e32 v3, 25, v1
	v_lshlrev_b16 v1, 8, v1
	s_delay_alu instid0(VALU_DEP_1) | instskip(SKIP_1) | instid1(VALU_DEP_2)
	v_and_or_b32 v7, 0x7f00, v1, 0.5
	v_bfe_i32 v1, v1, 0, 16
	v_add_f32_e32 v7, -0.5, v7
	v_lshrrev_b32_e32 v6, 4, v3
	v_cmp_gt_u32_e32 vcc_lo, 0x8000000, v3
	s_delay_alu instid0(VALU_DEP_2) | instskip(NEXT) | instid1(VALU_DEP_1)
	v_or_b32_e32 v6, 0x70000000, v6
	v_mul_f32_e32 v6, 0x7800000, v6
	s_delay_alu instid0(VALU_DEP_1) | instskip(NEXT) | instid1(VALU_DEP_1)
	v_cndmask_b32_e32 v3, v6, v7, vcc_lo
	v_and_or_b32 v1, 0x80000000, v1, v3
	v_bfe_u32 v3, v3, 16, 1
	s_delay_alu instid0(VALU_DEP_2) | instskip(NEXT) | instid1(VALU_DEP_2)
	v_cmp_o_f32_e32 vcc_lo, v1, v1
	v_add3_u32 v3, v1, v3, 0x7fff
	s_delay_alu instid0(VALU_DEP_1) | instskip(NEXT) | instid1(VALU_DEP_1)
	v_lshrrev_b32_e32 v3, 16, v3
	v_cndmask_b32_e32 v1, 0x7fc0, v3, vcc_lo
.LBB31_202:
	s_mov_b32 s24, 0
	s_mov_b32 s23, -1
.LBB31_203:
	s_and_not1_b32 vcc_lo, exec_lo, s24
	s_cbranch_vccnz .LBB31_216
; %bb.204:
	s_cmp_gt_i32 s0, 14
	s_cbranch_scc0 .LBB31_207
; %bb.205:
	s_cmp_eq_u32 s0, 15
	s_cbranch_scc0 .LBB31_210
; %bb.206:
	s_wait_loadcnt 0x0
	global_load_u16 v1, v[4:5], off
	s_mov_b32 s23, -1
	s_mov_b32 s22, 0
	s_branch .LBB31_211
.LBB31_207:
	s_mov_b32 s24, -1
                                        ; implicit-def: $vgpr1
	s_branch .LBB31_212
.LBB31_208:
	s_or_saveexec_b32 s24, s24
	v_mov_b32_e32 v3, 0x7f800001
	s_xor_b32 exec_lo, exec_lo, s24
	s_cbranch_execz .LBB31_189
.LBB31_209:
	v_cmp_ne_u16_e32 vcc_lo, 0, v1
	v_mov_b32_e32 v3, 0
	s_and_not1_b32 s23, s23, exec_lo
	s_and_b32 s25, vcc_lo, exec_lo
	s_delay_alu instid0(SALU_CYCLE_1)
	s_or_b32 s23, s23, s25
	s_or_b32 exec_lo, exec_lo, s24
	s_and_saveexec_b32 s24, s23
	s_cbranch_execnz .LBB31_190
	s_branch .LBB31_191
.LBB31_210:
	s_mov_b32 s22, -1
                                        ; implicit-def: $vgpr1
.LBB31_211:
	s_mov_b32 s24, 0
.LBB31_212:
	s_delay_alu instid0(SALU_CYCLE_1)
	s_and_b32 vcc_lo, exec_lo, s24
	s_cbranch_vccz .LBB31_216
; %bb.213:
	s_cmp_eq_u32 s0, 11
	s_cbranch_scc0 .LBB31_215
; %bb.214:
	s_wait_loadcnt 0x0
	global_load_u8 v1, v[4:5], off
	s_mov_b32 s22, 0
	s_mov_b32 s23, -1
	s_wait_loadcnt 0x0
	v_cmp_ne_u16_e32 vcc_lo, 0, v1
	v_cndmask_b32_e64 v1, 0, 1.0, vcc_lo
	s_delay_alu instid0(VALU_DEP_1)
	v_lshrrev_b32_e32 v1, 16, v1
	s_branch .LBB31_216
.LBB31_215:
	s_mov_b32 s22, -1
                                        ; implicit-def: $vgpr1
.LBB31_216:
	s_branch .LBB31_25
.LBB31_217:
	s_cmp_lt_i32 s0, 5
	s_cbranch_scc1 .LBB31_222
; %bb.218:
	s_cmp_lt_i32 s0, 8
	s_cbranch_scc1 .LBB31_223
; %bb.219:
	;; [unrolled: 3-line block ×3, first 2 shown]
	s_cmp_gt_i32 s0, 9
	s_cbranch_scc0 .LBB31_225
; %bb.221:
	global_load_b64 v[6:7], v[4:5], off
	s_mov_b32 s23, 0
	s_wait_loadcnt 0x0
	v_cvt_f32_f64_e32 v1, v[6:7]
	s_delay_alu instid0(VALU_DEP_1) | instskip(SKIP_1) | instid1(VALU_DEP_2)
	v_bfe_u32 v3, v1, 16, 1
	v_cmp_o_f32_e32 vcc_lo, v1, v1
	v_add3_u32 v3, v1, v3, 0x7fff
	s_delay_alu instid0(VALU_DEP_1) | instskip(NEXT) | instid1(VALU_DEP_1)
	v_lshrrev_b32_e32 v3, 16, v3
	v_cndmask_b32_e32 v1, 0x7fc0, v3, vcc_lo
	s_branch .LBB31_226
.LBB31_222:
                                        ; implicit-def: $vgpr1
	s_branch .LBB31_244
.LBB31_223:
	s_mov_b32 s23, -1
                                        ; implicit-def: $vgpr1
	s_branch .LBB31_232
.LBB31_224:
	s_mov_b32 s23, -1
                                        ; implicit-def: $vgpr1
	s_branch .LBB31_229
.LBB31_225:
	s_mov_b32 s23, -1
                                        ; implicit-def: $vgpr1
.LBB31_226:
	s_delay_alu instid0(SALU_CYCLE_1)
	s_and_not1_b32 vcc_lo, exec_lo, s23
	s_cbranch_vccnz .LBB31_228
; %bb.227:
	s_wait_loadcnt 0x0
	global_load_b32 v1, v[4:5], off
	s_wait_loadcnt 0x0
	v_bfe_u32 v3, v1, 16, 1
	v_cmp_o_f32_e32 vcc_lo, v1, v1
	s_delay_alu instid0(VALU_DEP_2) | instskip(NEXT) | instid1(VALU_DEP_1)
	v_add3_u32 v3, v1, v3, 0x7fff
	v_lshrrev_b32_e32 v3, 16, v3
	s_delay_alu instid0(VALU_DEP_1)
	v_cndmask_b32_e32 v1, 0x7fc0, v3, vcc_lo
.LBB31_228:
	s_mov_b32 s23, 0
.LBB31_229:
	s_delay_alu instid0(SALU_CYCLE_1)
	s_and_not1_b32 vcc_lo, exec_lo, s23
	s_cbranch_vccnz .LBB31_231
; %bb.230:
	s_wait_loadcnt 0x0
	global_load_b32 v1, v[4:5], off
	s_wait_loadcnt 0x0
	v_cvt_f32_f16_e32 v3, v1
	v_cmp_o_f16_e32 vcc_lo, v1, v1
	s_delay_alu instid0(VALU_DEP_2) | instskip(NEXT) | instid1(VALU_DEP_1)
	v_bfe_u32 v6, v3, 16, 1
	v_add3_u32 v3, v3, v6, 0x7fff
	s_delay_alu instid0(VALU_DEP_1) | instskip(NEXT) | instid1(VALU_DEP_1)
	v_lshrrev_b32_e32 v3, 16, v3
	v_cndmask_b32_e32 v1, 0x7fc0, v3, vcc_lo
.LBB31_231:
	s_mov_b32 s23, 0
.LBB31_232:
	s_delay_alu instid0(SALU_CYCLE_1)
	s_and_not1_b32 vcc_lo, exec_lo, s23
	s_cbranch_vccnz .LBB31_243
; %bb.233:
	s_cmp_lt_i32 s0, 6
	s_cbranch_scc1 .LBB31_236
; %bb.234:
	s_cmp_gt_i32 s0, 6
	s_cbranch_scc0 .LBB31_237
; %bb.235:
	global_load_b64 v[6:7], v[4:5], off
	s_mov_b32 s23, 0
	s_wait_loadcnt 0x0
	v_cvt_f32_f64_e32 v1, v[6:7]
	s_delay_alu instid0(VALU_DEP_1) | instskip(SKIP_1) | instid1(VALU_DEP_2)
	v_bfe_u32 v3, v1, 16, 1
	v_cmp_o_f32_e32 vcc_lo, v1, v1
	v_add3_u32 v3, v1, v3, 0x7fff
	s_delay_alu instid0(VALU_DEP_1) | instskip(NEXT) | instid1(VALU_DEP_1)
	v_lshrrev_b32_e32 v3, 16, v3
	v_cndmask_b32_e32 v1, 0x7fc0, v3, vcc_lo
	s_branch .LBB31_238
.LBB31_236:
	s_mov_b32 s23, -1
                                        ; implicit-def: $vgpr1
	s_branch .LBB31_241
.LBB31_237:
	s_mov_b32 s23, -1
                                        ; implicit-def: $vgpr1
.LBB31_238:
	s_delay_alu instid0(SALU_CYCLE_1)
	s_and_not1_b32 vcc_lo, exec_lo, s23
	s_cbranch_vccnz .LBB31_240
; %bb.239:
	s_wait_loadcnt 0x0
	global_load_b32 v1, v[4:5], off
	s_wait_loadcnt 0x0
	v_bfe_u32 v3, v1, 16, 1
	v_cmp_o_f32_e32 vcc_lo, v1, v1
	s_delay_alu instid0(VALU_DEP_2) | instskip(NEXT) | instid1(VALU_DEP_1)
	v_add3_u32 v3, v1, v3, 0x7fff
	v_lshrrev_b32_e32 v3, 16, v3
	s_delay_alu instid0(VALU_DEP_1)
	v_cndmask_b32_e32 v1, 0x7fc0, v3, vcc_lo
.LBB31_240:
	s_mov_b32 s23, 0
.LBB31_241:
	s_delay_alu instid0(SALU_CYCLE_1)
	s_and_not1_b32 vcc_lo, exec_lo, s23
	s_cbranch_vccnz .LBB31_243
; %bb.242:
	s_wait_loadcnt 0x0
	global_load_u16 v1, v[4:5], off
	s_wait_loadcnt 0x0
	v_cvt_f32_f16_e32 v3, v1
	v_cmp_o_f16_e32 vcc_lo, v1, v1
	s_delay_alu instid0(VALU_DEP_2) | instskip(NEXT) | instid1(VALU_DEP_1)
	v_bfe_u32 v6, v3, 16, 1
	v_add3_u32 v3, v3, v6, 0x7fff
	s_delay_alu instid0(VALU_DEP_1) | instskip(NEXT) | instid1(VALU_DEP_1)
	v_lshrrev_b32_e32 v3, 16, v3
	v_cndmask_b32_e32 v1, 0x7fc0, v3, vcc_lo
.LBB31_243:
	s_cbranch_execnz .LBB31_263
.LBB31_244:
	s_cmp_lt_i32 s0, 2
	s_cbranch_scc1 .LBB31_248
; %bb.245:
	s_cmp_lt_i32 s0, 3
	s_cbranch_scc1 .LBB31_249
; %bb.246:
	s_cmp_gt_i32 s0, 3
	s_cbranch_scc0 .LBB31_250
; %bb.247:
	global_load_b64 v[6:7], v[4:5], off
	s_mov_b32 s23, 0
	s_wait_loadcnt 0x0
	v_xor_b32_e32 v1, v6, v7
	v_cls_i32_e32 v3, v7
	s_delay_alu instid0(VALU_DEP_2) | instskip(NEXT) | instid1(VALU_DEP_1)
	v_ashrrev_i32_e32 v1, 31, v1
	v_add_nc_u32_e32 v1, 32, v1
	s_delay_alu instid0(VALU_DEP_1) | instskip(NEXT) | instid1(VALU_DEP_1)
	v_add_min_u32_e64 v1, v3, -1, v1
	v_lshlrev_b64_e32 v[6:7], v1, v[6:7]
	v_sub_nc_u32_e32 v1, 32, v1
	s_delay_alu instid0(VALU_DEP_2) | instskip(NEXT) | instid1(VALU_DEP_1)
	v_min_u32_e32 v3, 1, v6
	v_or_b32_e32 v3, v7, v3
	s_delay_alu instid0(VALU_DEP_1) | instskip(NEXT) | instid1(VALU_DEP_1)
	v_cvt_f32_i32_e32 v3, v3
	v_ldexp_f32 v1, v3, v1
	s_delay_alu instid0(VALU_DEP_1) | instskip(NEXT) | instid1(VALU_DEP_1)
	v_bfe_u32 v3, v1, 16, 1
	v_add3_u32 v1, v1, v3, 0x7fff
	s_delay_alu instid0(VALU_DEP_1)
	v_lshrrev_b32_e32 v1, 16, v1
	s_branch .LBB31_251
.LBB31_248:
	s_mov_b32 s23, -1
                                        ; implicit-def: $vgpr1
	s_branch .LBB31_257
.LBB31_249:
	s_mov_b32 s23, -1
                                        ; implicit-def: $vgpr1
	s_branch .LBB31_254
.LBB31_250:
	s_mov_b32 s23, -1
                                        ; implicit-def: $vgpr1
.LBB31_251:
	s_delay_alu instid0(SALU_CYCLE_1)
	s_and_not1_b32 vcc_lo, exec_lo, s23
	s_cbranch_vccnz .LBB31_253
; %bb.252:
	s_wait_loadcnt 0x0
	global_load_b32 v1, v[4:5], off
	s_wait_loadcnt 0x0
	v_cvt_f32_i32_e32 v1, v1
	s_delay_alu instid0(VALU_DEP_1) | instskip(NEXT) | instid1(VALU_DEP_1)
	v_bfe_u32 v3, v1, 16, 1
	v_add3_u32 v1, v1, v3, 0x7fff
	s_delay_alu instid0(VALU_DEP_1)
	v_lshrrev_b32_e32 v1, 16, v1
.LBB31_253:
	s_mov_b32 s23, 0
.LBB31_254:
	s_delay_alu instid0(SALU_CYCLE_1)
	s_and_not1_b32 vcc_lo, exec_lo, s23
	s_cbranch_vccnz .LBB31_256
; %bb.255:
	s_wait_loadcnt 0x0
	global_load_i16 v1, v[4:5], off
	s_wait_loadcnt 0x0
	v_cvt_f32_i32_e32 v1, v1
	s_delay_alu instid0(VALU_DEP_1) | instskip(NEXT) | instid1(VALU_DEP_1)
	v_bfe_u32 v3, v1, 16, 1
	v_add3_u32 v1, v1, v3, 0x7fff
	s_delay_alu instid0(VALU_DEP_1)
	v_lshrrev_b32_e32 v1, 16, v1
.LBB31_256:
	s_mov_b32 s23, 0
.LBB31_257:
	s_delay_alu instid0(SALU_CYCLE_1)
	s_and_not1_b32 vcc_lo, exec_lo, s23
	s_cbranch_vccnz .LBB31_263
; %bb.258:
	s_cmp_gt_i32 s0, 0
	s_mov_b32 s0, 0
	s_cbranch_scc0 .LBB31_260
; %bb.259:
	s_wait_loadcnt 0x0
	global_load_i8 v1, v[4:5], off
	s_wait_loadcnt 0x0
	v_cvt_f32_i32_e32 v1, v1
	s_delay_alu instid0(VALU_DEP_1) | instskip(NEXT) | instid1(VALU_DEP_1)
	v_bfe_u32 v3, v1, 16, 1
	v_add3_u32 v1, v1, v3, 0x7fff
	s_delay_alu instid0(VALU_DEP_1)
	v_lshrrev_b32_e32 v1, 16, v1
	s_branch .LBB31_261
.LBB31_260:
	s_mov_b32 s0, -1
                                        ; implicit-def: $vgpr1
.LBB31_261:
	s_delay_alu instid0(SALU_CYCLE_1)
	s_and_not1_b32 vcc_lo, exec_lo, s0
	s_cbranch_vccnz .LBB31_263
; %bb.262:
	s_wait_loadcnt 0x0
	global_load_u8 v1, v[4:5], off
	s_wait_loadcnt 0x0
	v_cvt_f32_ubyte0_e32 v1, v1
	s_delay_alu instid0(VALU_DEP_1) | instskip(NEXT) | instid1(VALU_DEP_1)
	v_bfe_u32 v3, v1, 16, 1
	v_add3_u32 v1, v1, v3, 0x7fff
	s_delay_alu instid0(VALU_DEP_1)
	v_lshrrev_b32_e32 v1, 16, v1
.LBB31_263:
	s_branch .LBB31_26
.LBB31_264:
	s_mov_b32 s23, 0
.LBB31_265:
	s_mov_b32 s0, 0
                                        ; implicit-def: $vgpr0
.LBB31_266:
	s_and_b32 s41, s23, exec_lo
	s_and_b32 s42, s22, exec_lo
	s_or_not1_b32 s22, s0, exec_lo
.LBB31_267:
	s_wait_xcnt 0x0
	s_or_b32 exec_lo, exec_lo, s43
	s_mov_b32 s23, 0
	s_mov_b32 s0, 0
                                        ; implicit-def: $vgpr4_vgpr5
                                        ; implicit-def: $vgpr2
                                        ; implicit-def: $vgpr6
	s_and_saveexec_b32 s43, s22
	s_cbranch_execz .LBB31_275
; %bb.268:
	s_mov_b32 s0, -1
	s_mov_b32 s44, s42
	s_mov_b32 s45, s41
	s_mov_b32 s46, exec_lo
	v_cmpx_gt_i32_e64 s38, v0
	s_cbranch_execz .LBB31_545
; %bb.269:
	s_and_not1_b32 vcc_lo, exec_lo, s31
	s_cbranch_vccnz .LBB31_278
; %bb.270:
	s_and_not1_b32 vcc_lo, exec_lo, s40
	s_cbranch_vccnz .LBB31_279
; %bb.271:
	s_add_co_i32 s0, s39, 1
	s_cmp_eq_u32 s29, 2
	s_cbranch_scc1 .LBB31_280
; %bb.272:
	v_dual_mov_b32 v2, 0 :: v_dual_mov_b32 v4, 0
	s_wait_loadcnt 0x0
	v_mov_b32_e32 v1, v0
	s_and_b32 s22, s0, 28
	s_mov_b64 s[24:25], s[2:3]
	s_mov_b64 s[26:27], s[20:21]
.LBB31_273:                             ; =>This Inner Loop Header: Depth=1
	s_clause 0x1
	s_load_b256 s[48:55], s[24:25], 0x4
	s_load_b128 s[64:67], s[24:25], 0x24
	s_load_b256 s[56:63], s[26:27], 0x0
	s_add_co_i32 s23, s23, 4
	s_wait_xcnt 0x0
	s_add_nc_u64 s[24:25], s[24:25], 48
	s_cmp_eq_u32 s22, s23
	s_add_nc_u64 s[26:27], s[26:27], 32
	s_wait_kmcnt 0x0
	v_mul_hi_u32 v3, s49, v1
	s_delay_alu instid0(VALU_DEP_1) | instskip(NEXT) | instid1(VALU_DEP_1)
	v_add_nc_u32_e32 v3, v1, v3
	v_lshrrev_b32_e32 v3, s50, v3
	s_delay_alu instid0(VALU_DEP_1) | instskip(NEXT) | instid1(VALU_DEP_1)
	v_mul_hi_u32 v5, s52, v3
	v_add_nc_u32_e32 v5, v3, v5
	s_delay_alu instid0(VALU_DEP_1) | instskip(NEXT) | instid1(VALU_DEP_1)
	v_lshrrev_b32_e32 v5, s53, v5
	v_mul_hi_u32 v6, s55, v5
	s_delay_alu instid0(VALU_DEP_1) | instskip(SKIP_1) | instid1(VALU_DEP_1)
	v_add_nc_u32_e32 v6, v5, v6
	v_mul_lo_u32 v7, v3, s48
	v_sub_nc_u32_e32 v1, v1, v7
	v_mul_lo_u32 v7, v5, s51
	s_delay_alu instid0(VALU_DEP_4) | instskip(NEXT) | instid1(VALU_DEP_3)
	v_lshrrev_b32_e32 v6, s64, v6
	v_mad_u32 v4, v1, s57, v4
	v_mad_u32 v1, v1, s56, v2
	s_delay_alu instid0(VALU_DEP_4) | instskip(NEXT) | instid1(VALU_DEP_4)
	v_sub_nc_u32_e32 v2, v3, v7
	v_mul_hi_u32 v8, s66, v6
	v_mul_lo_u32 v3, v6, s54
	s_delay_alu instid0(VALU_DEP_3) | instskip(SKIP_1) | instid1(VALU_DEP_3)
	v_mad_u32 v4, v2, s59, v4
	v_mad_u32 v2, v2, s58, v1
	v_dual_add_nc_u32 v7, v6, v8 :: v_dual_sub_nc_u32 v3, v5, v3
	s_delay_alu instid0(VALU_DEP_1) | instskip(NEXT) | instid1(VALU_DEP_2)
	v_lshrrev_b32_e32 v1, s67, v7
	v_mad_u32 v4, v3, s61, v4
	s_delay_alu instid0(VALU_DEP_4) | instskip(NEXT) | instid1(VALU_DEP_3)
	v_mad_u32 v2, v3, s60, v2
	v_mul_lo_u32 v5, v1, s65
	s_delay_alu instid0(VALU_DEP_1) | instskip(NEXT) | instid1(VALU_DEP_1)
	v_sub_nc_u32_e32 v3, v6, v5
	v_mad_u32 v4, v3, s63, v4
	s_delay_alu instid0(VALU_DEP_4)
	v_mad_u32 v2, v3, s62, v2
	s_cbranch_scc0 .LBB31_273
; %bb.274:
	s_delay_alu instid0(VALU_DEP_2)
	v_mov_b32_e32 v3, v4
	s_branch .LBB31_281
.LBB31_275:
	s_or_b32 exec_lo, exec_lo, s43
	s_mov_b32 s1, 0
	s_and_saveexec_b32 s6, s42
	s_cbranch_execnz .LBB31_926
.LBB31_276:
	s_or_b32 exec_lo, exec_lo, s6
	s_and_saveexec_b32 s6, s17
	s_delay_alu instid0(SALU_CYCLE_1)
	s_xor_b32 s6, exec_lo, s6
	s_cbranch_execz .LBB31_927
.LBB31_277:
	global_load_u8 v0, v[4:5], off
	s_or_b32 s0, s0, exec_lo
	s_wait_loadcnt 0x0
	v_cmp_ne_u16_e32 vcc_lo, 0, v0
	v_cndmask_b32_e64 v0, 0, 1.0, vcc_lo
	s_delay_alu instid0(VALU_DEP_1)
	v_lshrrev_b32_e32 v6, 16, v0
	s_wait_xcnt 0x0
	s_or_b32 exec_lo, exec_lo, s6
	s_and_saveexec_b32 s6, s23
	s_cbranch_execz .LBB31_973
	s_branch .LBB31_928
.LBB31_278:
                                        ; implicit-def: $vgpr4
                                        ; implicit-def: $vgpr2
	s_and_not1_b32 vcc_lo, exec_lo, s0
	s_cbranch_vccnz .LBB31_288
	s_branch .LBB31_286
.LBB31_279:
	v_dual_mov_b32 v4, 0 :: v_dual_mov_b32 v2, 0
	s_branch .LBB31_285
.LBB31_280:
	v_mov_b64_e32 v[2:3], 0
	s_wait_loadcnt 0x0
	v_mov_b32_e32 v1, v0
	s_mov_b32 s22, 0
                                        ; implicit-def: $vgpr4
.LBB31_281:
	s_and_b32 s0, s0, 3
	s_mov_b32 s23, 0
	s_cmp_eq_u32 s0, 0
	s_cbranch_scc1 .LBB31_285
; %bb.282:
	s_lshl_b32 s24, s22, 3
	s_mov_b32 s25, s23
	s_mul_u64 s[26:27], s[22:23], 12
	s_add_nc_u64 s[24:25], s[2:3], s[24:25]
	s_delay_alu instid0(SALU_CYCLE_1)
	s_add_nc_u64 s[22:23], s[24:25], 0xc4
	s_add_nc_u64 s[24:25], s[2:3], s[26:27]
.LBB31_283:                             ; =>This Inner Loop Header: Depth=1
	s_load_b96 s[48:50], s[24:25], 0x4
	s_load_b64 s[26:27], s[22:23], 0x0
	s_add_co_i32 s0, s0, -1
	s_wait_xcnt 0x0
	s_add_nc_u64 s[24:25], s[24:25], 12
	s_cmp_lg_u32 s0, 0
	s_add_nc_u64 s[22:23], s[22:23], 8
	s_wait_kmcnt 0x0
	v_mul_hi_u32 v4, s49, v1
	s_delay_alu instid0(VALU_DEP_1) | instskip(NEXT) | instid1(VALU_DEP_1)
	v_add_nc_u32_e32 v4, v1, v4
	v_lshrrev_b32_e32 v4, s50, v4
	s_delay_alu instid0(VALU_DEP_1) | instskip(NEXT) | instid1(VALU_DEP_1)
	v_mul_lo_u32 v5, v4, s48
	v_sub_nc_u32_e32 v1, v1, v5
	s_delay_alu instid0(VALU_DEP_1)
	v_mad_u32 v3, v1, s27, v3
	v_mad_u32 v2, v1, s26, v2
	v_mov_b32_e32 v1, v4
	s_cbranch_scc1 .LBB31_283
; %bb.284:
	s_delay_alu instid0(VALU_DEP_3)
	v_mov_b32_e32 v4, v3
.LBB31_285:
	s_cbranch_execnz .LBB31_288
.LBB31_286:
	s_wait_loadcnt 0x0
	v_mov_b32_e32 v1, 0
	s_and_not1_b32 vcc_lo, exec_lo, s37
	s_delay_alu instid0(VALU_DEP_1) | instskip(NEXT) | instid1(VALU_DEP_1)
	v_mul_u64_e32 v[2:3], s[16:17], v[0:1]
	v_add_nc_u32_e32 v2, v0, v3
	s_delay_alu instid0(VALU_DEP_1) | instskip(NEXT) | instid1(VALU_DEP_1)
	v_lshrrev_b32_e32 v6, s10, v2
	v_mul_lo_u32 v2, v6, s8
	s_delay_alu instid0(VALU_DEP_1) | instskip(NEXT) | instid1(VALU_DEP_1)
	v_sub_nc_u32_e32 v2, v0, v2
	v_mul_lo_u32 v4, v2, s13
	v_mul_lo_u32 v2, v2, s12
	s_cbranch_vccnz .LBB31_288
; %bb.287:
	v_mov_b32_e32 v7, v1
	s_delay_alu instid0(VALU_DEP_1) | instskip(NEXT) | instid1(VALU_DEP_1)
	v_mul_u64_e32 v[8:9], s[18:19], v[6:7]
	v_add_nc_u32_e32 v1, v6, v9
	s_delay_alu instid0(VALU_DEP_1) | instskip(NEXT) | instid1(VALU_DEP_1)
	v_lshrrev_b32_e32 v1, s1, v1
	v_mul_lo_u32 v1, v1, s11
	s_delay_alu instid0(VALU_DEP_1) | instskip(NEXT) | instid1(VALU_DEP_1)
	v_sub_nc_u32_e32 v1, v6, v1
	v_mad_u32 v2, v1, s14, v2
	v_mad_u32 v4, v1, s15, v4
.LBB31_288:
	v_mov_b32_e32 v5, 0
	s_and_b32 s0, 0xffff, s36
	s_delay_alu instid0(SALU_CYCLE_1) | instskip(NEXT) | instid1(VALU_DEP_1)
	s_cmp_lt_i32 s0, 11
	v_add_nc_u64_e32 v[4:5], s[6:7], v[4:5]
	s_cbranch_scc1 .LBB31_295
; %bb.289:
	s_cmp_gt_i32 s0, 25
	s_cbranch_scc0 .LBB31_344
; %bb.290:
	s_cmp_gt_i32 s0, 28
	s_cbranch_scc0 .LBB31_345
	;; [unrolled: 3-line block ×4, first 2 shown]
; %bb.293:
	s_cmp_eq_u32 s0, 46
	s_mov_b32 s24, 0
	s_cbranch_scc0 .LBB31_355
; %bb.294:
	s_wait_loadcnt 0x0
	global_load_b32 v1, v[4:5], off
	s_mov_b32 s23, -1
	s_mov_b32 s22, 0
	s_branch .LBB31_357
.LBB31_295:
	s_mov_b32 s23, 0
	s_mov_b32 s22, s42
                                        ; implicit-def: $vgpr1
	s_cbranch_execnz .LBB31_494
.LBB31_296:
	s_and_not1_b32 vcc_lo, exec_lo, s23
	s_cbranch_vccnz .LBB31_542
.LBB31_297:
	s_wait_loadcnt 0x0
	s_delay_alu instid0(VALU_DEP_1) | instskip(SKIP_3) | instid1(VALU_DEP_1)
	v_dual_mov_b32 v3, 0 :: v_dual_lshlrev_b32 v4, 16, v1
	s_and_b32 s23, s34, 0xff
	s_mov_b32 s25, 0
	s_mov_b32 s24, -1
	v_cmp_nle_f32_e32 vcc_lo, s9, v4
	v_cmp_nge_f32_e64 s0, s35, v4
	v_add_nc_u64_e32 v[2:3], s[4:5], v[2:3]
	s_or_b32 vcc_lo, s0, vcc_lo
	s_cmp_lt_i32 s23, 11
	v_cndmask_b32_e32 v1, 0, v1, vcc_lo
	s_mov_b32 s0, s41
	s_cbranch_scc1 .LBB31_304
; %bb.298:
	s_and_b32 s24, 0xffff, s23
	s_delay_alu instid0(SALU_CYCLE_1)
	s_cmp_gt_i32 s24, 25
	s_cbranch_scc0 .LBB31_346
; %bb.299:
	s_cmp_gt_i32 s24, 28
	s_cbranch_scc0 .LBB31_348
; %bb.300:
	;; [unrolled: 3-line block ×4, first 2 shown]
	s_mov_b32 s26, 0
	s_mov_b32 s0, -1
	s_cmp_eq_u32 s24, 46
	s_cbranch_scc0 .LBB31_361
; %bb.303:
	v_and_b32_e32 v4, 0xffff, v1
	s_mov_b32 s25, -1
	s_mov_b32 s0, 0
	global_store_b32 v[2:3], v4, off
	s_branch .LBB31_361
.LBB31_304:
	s_and_b32 vcc_lo, exec_lo, s24
	s_cbranch_vccz .LBB31_430
; %bb.305:
	s_and_b32 s23, 0xffff, s23
	s_mov_b32 s24, -1
	s_cmp_lt_i32 s23, 5
	s_cbranch_scc1 .LBB31_326
; %bb.306:
	s_cmp_lt_i32 s23, 8
	s_cbranch_scc1 .LBB31_316
; %bb.307:
	;; [unrolled: 3-line block ×3, first 2 shown]
	s_cmp_gt_i32 s23, 9
	s_cbranch_scc0 .LBB31_310
; %bb.309:
	s_wait_xcnt 0x0
	v_dual_lshlrev_b32 v4, 16, v1 :: v_dual_mov_b32 v6, 0
	s_mov_b32 s24, 0
	s_delay_alu instid0(VALU_DEP_1) | instskip(NEXT) | instid1(VALU_DEP_2)
	v_cvt_f64_f32_e32 v[4:5], v4
	v_mov_b32_e32 v7, v6
	global_store_b128 v[2:3], v[4:7], off
.LBB31_310:
	s_and_not1_b32 vcc_lo, exec_lo, s24
	s_cbranch_vccnz .LBB31_312
; %bb.311:
	s_wait_xcnt 0x0
	v_dual_mov_b32 v5, 0 :: v_dual_lshlrev_b32 v4, 16, v1
	global_store_b64 v[2:3], v[4:5], off
.LBB31_312:
	s_mov_b32 s24, 0
.LBB31_313:
	s_delay_alu instid0(SALU_CYCLE_1)
	s_and_not1_b32 vcc_lo, exec_lo, s24
	s_cbranch_vccnz .LBB31_315
; %bb.314:
	s_wait_xcnt 0x0
	v_lshlrev_b32_e32 v4, 16, v1
	s_delay_alu instid0(VALU_DEP_1) | instskip(NEXT) | instid1(VALU_DEP_1)
	v_cvt_f16_f32_e32 v4, v4
	v_and_b32_e32 v4, 0xffff, v4
	global_store_b32 v[2:3], v4, off
.LBB31_315:
	s_mov_b32 s24, 0
.LBB31_316:
	s_delay_alu instid0(SALU_CYCLE_1)
	s_and_not1_b32 vcc_lo, exec_lo, s24
	s_cbranch_vccnz .LBB31_325
; %bb.317:
	s_cmp_lt_i32 s23, 6
	s_mov_b32 s24, -1
	s_cbranch_scc1 .LBB31_323
; %bb.318:
	s_cmp_gt_i32 s23, 6
	s_cbranch_scc0 .LBB31_320
; %bb.319:
	s_wait_xcnt 0x0
	v_lshlrev_b32_e32 v4, 16, v1
	s_mov_b32 s24, 0
	s_delay_alu instid0(VALU_DEP_1)
	v_cvt_f64_f32_e32 v[4:5], v4
	global_store_b64 v[2:3], v[4:5], off
.LBB31_320:
	s_and_not1_b32 vcc_lo, exec_lo, s24
	s_cbranch_vccnz .LBB31_322
; %bb.321:
	s_wait_xcnt 0x0
	v_lshlrev_b32_e32 v4, 16, v1
	global_store_b32 v[2:3], v4, off
.LBB31_322:
	s_mov_b32 s24, 0
.LBB31_323:
	s_delay_alu instid0(SALU_CYCLE_1)
	s_and_not1_b32 vcc_lo, exec_lo, s24
	s_cbranch_vccnz .LBB31_325
; %bb.324:
	s_wait_xcnt 0x0
	v_lshlrev_b32_e32 v4, 16, v1
	s_delay_alu instid0(VALU_DEP_1)
	v_cvt_f16_f32_e32 v4, v4
	global_store_b16 v[2:3], v4, off
.LBB31_325:
	s_mov_b32 s24, 0
.LBB31_326:
	s_delay_alu instid0(SALU_CYCLE_1)
	s_and_not1_b32 vcc_lo, exec_lo, s24
	s_cbranch_vccnz .LBB31_342
; %bb.327:
	s_cmp_lt_i32 s23, 2
	s_mov_b32 s24, -1
	s_cbranch_scc1 .LBB31_337
; %bb.328:
	s_cmp_lt_i32 s23, 3
	s_cbranch_scc1 .LBB31_334
; %bb.329:
	s_cmp_gt_i32 s23, 3
	s_cbranch_scc0 .LBB31_331
; %bb.330:
	s_wait_xcnt 0x0
	v_lshlrev_b32_e32 v4, 16, v1
	s_mov_b32 s24, 0
	s_delay_alu instid0(VALU_DEP_1) | instskip(NEXT) | instid1(VALU_DEP_1)
	v_trunc_f32_e32 v4, v4
	v_mul_f32_e64 v5, 0x2f800000, |v4|
	s_delay_alu instid0(VALU_DEP_1) | instskip(NEXT) | instid1(VALU_DEP_1)
	v_floor_f32_e32 v5, v5
	v_fma_f32 v6, 0xcf800000, v5, |v4|
	v_ashrrev_i32_e32 v4, 31, v4
	v_cvt_u32_f32_e32 v7, v5
	s_delay_alu instid0(VALU_DEP_3) | instskip(NEXT) | instid1(VALU_DEP_2)
	v_cvt_u32_f32_e32 v6, v6
	v_dual_mov_b32 v5, v4 :: v_dual_bitop2_b32 v7, v7, v4 bitop3:0x14
	s_delay_alu instid0(VALU_DEP_2) | instskip(NEXT) | instid1(VALU_DEP_1)
	v_xor_b32_e32 v6, v6, v4
	v_sub_nc_u64_e32 v[4:5], v[6:7], v[4:5]
	global_store_b64 v[2:3], v[4:5], off
.LBB31_331:
	s_and_not1_b32 vcc_lo, exec_lo, s24
	s_cbranch_vccnz .LBB31_333
; %bb.332:
	s_wait_xcnt 0x0
	v_lshlrev_b32_e32 v4, 16, v1
	s_delay_alu instid0(VALU_DEP_1)
	v_cvt_i32_f32_e32 v4, v4
	global_store_b32 v[2:3], v4, off
.LBB31_333:
	s_mov_b32 s24, 0
.LBB31_334:
	s_delay_alu instid0(SALU_CYCLE_1)
	s_and_not1_b32 vcc_lo, exec_lo, s24
	s_cbranch_vccnz .LBB31_336
; %bb.335:
	s_wait_xcnt 0x0
	v_lshlrev_b32_e32 v4, 16, v1
	s_delay_alu instid0(VALU_DEP_1)
	v_cvt_i32_f32_e32 v4, v4
	global_store_b16 v[2:3], v4, off
.LBB31_336:
	s_mov_b32 s24, 0
.LBB31_337:
	s_delay_alu instid0(SALU_CYCLE_1)
	s_and_not1_b32 vcc_lo, exec_lo, s24
	s_cbranch_vccnz .LBB31_342
; %bb.338:
	s_wait_xcnt 0x0
	v_lshlrev_b32_e32 v1, 16, v1
	s_cmp_gt_i32 s23, 0
	s_mov_b32 s23, -1
	s_cbranch_scc0 .LBB31_340
; %bb.339:
	s_delay_alu instid0(VALU_DEP_1)
	v_cvt_i32_f32_e32 v4, v1
	s_mov_b32 s23, 0
	global_store_b8 v[2:3], v4, off
.LBB31_340:
	s_and_not1_b32 vcc_lo, exec_lo, s23
	s_cbranch_vccnz .LBB31_342
; %bb.341:
	v_trunc_f32_e32 v1, v1
	s_wait_xcnt 0x0
	s_delay_alu instid0(VALU_DEP_1) | instskip(NEXT) | instid1(VALU_DEP_1)
	v_mul_f32_e64 v4, 0x2f800000, |v1|
	v_floor_f32_e32 v4, v4
	s_delay_alu instid0(VALU_DEP_1) | instskip(SKIP_1) | instid1(VALU_DEP_2)
	v_fma_f32 v4, 0xcf800000, v4, |v1|
	v_ashrrev_i32_e32 v1, 31, v1
	v_cvt_u32_f32_e32 v4, v4
	s_delay_alu instid0(VALU_DEP_1) | instskip(NEXT) | instid1(VALU_DEP_1)
	v_xor_b32_e32 v4, v4, v1
	v_sub_nc_u32_e32 v1, v4, v1
	global_store_b8 v[2:3], v1, off
.LBB31_342:
	s_branch .LBB31_431
.LBB31_343:
	s_mov_b32 s23, 0
	s_branch .LBB31_543
.LBB31_344:
	s_mov_b32 s24, -1
	s_mov_b32 s23, 0
	s_mov_b32 s22, s42
                                        ; implicit-def: $vgpr1
	s_branch .LBB31_458
.LBB31_345:
	s_mov_b32 s24, -1
	s_mov_b32 s23, 0
	s_mov_b32 s22, s42
                                        ; implicit-def: $vgpr1
	s_branch .LBB31_439
.LBB31_346:
	s_mov_b32 s26, -1
	s_mov_b32 s0, s41
	s_branch .LBB31_388
.LBB31_347:
	s_mov_b32 s24, -1
	s_mov_b32 s23, 0
	s_mov_b32 s22, s42
                                        ; implicit-def: $vgpr1
	s_branch .LBB31_434
.LBB31_348:
	s_mov_b32 s26, -1
	s_mov_b32 s0, s41
	s_branch .LBB31_371
.LBB31_349:
	s_and_not1_saveexec_b32 s27, s27
	s_cbranch_execz .LBB31_106
.LBB31_350:
	v_add_f32_e64 v5, 0x46000000, |v6|
	s_and_not1_b32 s26, s26, exec_lo
	s_delay_alu instid0(VALU_DEP_1) | instskip(NEXT) | instid1(VALU_DEP_1)
	v_and_b32_e32 v5, 0xff, v5
	v_cmp_ne_u32_e32 vcc_lo, 0, v5
	s_and_b32 s41, vcc_lo, exec_lo
	s_delay_alu instid0(SALU_CYCLE_1)
	s_or_b32 s26, s26, s41
	s_or_b32 exec_lo, exec_lo, s27
	v_mov_b32_e32 v7, 0
	s_and_saveexec_b32 s27, s26
	s_cbranch_execnz .LBB31_107
	s_branch .LBB31_108
.LBB31_351:
	s_mov_b32 s24, -1
	s_mov_b32 s23, 0
	s_mov_b32 s22, s42
	s_branch .LBB31_356
.LBB31_352:
	s_mov_b32 s26, -1
	s_mov_b32 s0, s41
	s_branch .LBB31_367
.LBB31_353:
	s_and_not1_saveexec_b32 s27, s27
	s_cbranch_execz .LBB31_119
.LBB31_354:
	v_add_f32_e64 v5, 0x42800000, |v6|
	s_and_not1_b32 s26, s26, exec_lo
	s_delay_alu instid0(VALU_DEP_1) | instskip(NEXT) | instid1(VALU_DEP_1)
	v_and_b32_e32 v5, 0xff, v5
	v_cmp_ne_u32_e32 vcc_lo, 0, v5
	s_and_b32 s41, vcc_lo, exec_lo
	s_delay_alu instid0(SALU_CYCLE_1)
	s_or_b32 s26, s26, s41
	s_or_b32 exec_lo, exec_lo, s27
	v_mov_b32_e32 v7, 0
	s_and_saveexec_b32 s27, s26
	s_cbranch_execnz .LBB31_120
	s_branch .LBB31_121
.LBB31_355:
	s_mov_b32 s22, -1
	s_mov_b32 s23, 0
.LBB31_356:
                                        ; implicit-def: $vgpr1
.LBB31_357:
	s_and_b32 vcc_lo, exec_lo, s24
	s_cbranch_vccz .LBB31_433
; %bb.358:
	s_cmp_eq_u32 s0, 44
	s_cbranch_scc0 .LBB31_432
; %bb.359:
	s_wait_loadcnt 0x0
	global_load_u8 v1, v[4:5], off
	s_mov_b32 s22, 0
	s_mov_b32 s23, -1
	s_wait_loadcnt 0x0
	v_lshlrev_b32_e32 v3, 23, v1
	v_cmp_ne_u32_e32 vcc_lo, 0xff, v1
	s_delay_alu instid0(VALU_DEP_2) | instskip(SKIP_1) | instid1(VALU_DEP_2)
	v_cndmask_b32_e32 v3, 0x7f800001, v3, vcc_lo
	v_cmp_ne_u32_e32 vcc_lo, 0, v1
	v_cndmask_b32_e32 v1, 0x400000, v3, vcc_lo
	s_delay_alu instid0(VALU_DEP_1) | instskip(SKIP_1) | instid1(VALU_DEP_2)
	v_add_nc_u32_e32 v3, 0x7fff, v1
	v_cmp_o_f32_e32 vcc_lo, v1, v1
	v_lshrrev_b32_e32 v3, 16, v3
	s_delay_alu instid0(VALU_DEP_1)
	v_cndmask_b32_e32 v1, 0x7fc0, v3, vcc_lo
	s_branch .LBB31_433
.LBB31_360:
	s_mov_b32 s26, -1
	s_mov_b32 s0, s41
.LBB31_361:
	s_and_b32 vcc_lo, exec_lo, s26
	s_cbranch_vccz .LBB31_366
; %bb.362:
	s_cmp_eq_u32 s24, 44
	s_mov_b32 s0, -1
	s_cbranch_scc0 .LBB31_366
; %bb.363:
	s_wait_xcnt 0x0
	v_and_b32_e32 v4, 0xffff, v1
	v_mov_b32_e32 v5, 0xff
	s_mov_b32 s25, exec_lo
	s_delay_alu instid0(VALU_DEP_2) | instskip(NEXT) | instid1(VALU_DEP_1)
	v_bfe_u32 v6, v4, 7, 8
	v_cmpx_ne_u32_e32 0xff, v6
	s_cbranch_execz .LBB31_365
; %bb.364:
	v_dual_lshlrev_b32 v5, 16, v4 :: v_dual_bitop2_b32 v7, 64, v4 bitop3:0x40
	v_lshrrev_b32_e32 v4, 7, v4
	s_delay_alu instid0(VALU_DEP_2) | instskip(NEXT) | instid1(VALU_DEP_3)
	v_and_or_b32 v5, 0x3f0000, v5, v6
	v_cmp_ne_u32_e32 vcc_lo, 0, v7
	s_delay_alu instid0(VALU_DEP_2) | instskip(SKIP_1) | instid1(SALU_CYCLE_1)
	v_cmp_ne_u32_e64 s0, 0, v5
	s_and_b32 s0, vcc_lo, s0
	v_cndmask_b32_e64 v5, 0, 1, s0
	s_delay_alu instid0(VALU_DEP_1)
	v_add_nc_u32_e32 v5, v4, v5
.LBB31_365:
	s_or_b32 exec_lo, exec_lo, s25
	s_mov_b32 s25, -1
	s_mov_b32 s0, 0
	global_store_b8 v[2:3], v5, off
.LBB31_366:
	s_mov_b32 s26, 0
.LBB31_367:
	s_delay_alu instid0(SALU_CYCLE_1)
	s_and_b32 vcc_lo, exec_lo, s26
	s_cbranch_vccz .LBB31_370
; %bb.368:
	s_cmp_eq_u32 s24, 29
	s_mov_b32 s0, -1
	s_cbranch_scc0 .LBB31_370
; %bb.369:
	s_wait_xcnt 0x0
	v_lshlrev_b32_e32 v4, 16, v1
	s_mov_b32 s25, -1
	s_mov_b32 s0, 0
	s_mov_b32 s26, 0
	s_delay_alu instid0(VALU_DEP_1) | instskip(NEXT) | instid1(VALU_DEP_1)
	v_trunc_f32_e32 v4, v4
	v_mul_f32_e32 v5, 0x2f800000, v4
	s_delay_alu instid0(VALU_DEP_1) | instskip(NEXT) | instid1(VALU_DEP_1)
	v_floor_f32_e32 v5, v5
	v_fmamk_f32 v4, v5, 0xcf800000, v4
	v_cvt_u32_f32_e32 v5, v5
	s_delay_alu instid0(VALU_DEP_2)
	v_cvt_u32_f32_e32 v4, v4
	global_store_b64 v[2:3], v[4:5], off
	s_branch .LBB31_371
.LBB31_370:
	s_mov_b32 s26, 0
.LBB31_371:
	s_delay_alu instid0(SALU_CYCLE_1)
	s_and_b32 vcc_lo, exec_lo, s26
	s_cbranch_vccz .LBB31_387
; %bb.372:
	s_cmp_lt_i32 s24, 27
	s_mov_b32 s25, -1
	s_cbranch_scc1 .LBB31_378
; %bb.373:
	s_cmp_gt_i32 s24, 27
	s_cbranch_scc0 .LBB31_375
; %bb.374:
	s_wait_xcnt 0x0
	v_lshlrev_b32_e32 v4, 16, v1
	s_mov_b32 s25, 0
	s_delay_alu instid0(VALU_DEP_1)
	v_cvt_u32_f32_e32 v4, v4
	global_store_b32 v[2:3], v4, off
.LBB31_375:
	s_and_not1_b32 vcc_lo, exec_lo, s25
	s_cbranch_vccnz .LBB31_377
; %bb.376:
	s_wait_xcnt 0x0
	v_lshlrev_b32_e32 v4, 16, v1
	s_delay_alu instid0(VALU_DEP_1)
	v_cvt_u32_f32_e32 v4, v4
	global_store_b16 v[2:3], v4, off
.LBB31_377:
	s_mov_b32 s25, 0
.LBB31_378:
	s_delay_alu instid0(SALU_CYCLE_1)
	s_and_not1_b32 vcc_lo, exec_lo, s25
	s_cbranch_vccnz .LBB31_386
; %bb.379:
	v_dual_mov_b32 v7, 0x80 :: v_dual_lshlrev_b32 v6, 16, v1
	s_mov_b32 s25, exec_lo
	s_wait_xcnt 0x0
	s_delay_alu instid0(VALU_DEP_1) | instskip(NEXT) | instid1(VALU_DEP_1)
	v_and_b32_e32 v5, 0x7fffffff, v6
	v_cmpx_gt_u32_e32 0x43800000, v5
	s_cbranch_execz .LBB31_385
; %bb.380:
	v_and_b32_e32 v4, 0xffff, v1
	v_cmp_lt_u32_e32 vcc_lo, 0x3bffffff, v5
	s_mov_b32 s26, 0
                                        ; implicit-def: $vgpr5
	s_and_saveexec_b32 s27, vcc_lo
	s_delay_alu instid0(SALU_CYCLE_1)
	s_xor_b32 s27, exec_lo, s27
	s_cbranch_execz .LBB31_575
; %bb.381:
	v_bfe_u32 v5, v4, 4, 1
	s_mov_b32 s26, exec_lo
	s_delay_alu instid0(VALU_DEP_1) | instskip(NEXT) | instid1(VALU_DEP_1)
	v_add3_u32 v5, v6, v5, 0x487ffff
                                        ; implicit-def: $vgpr6
	v_lshrrev_b32_e32 v5, 20, v5
	s_and_not1_saveexec_b32 s27, s27
	s_cbranch_execnz .LBB31_576
.LBB31_382:
	s_or_b32 exec_lo, exec_lo, s27
	v_mov_b32_e32 v7, 0
	s_and_saveexec_b32 s27, s26
.LBB31_383:
	v_lshrrev_b32_e32 v4, 8, v4
	s_delay_alu instid0(VALU_DEP_1)
	v_and_or_b32 v7, 0x80, v4, v5
.LBB31_384:
	s_or_b32 exec_lo, exec_lo, s27
.LBB31_385:
	s_delay_alu instid0(SALU_CYCLE_1)
	s_or_b32 exec_lo, exec_lo, s25
	global_store_b8 v[2:3], v7, off
.LBB31_386:
	s_mov_b32 s25, -1
.LBB31_387:
	s_mov_b32 s26, 0
.LBB31_388:
	s_delay_alu instid0(SALU_CYCLE_1)
	s_and_b32 vcc_lo, exec_lo, s26
	s_cbranch_vccz .LBB31_429
; %bb.389:
	s_cmp_gt_i32 s24, 22
	s_mov_b32 s26, -1
	s_cbranch_scc0 .LBB31_421
; %bb.390:
	s_cmp_lt_i32 s24, 24
	s_mov_b32 s25, -1
	s_cbranch_scc1 .LBB31_410
; %bb.391:
	s_cmp_gt_i32 s24, 24
	s_cbranch_scc0 .LBB31_399
; %bb.392:
	s_wait_xcnt 0x0
	v_dual_mov_b32 v7, 0x80 :: v_dual_lshlrev_b32 v6, 16, v1
	s_mov_b32 s25, exec_lo
	s_delay_alu instid0(VALU_DEP_1) | instskip(NEXT) | instid1(VALU_DEP_1)
	v_and_b32_e32 v5, 0x7fffffff, v6
	v_cmpx_gt_u32_e32 0x47800000, v5
	s_cbranch_execz .LBB31_398
; %bb.393:
	v_and_b32_e32 v4, 0xffff, v1
	v_cmp_lt_u32_e32 vcc_lo, 0x37ffffff, v5
	s_mov_b32 s26, 0
                                        ; implicit-def: $vgpr5
	s_and_saveexec_b32 s27, vcc_lo
	s_delay_alu instid0(SALU_CYCLE_1)
	s_xor_b32 s27, exec_lo, s27
	s_cbranch_execz .LBB31_578
; %bb.394:
	v_bfe_u32 v5, v4, 5, 1
	s_mov_b32 s26, exec_lo
	s_delay_alu instid0(VALU_DEP_1) | instskip(NEXT) | instid1(VALU_DEP_1)
	v_add3_u32 v5, v6, v5, 0x88fffff
                                        ; implicit-def: $vgpr6
	v_lshrrev_b32_e32 v5, 21, v5
	s_and_not1_saveexec_b32 s27, s27
	s_cbranch_execnz .LBB31_579
.LBB31_395:
	s_or_b32 exec_lo, exec_lo, s27
	v_mov_b32_e32 v7, 0
	s_and_saveexec_b32 s27, s26
.LBB31_396:
	v_lshrrev_b32_e32 v4, 8, v4
	s_delay_alu instid0(VALU_DEP_1)
	v_and_or_b32 v7, 0x80, v4, v5
.LBB31_397:
	s_or_b32 exec_lo, exec_lo, s27
.LBB31_398:
	s_delay_alu instid0(SALU_CYCLE_1)
	s_or_b32 exec_lo, exec_lo, s25
	s_mov_b32 s25, 0
	global_store_b8 v[2:3], v7, off
.LBB31_399:
	s_and_b32 vcc_lo, exec_lo, s25
	s_cbranch_vccz .LBB31_409
; %bb.400:
	v_lshlrev_b32_e32 v6, 16, v1
	s_wait_xcnt 0x0
	v_and_b32_e32 v4, 0xffff, v1
	s_mov_b32 s25, exec_lo
                                        ; implicit-def: $vgpr5
	s_delay_alu instid0(VALU_DEP_2) | instskip(NEXT) | instid1(VALU_DEP_1)
	v_and_b32_e32 v7, 0x7fffffff, v6
	v_cmpx_gt_u32_e32 0x43f00000, v7
	s_xor_b32 s25, exec_lo, s25
	s_cbranch_execz .LBB31_406
; %bb.401:
	s_mov_b32 s26, exec_lo
                                        ; implicit-def: $vgpr5
	v_cmpx_lt_u32_e32 0x3c7fffff, v7
	s_xor_b32 s26, exec_lo, s26
; %bb.402:
	v_bfe_u32 v5, v4, 4, 1
	s_delay_alu instid0(VALU_DEP_1) | instskip(NEXT) | instid1(VALU_DEP_1)
	v_add3_u32 v5, v6, v5, 0x407ffff
	v_and_b32_e32 v6, 0xff00000, v5
	v_lshrrev_b32_e32 v5, 20, v5
	s_delay_alu instid0(VALU_DEP_2) | instskip(NEXT) | instid1(VALU_DEP_2)
	v_cmp_ne_u32_e32 vcc_lo, 0x7f00000, v6
                                        ; implicit-def: $vgpr6
	v_cndmask_b32_e32 v5, 0x7e, v5, vcc_lo
; %bb.403:
	s_and_not1_saveexec_b32 s26, s26
; %bb.404:
	v_add_f32_e64 v5, 0x46800000, |v6|
; %bb.405:
	s_or_b32 exec_lo, exec_lo, s26
                                        ; implicit-def: $vgpr7
.LBB31_406:
	s_and_not1_saveexec_b32 s25, s25
; %bb.407:
	v_mov_b32_e32 v5, 0x7f
	v_cmp_lt_u32_e32 vcc_lo, 0x7f800000, v7
	s_delay_alu instid0(VALU_DEP_2)
	v_cndmask_b32_e32 v5, 0x7e, v5, vcc_lo
; %bb.408:
	s_or_b32 exec_lo, exec_lo, s25
	v_lshrrev_b32_e32 v4, 8, v4
	s_delay_alu instid0(VALU_DEP_1)
	v_and_or_b32 v4, 0x80, v4, v5
	global_store_b8 v[2:3], v4, off
.LBB31_409:
	s_mov_b32 s25, 0
.LBB31_410:
	s_delay_alu instid0(SALU_CYCLE_1)
	s_and_not1_b32 vcc_lo, exec_lo, s25
	s_cbranch_vccnz .LBB31_420
; %bb.411:
	v_lshlrev_b32_e32 v6, 16, v1
	s_wait_xcnt 0x0
	v_and_b32_e32 v4, 0xffff, v1
	s_mov_b32 s25, exec_lo
                                        ; implicit-def: $vgpr5
	s_delay_alu instid0(VALU_DEP_2) | instskip(NEXT) | instid1(VALU_DEP_1)
	v_and_b32_e32 v7, 0x7fffffff, v6
	v_cmpx_gt_u32_e32 0x47800000, v7
	s_xor_b32 s25, exec_lo, s25
	s_cbranch_execz .LBB31_417
; %bb.412:
	s_mov_b32 s26, exec_lo
                                        ; implicit-def: $vgpr5
	v_cmpx_lt_u32_e32 0x387fffff, v7
	s_xor_b32 s26, exec_lo, s26
; %bb.413:
	v_bfe_u32 v5, v4, 5, 1
	s_delay_alu instid0(VALU_DEP_1) | instskip(NEXT) | instid1(VALU_DEP_1)
	v_add3_u32 v5, v6, v5, 0x80fffff
                                        ; implicit-def: $vgpr6
	v_lshrrev_b32_e32 v5, 21, v5
; %bb.414:
	s_and_not1_saveexec_b32 s26, s26
; %bb.415:
	v_add_f32_e64 v5, 0x43000000, |v6|
; %bb.416:
	s_or_b32 exec_lo, exec_lo, s26
                                        ; implicit-def: $vgpr7
.LBB31_417:
	s_and_not1_saveexec_b32 s25, s25
; %bb.418:
	v_mov_b32_e32 v5, 0x7f
	v_cmp_lt_u32_e32 vcc_lo, 0x7f800000, v7
	s_delay_alu instid0(VALU_DEP_2)
	v_cndmask_b32_e32 v5, 0x7c, v5, vcc_lo
; %bb.419:
	s_or_b32 exec_lo, exec_lo, s25
	v_lshrrev_b32_e32 v4, 8, v4
	s_delay_alu instid0(VALU_DEP_1)
	v_and_or_b32 v4, 0x80, v4, v5
	global_store_b8 v[2:3], v4, off
.LBB31_420:
	s_mov_b32 s26, 0
	s_mov_b32 s25, -1
.LBB31_421:
	s_and_not1_b32 vcc_lo, exec_lo, s26
	s_cbranch_vccnz .LBB31_429
; %bb.422:
	s_cmp_gt_i32 s24, 14
	s_mov_b32 s26, -1
	s_cbranch_scc0 .LBB31_426
; %bb.423:
	s_cmp_eq_u32 s24, 15
	s_mov_b32 s0, -1
	s_cbranch_scc0 .LBB31_425
; %bb.424:
	s_mov_b32 s25, -1
	s_mov_b32 s0, 0
	global_store_b16 v[2:3], v1, off
.LBB31_425:
	s_mov_b32 s26, 0
.LBB31_426:
	s_delay_alu instid0(SALU_CYCLE_1)
	s_and_b32 vcc_lo, exec_lo, s26
	s_cbranch_vccz .LBB31_429
; %bb.427:
	s_cmp_eq_u32 s24, 11
	s_mov_b32 s0, -1
	s_cbranch_scc0 .LBB31_429
; %bb.428:
	s_wait_xcnt 0x0
	v_and_b32_e32 v4, 0x7fff, v1
	s_mov_b32 s0, 0
	s_mov_b32 s25, -1
	s_delay_alu instid0(VALU_DEP_1)
	v_cmp_ne_u16_e32 vcc_lo, 0, v4
	v_cndmask_b32_e64 v4, 0, 1, vcc_lo
	global_store_b8 v[2:3], v4, off
.LBB31_429:
.LBB31_430:
	s_and_not1_b32 vcc_lo, exec_lo, s25
	s_cbranch_vccnz .LBB31_343
.LBB31_431:
	v_add_nc_u32_e32 v0, 0x80, v0
	s_mov_b32 s23, -1
	s_branch .LBB31_544
.LBB31_432:
	s_mov_b32 s22, -1
                                        ; implicit-def: $vgpr1
.LBB31_433:
	s_mov_b32 s24, 0
.LBB31_434:
	s_delay_alu instid0(SALU_CYCLE_1)
	s_and_b32 vcc_lo, exec_lo, s24
	s_cbranch_vccz .LBB31_438
; %bb.435:
	s_cmp_eq_u32 s0, 29
	s_cbranch_scc0 .LBB31_437
; %bb.436:
	global_load_b64 v[6:7], v[4:5], off
	s_mov_b32 s23, -1
	s_mov_b32 s22, 0
	s_mov_b32 s24, 0
	s_wait_loadcnt 0x0
	v_clz_i32_u32_e32 v1, v7
	s_delay_alu instid0(VALU_DEP_1) | instskip(NEXT) | instid1(VALU_DEP_1)
	v_min_u32_e32 v1, 32, v1
	v_lshlrev_b64_e32 v[6:7], v1, v[6:7]
	v_sub_nc_u32_e32 v1, 32, v1
	s_delay_alu instid0(VALU_DEP_2) | instskip(NEXT) | instid1(VALU_DEP_1)
	v_min_u32_e32 v3, 1, v6
	v_or_b32_e32 v3, v7, v3
	s_delay_alu instid0(VALU_DEP_1) | instskip(NEXT) | instid1(VALU_DEP_1)
	v_cvt_f32_u32_e32 v3, v3
	v_ldexp_f32 v1, v3, v1
	s_delay_alu instid0(VALU_DEP_1) | instskip(NEXT) | instid1(VALU_DEP_1)
	v_bfe_u32 v3, v1, 16, 1
	v_add3_u32 v1, v1, v3, 0x7fff
	s_delay_alu instid0(VALU_DEP_1)
	v_lshrrev_b32_e32 v1, 16, v1
	s_branch .LBB31_439
.LBB31_437:
	s_mov_b32 s22, -1
                                        ; implicit-def: $vgpr1
.LBB31_438:
	s_mov_b32 s24, 0
.LBB31_439:
	s_delay_alu instid0(SALU_CYCLE_1)
	s_and_b32 vcc_lo, exec_lo, s24
	s_cbranch_vccz .LBB31_457
; %bb.440:
	s_cmp_lt_i32 s0, 27
	s_cbranch_scc1 .LBB31_443
; %bb.441:
	s_cmp_gt_i32 s0, 27
	s_cbranch_scc0 .LBB31_444
; %bb.442:
	s_wait_loadcnt 0x0
	global_load_b32 v1, v[4:5], off
	s_mov_b32 s23, 0
	s_wait_loadcnt 0x0
	v_cvt_f32_u32_e32 v1, v1
	s_delay_alu instid0(VALU_DEP_1) | instskip(NEXT) | instid1(VALU_DEP_1)
	v_bfe_u32 v3, v1, 16, 1
	v_add3_u32 v1, v1, v3, 0x7fff
	s_delay_alu instid0(VALU_DEP_1)
	v_lshrrev_b32_e32 v1, 16, v1
	s_branch .LBB31_445
.LBB31_443:
	s_mov_b32 s23, -1
                                        ; implicit-def: $vgpr1
	s_branch .LBB31_448
.LBB31_444:
	s_mov_b32 s23, -1
                                        ; implicit-def: $vgpr1
.LBB31_445:
	s_delay_alu instid0(SALU_CYCLE_1)
	s_and_not1_b32 vcc_lo, exec_lo, s23
	s_cbranch_vccnz .LBB31_447
; %bb.446:
	s_wait_loadcnt 0x0
	global_load_u16 v1, v[4:5], off
	s_wait_loadcnt 0x0
	v_cvt_f32_u32_e32 v1, v1
	s_delay_alu instid0(VALU_DEP_1) | instskip(NEXT) | instid1(VALU_DEP_1)
	v_bfe_u32 v3, v1, 16, 1
	v_add3_u32 v1, v1, v3, 0x7fff
	s_delay_alu instid0(VALU_DEP_1)
	v_lshrrev_b32_e32 v1, 16, v1
.LBB31_447:
	s_mov_b32 s23, 0
.LBB31_448:
	s_delay_alu instid0(SALU_CYCLE_1)
	s_and_not1_b32 vcc_lo, exec_lo, s23
	s_cbranch_vccnz .LBB31_456
; %bb.449:
	s_wait_loadcnt 0x0
	global_load_u8 v1, v[4:5], off
	s_mov_b32 s23, 0
	s_mov_b32 s24, exec_lo
	s_wait_loadcnt 0x0
	v_cmpx_lt_i16_e32 0x7f, v1
	s_xor_b32 s24, exec_lo, s24
	s_cbranch_execz .LBB31_470
; %bb.450:
	s_mov_b32 s23, -1
	s_mov_b32 s25, exec_lo
	v_cmpx_eq_u16_e32 0x80, v1
; %bb.451:
	s_xor_b32 s23, exec_lo, -1
; %bb.452:
	s_or_b32 exec_lo, exec_lo, s25
	s_delay_alu instid0(SALU_CYCLE_1)
	s_and_b32 s23, s23, exec_lo
	s_or_saveexec_b32 s24, s24
	v_mov_b32_e32 v3, 0x7f800001
	s_xor_b32 exec_lo, exec_lo, s24
	s_cbranch_execnz .LBB31_471
.LBB31_453:
	s_or_b32 exec_lo, exec_lo, s24
	s_and_saveexec_b32 s24, s23
	s_cbranch_execz .LBB31_455
.LBB31_454:
	v_and_b32_e32 v3, 0xffff, v1
	s_delay_alu instid0(VALU_DEP_1) | instskip(SKIP_1) | instid1(VALU_DEP_2)
	v_dual_lshlrev_b32 v1, 24, v1 :: v_dual_bitop2_b32 v6, 7, v3 bitop3:0x40
	v_bfe_u32 v9, v3, 3, 4
	v_and_b32_e32 v1, 0x80000000, v1
	s_delay_alu instid0(VALU_DEP_3) | instskip(NEXT) | instid1(VALU_DEP_3)
	v_clz_i32_u32_e32 v7, v6
	v_cmp_eq_u32_e32 vcc_lo, 0, v9
	s_delay_alu instid0(VALU_DEP_2) | instskip(NEXT) | instid1(VALU_DEP_1)
	v_min_u32_e32 v7, 32, v7
	v_subrev_nc_u32_e32 v8, 28, v7
	v_sub_nc_u32_e32 v7, 29, v7
	s_delay_alu instid0(VALU_DEP_2) | instskip(NEXT) | instid1(VALU_DEP_2)
	v_lshlrev_b32_e32 v3, v8, v3
	v_cndmask_b32_e32 v7, v9, v7, vcc_lo
	s_delay_alu instid0(VALU_DEP_2) | instskip(NEXT) | instid1(VALU_DEP_1)
	v_and_b32_e32 v3, 7, v3
	v_cndmask_b32_e32 v3, v6, v3, vcc_lo
	s_delay_alu instid0(VALU_DEP_3) | instskip(NEXT) | instid1(VALU_DEP_2)
	v_lshl_add_u32 v6, v7, 23, 0x3b800000
	v_lshlrev_b32_e32 v3, 20, v3
	s_delay_alu instid0(VALU_DEP_1)
	v_or3_b32 v3, v1, v6, v3
.LBB31_455:
	s_or_b32 exec_lo, exec_lo, s24
	s_delay_alu instid0(VALU_DEP_1) | instskip(SKIP_1) | instid1(VALU_DEP_2)
	v_bfe_u32 v1, v3, 16, 1
	v_cmp_o_f32_e32 vcc_lo, v3, v3
	v_add3_u32 v1, v3, v1, 0x7fff
	s_delay_alu instid0(VALU_DEP_1) | instskip(NEXT) | instid1(VALU_DEP_1)
	v_lshrrev_b32_e32 v1, 16, v1
	v_cndmask_b32_e32 v1, 0x7fc0, v1, vcc_lo
.LBB31_456:
	s_mov_b32 s23, -1
.LBB31_457:
	s_mov_b32 s24, 0
.LBB31_458:
	s_delay_alu instid0(SALU_CYCLE_1)
	s_and_b32 vcc_lo, exec_lo, s24
	s_cbranch_vccz .LBB31_493
; %bb.459:
	s_cmp_gt_i32 s0, 22
	s_cbranch_scc0 .LBB31_469
; %bb.460:
	s_cmp_lt_i32 s0, 24
	s_cbranch_scc1 .LBB31_472
; %bb.461:
	s_cmp_gt_i32 s0, 24
	s_cbranch_scc0 .LBB31_473
; %bb.462:
	s_wait_loadcnt 0x0
	global_load_u8 v1, v[4:5], off
	s_mov_b32 s23, 0
	s_mov_b32 s24, exec_lo
	s_wait_loadcnt 0x0
	v_cmpx_lt_i16_e32 0x7f, v1
	s_xor_b32 s24, exec_lo, s24
	s_cbranch_execz .LBB31_485
; %bb.463:
	s_mov_b32 s23, -1
	s_mov_b32 s25, exec_lo
	v_cmpx_eq_u16_e32 0x80, v1
; %bb.464:
	s_xor_b32 s23, exec_lo, -1
; %bb.465:
	s_or_b32 exec_lo, exec_lo, s25
	s_delay_alu instid0(SALU_CYCLE_1)
	s_and_b32 s23, s23, exec_lo
	s_or_saveexec_b32 s24, s24
	v_mov_b32_e32 v3, 0x7f800001
	s_xor_b32 exec_lo, exec_lo, s24
	s_cbranch_execnz .LBB31_486
.LBB31_466:
	s_or_b32 exec_lo, exec_lo, s24
	s_and_saveexec_b32 s24, s23
	s_cbranch_execz .LBB31_468
.LBB31_467:
	v_and_b32_e32 v3, 0xffff, v1
	s_delay_alu instid0(VALU_DEP_1) | instskip(SKIP_1) | instid1(VALU_DEP_2)
	v_dual_lshlrev_b32 v1, 24, v1 :: v_dual_bitop2_b32 v6, 3, v3 bitop3:0x40
	v_bfe_u32 v9, v3, 2, 5
	v_and_b32_e32 v1, 0x80000000, v1
	s_delay_alu instid0(VALU_DEP_3) | instskip(NEXT) | instid1(VALU_DEP_3)
	v_clz_i32_u32_e32 v7, v6
	v_cmp_eq_u32_e32 vcc_lo, 0, v9
	s_delay_alu instid0(VALU_DEP_2) | instskip(NEXT) | instid1(VALU_DEP_1)
	v_min_u32_e32 v7, 32, v7
	v_subrev_nc_u32_e32 v8, 29, v7
	v_sub_nc_u32_e32 v7, 30, v7
	s_delay_alu instid0(VALU_DEP_2) | instskip(NEXT) | instid1(VALU_DEP_2)
	v_lshlrev_b32_e32 v3, v8, v3
	v_cndmask_b32_e32 v7, v9, v7, vcc_lo
	s_delay_alu instid0(VALU_DEP_2) | instskip(NEXT) | instid1(VALU_DEP_1)
	v_and_b32_e32 v3, 3, v3
	v_cndmask_b32_e32 v3, v6, v3, vcc_lo
	s_delay_alu instid0(VALU_DEP_3) | instskip(NEXT) | instid1(VALU_DEP_2)
	v_lshl_add_u32 v6, v7, 23, 0x37800000
	v_lshlrev_b32_e32 v3, 21, v3
	s_delay_alu instid0(VALU_DEP_1)
	v_or3_b32 v3, v1, v6, v3
.LBB31_468:
	s_or_b32 exec_lo, exec_lo, s24
	s_delay_alu instid0(VALU_DEP_1) | instskip(SKIP_2) | instid1(VALU_DEP_2)
	v_bfe_u32 v1, v3, 16, 1
	v_cmp_o_f32_e32 vcc_lo, v3, v3
	s_mov_b32 s23, 0
	v_add3_u32 v1, v3, v1, 0x7fff
	s_delay_alu instid0(VALU_DEP_1) | instskip(NEXT) | instid1(VALU_DEP_1)
	v_lshrrev_b32_e32 v1, 16, v1
	v_cndmask_b32_e32 v1, 0x7fc0, v1, vcc_lo
	s_branch .LBB31_474
.LBB31_469:
	s_mov_b32 s24, -1
                                        ; implicit-def: $vgpr1
	s_branch .LBB31_480
.LBB31_470:
	s_or_saveexec_b32 s24, s24
	v_mov_b32_e32 v3, 0x7f800001
	s_xor_b32 exec_lo, exec_lo, s24
	s_cbranch_execz .LBB31_453
.LBB31_471:
	v_cmp_ne_u16_e32 vcc_lo, 0, v1
	v_mov_b32_e32 v3, 0
	s_and_not1_b32 s23, s23, exec_lo
	s_and_b32 s25, vcc_lo, exec_lo
	s_delay_alu instid0(SALU_CYCLE_1)
	s_or_b32 s23, s23, s25
	s_or_b32 exec_lo, exec_lo, s24
	s_and_saveexec_b32 s24, s23
	s_cbranch_execnz .LBB31_454
	s_branch .LBB31_455
.LBB31_472:
	s_mov_b32 s23, -1
                                        ; implicit-def: $vgpr1
	s_branch .LBB31_477
.LBB31_473:
	s_mov_b32 s23, -1
                                        ; implicit-def: $vgpr1
.LBB31_474:
	s_delay_alu instid0(SALU_CYCLE_1)
	s_and_b32 vcc_lo, exec_lo, s23
	s_cbranch_vccz .LBB31_476
; %bb.475:
	s_wait_loadcnt 0x0
	global_load_u8 v1, v[4:5], off
	s_wait_loadcnt 0x0
	v_lshlrev_b32_e32 v1, 24, v1
	s_delay_alu instid0(VALU_DEP_1) | instskip(NEXT) | instid1(VALU_DEP_1)
	v_and_b32_e32 v3, 0x7f000000, v1
	v_clz_i32_u32_e32 v6, v3
	v_cmp_ne_u32_e32 vcc_lo, 0, v3
	v_add_nc_u32_e32 v8, 0x1000000, v3
	s_delay_alu instid0(VALU_DEP_3) | instskip(NEXT) | instid1(VALU_DEP_1)
	v_min_u32_e32 v6, 32, v6
	v_sub_nc_u32_e64 v6, v6, 4 clamp
	s_delay_alu instid0(VALU_DEP_1) | instskip(NEXT) | instid1(VALU_DEP_1)
	v_dual_lshlrev_b32 v7, v6, v3 :: v_dual_lshlrev_b32 v6, 23, v6
	v_lshrrev_b32_e32 v7, 4, v7
	s_delay_alu instid0(VALU_DEP_1) | instskip(NEXT) | instid1(VALU_DEP_1)
	v_dual_sub_nc_u32 v6, v7, v6 :: v_dual_ashrrev_i32 v7, 8, v8
	v_add_nc_u32_e32 v6, 0x3c000000, v6
	s_delay_alu instid0(VALU_DEP_1) | instskip(NEXT) | instid1(VALU_DEP_1)
	v_and_or_b32 v6, 0x7f800000, v7, v6
	v_cndmask_b32_e32 v3, 0, v6, vcc_lo
	s_delay_alu instid0(VALU_DEP_1) | instskip(SKIP_1) | instid1(VALU_DEP_2)
	v_and_or_b32 v1, 0x80000000, v1, v3
	v_bfe_u32 v3, v3, 16, 1
	v_cmp_o_f32_e32 vcc_lo, v1, v1
	s_delay_alu instid0(VALU_DEP_2) | instskip(NEXT) | instid1(VALU_DEP_1)
	v_add3_u32 v3, v1, v3, 0x7fff
	v_lshrrev_b32_e32 v3, 16, v3
	s_delay_alu instid0(VALU_DEP_1)
	v_cndmask_b32_e32 v1, 0x7fc0, v3, vcc_lo
.LBB31_476:
	s_mov_b32 s23, 0
.LBB31_477:
	s_delay_alu instid0(SALU_CYCLE_1)
	s_and_not1_b32 vcc_lo, exec_lo, s23
	s_cbranch_vccnz .LBB31_479
; %bb.478:
	s_wait_loadcnt 0x0
	global_load_u8 v1, v[4:5], off
	s_wait_loadcnt 0x0
	v_lshlrev_b32_e32 v3, 25, v1
	v_lshlrev_b16 v1, 8, v1
	s_delay_alu instid0(VALU_DEP_1) | instskip(SKIP_1) | instid1(VALU_DEP_2)
	v_and_or_b32 v7, 0x7f00, v1, 0.5
	v_bfe_i32 v1, v1, 0, 16
	v_add_f32_e32 v7, -0.5, v7
	v_lshrrev_b32_e32 v6, 4, v3
	v_cmp_gt_u32_e32 vcc_lo, 0x8000000, v3
	s_delay_alu instid0(VALU_DEP_2) | instskip(NEXT) | instid1(VALU_DEP_1)
	v_or_b32_e32 v6, 0x70000000, v6
	v_mul_f32_e32 v6, 0x7800000, v6
	s_delay_alu instid0(VALU_DEP_1) | instskip(NEXT) | instid1(VALU_DEP_1)
	v_cndmask_b32_e32 v3, v6, v7, vcc_lo
	v_and_or_b32 v1, 0x80000000, v1, v3
	v_bfe_u32 v3, v3, 16, 1
	s_delay_alu instid0(VALU_DEP_2) | instskip(NEXT) | instid1(VALU_DEP_2)
	v_cmp_o_f32_e32 vcc_lo, v1, v1
	v_add3_u32 v3, v1, v3, 0x7fff
	s_delay_alu instid0(VALU_DEP_1) | instskip(NEXT) | instid1(VALU_DEP_1)
	v_lshrrev_b32_e32 v3, 16, v3
	v_cndmask_b32_e32 v1, 0x7fc0, v3, vcc_lo
.LBB31_479:
	s_mov_b32 s24, 0
	s_mov_b32 s23, -1
.LBB31_480:
	s_and_not1_b32 vcc_lo, exec_lo, s24
	s_cbranch_vccnz .LBB31_493
; %bb.481:
	s_cmp_gt_i32 s0, 14
	s_cbranch_scc0 .LBB31_484
; %bb.482:
	s_cmp_eq_u32 s0, 15
	s_cbranch_scc0 .LBB31_487
; %bb.483:
	s_wait_loadcnt 0x0
	global_load_u16 v1, v[4:5], off
	s_mov_b32 s23, -1
	s_mov_b32 s22, 0
	s_branch .LBB31_488
.LBB31_484:
	s_mov_b32 s24, -1
                                        ; implicit-def: $vgpr1
	s_branch .LBB31_489
.LBB31_485:
	s_or_saveexec_b32 s24, s24
	v_mov_b32_e32 v3, 0x7f800001
	s_xor_b32 exec_lo, exec_lo, s24
	s_cbranch_execz .LBB31_466
.LBB31_486:
	v_cmp_ne_u16_e32 vcc_lo, 0, v1
	v_mov_b32_e32 v3, 0
	s_and_not1_b32 s23, s23, exec_lo
	s_and_b32 s25, vcc_lo, exec_lo
	s_delay_alu instid0(SALU_CYCLE_1)
	s_or_b32 s23, s23, s25
	s_or_b32 exec_lo, exec_lo, s24
	s_and_saveexec_b32 s24, s23
	s_cbranch_execnz .LBB31_467
	s_branch .LBB31_468
.LBB31_487:
	s_mov_b32 s22, -1
                                        ; implicit-def: $vgpr1
.LBB31_488:
	s_mov_b32 s24, 0
.LBB31_489:
	s_delay_alu instid0(SALU_CYCLE_1)
	s_and_b32 vcc_lo, exec_lo, s24
	s_cbranch_vccz .LBB31_493
; %bb.490:
	s_cmp_eq_u32 s0, 11
	s_cbranch_scc0 .LBB31_492
; %bb.491:
	s_wait_loadcnt 0x0
	global_load_u8 v1, v[4:5], off
	s_mov_b32 s22, 0
	s_mov_b32 s23, -1
	s_wait_loadcnt 0x0
	v_cmp_ne_u16_e32 vcc_lo, 0, v1
	v_cndmask_b32_e64 v1, 0, 1.0, vcc_lo
	s_delay_alu instid0(VALU_DEP_1)
	v_lshrrev_b32_e32 v1, 16, v1
	s_branch .LBB31_493
.LBB31_492:
	s_mov_b32 s22, -1
                                        ; implicit-def: $vgpr1
.LBB31_493:
	s_branch .LBB31_296
.LBB31_494:
	s_cmp_lt_i32 s0, 5
	s_cbranch_scc1 .LBB31_499
; %bb.495:
	s_cmp_lt_i32 s0, 8
	s_cbranch_scc1 .LBB31_500
; %bb.496:
	;; [unrolled: 3-line block ×3, first 2 shown]
	s_cmp_gt_i32 s0, 9
	s_cbranch_scc0 .LBB31_502
; %bb.498:
	global_load_b64 v[6:7], v[4:5], off
	s_mov_b32 s23, 0
	s_wait_loadcnt 0x0
	v_cvt_f32_f64_e32 v1, v[6:7]
	s_delay_alu instid0(VALU_DEP_1) | instskip(SKIP_1) | instid1(VALU_DEP_2)
	v_bfe_u32 v3, v1, 16, 1
	v_cmp_o_f32_e32 vcc_lo, v1, v1
	v_add3_u32 v3, v1, v3, 0x7fff
	s_delay_alu instid0(VALU_DEP_1) | instskip(NEXT) | instid1(VALU_DEP_1)
	v_lshrrev_b32_e32 v3, 16, v3
	v_cndmask_b32_e32 v1, 0x7fc0, v3, vcc_lo
	s_branch .LBB31_503
.LBB31_499:
	s_mov_b32 s23, -1
                                        ; implicit-def: $vgpr1
	s_branch .LBB31_521
.LBB31_500:
	s_mov_b32 s23, -1
                                        ; implicit-def: $vgpr1
	s_branch .LBB31_509
.LBB31_501:
	s_mov_b32 s23, -1
                                        ; implicit-def: $vgpr1
	s_branch .LBB31_506
.LBB31_502:
	s_mov_b32 s23, -1
                                        ; implicit-def: $vgpr1
.LBB31_503:
	s_delay_alu instid0(SALU_CYCLE_1)
	s_and_not1_b32 vcc_lo, exec_lo, s23
	s_cbranch_vccnz .LBB31_505
; %bb.504:
	s_wait_loadcnt 0x0
	global_load_b32 v1, v[4:5], off
	s_wait_loadcnt 0x0
	v_bfe_u32 v3, v1, 16, 1
	v_cmp_o_f32_e32 vcc_lo, v1, v1
	s_delay_alu instid0(VALU_DEP_2) | instskip(NEXT) | instid1(VALU_DEP_1)
	v_add3_u32 v3, v1, v3, 0x7fff
	v_lshrrev_b32_e32 v3, 16, v3
	s_delay_alu instid0(VALU_DEP_1)
	v_cndmask_b32_e32 v1, 0x7fc0, v3, vcc_lo
.LBB31_505:
	s_mov_b32 s23, 0
.LBB31_506:
	s_delay_alu instid0(SALU_CYCLE_1)
	s_and_not1_b32 vcc_lo, exec_lo, s23
	s_cbranch_vccnz .LBB31_508
; %bb.507:
	s_wait_loadcnt 0x0
	global_load_b32 v1, v[4:5], off
	s_wait_loadcnt 0x0
	v_cvt_f32_f16_e32 v3, v1
	v_cmp_o_f16_e32 vcc_lo, v1, v1
	s_delay_alu instid0(VALU_DEP_2) | instskip(NEXT) | instid1(VALU_DEP_1)
	v_bfe_u32 v6, v3, 16, 1
	v_add3_u32 v3, v3, v6, 0x7fff
	s_delay_alu instid0(VALU_DEP_1) | instskip(NEXT) | instid1(VALU_DEP_1)
	v_lshrrev_b32_e32 v3, 16, v3
	v_cndmask_b32_e32 v1, 0x7fc0, v3, vcc_lo
.LBB31_508:
	s_mov_b32 s23, 0
.LBB31_509:
	s_delay_alu instid0(SALU_CYCLE_1)
	s_and_not1_b32 vcc_lo, exec_lo, s23
	s_cbranch_vccnz .LBB31_520
; %bb.510:
	s_cmp_lt_i32 s0, 6
	s_cbranch_scc1 .LBB31_513
; %bb.511:
	s_cmp_gt_i32 s0, 6
	s_cbranch_scc0 .LBB31_514
; %bb.512:
	global_load_b64 v[6:7], v[4:5], off
	s_mov_b32 s23, 0
	s_wait_loadcnt 0x0
	v_cvt_f32_f64_e32 v1, v[6:7]
	s_delay_alu instid0(VALU_DEP_1) | instskip(SKIP_1) | instid1(VALU_DEP_2)
	v_bfe_u32 v3, v1, 16, 1
	v_cmp_o_f32_e32 vcc_lo, v1, v1
	v_add3_u32 v3, v1, v3, 0x7fff
	s_delay_alu instid0(VALU_DEP_1) | instskip(NEXT) | instid1(VALU_DEP_1)
	v_lshrrev_b32_e32 v3, 16, v3
	v_cndmask_b32_e32 v1, 0x7fc0, v3, vcc_lo
	s_branch .LBB31_515
.LBB31_513:
	s_mov_b32 s23, -1
                                        ; implicit-def: $vgpr1
	s_branch .LBB31_518
.LBB31_514:
	s_mov_b32 s23, -1
                                        ; implicit-def: $vgpr1
.LBB31_515:
	s_delay_alu instid0(SALU_CYCLE_1)
	s_and_not1_b32 vcc_lo, exec_lo, s23
	s_cbranch_vccnz .LBB31_517
; %bb.516:
	s_wait_loadcnt 0x0
	global_load_b32 v1, v[4:5], off
	s_wait_loadcnt 0x0
	v_bfe_u32 v3, v1, 16, 1
	v_cmp_o_f32_e32 vcc_lo, v1, v1
	s_delay_alu instid0(VALU_DEP_2) | instskip(NEXT) | instid1(VALU_DEP_1)
	v_add3_u32 v3, v1, v3, 0x7fff
	v_lshrrev_b32_e32 v3, 16, v3
	s_delay_alu instid0(VALU_DEP_1)
	v_cndmask_b32_e32 v1, 0x7fc0, v3, vcc_lo
.LBB31_517:
	s_mov_b32 s23, 0
.LBB31_518:
	s_delay_alu instid0(SALU_CYCLE_1)
	s_and_not1_b32 vcc_lo, exec_lo, s23
	s_cbranch_vccnz .LBB31_520
; %bb.519:
	s_wait_loadcnt 0x0
	global_load_u16 v1, v[4:5], off
	s_wait_loadcnt 0x0
	v_cvt_f32_f16_e32 v3, v1
	v_cmp_o_f16_e32 vcc_lo, v1, v1
	s_delay_alu instid0(VALU_DEP_2) | instskip(NEXT) | instid1(VALU_DEP_1)
	v_bfe_u32 v6, v3, 16, 1
	v_add3_u32 v3, v3, v6, 0x7fff
	s_delay_alu instid0(VALU_DEP_1) | instskip(NEXT) | instid1(VALU_DEP_1)
	v_lshrrev_b32_e32 v3, 16, v3
	v_cndmask_b32_e32 v1, 0x7fc0, v3, vcc_lo
.LBB31_520:
	s_mov_b32 s23, 0
.LBB31_521:
	s_delay_alu instid0(SALU_CYCLE_1)
	s_and_not1_b32 vcc_lo, exec_lo, s23
	s_cbranch_vccnz .LBB31_541
; %bb.522:
	s_cmp_lt_i32 s0, 2
	s_cbranch_scc1 .LBB31_526
; %bb.523:
	s_cmp_lt_i32 s0, 3
	s_cbranch_scc1 .LBB31_527
; %bb.524:
	s_cmp_gt_i32 s0, 3
	s_cbranch_scc0 .LBB31_528
; %bb.525:
	global_load_b64 v[6:7], v[4:5], off
	s_mov_b32 s23, 0
	s_wait_loadcnt 0x0
	v_xor_b32_e32 v1, v6, v7
	v_cls_i32_e32 v3, v7
	s_delay_alu instid0(VALU_DEP_2) | instskip(NEXT) | instid1(VALU_DEP_1)
	v_ashrrev_i32_e32 v1, 31, v1
	v_add_nc_u32_e32 v1, 32, v1
	s_delay_alu instid0(VALU_DEP_1) | instskip(NEXT) | instid1(VALU_DEP_1)
	v_add_min_u32_e64 v1, v3, -1, v1
	v_lshlrev_b64_e32 v[6:7], v1, v[6:7]
	v_sub_nc_u32_e32 v1, 32, v1
	s_delay_alu instid0(VALU_DEP_2) | instskip(NEXT) | instid1(VALU_DEP_1)
	v_min_u32_e32 v3, 1, v6
	v_or_b32_e32 v3, v7, v3
	s_delay_alu instid0(VALU_DEP_1) | instskip(NEXT) | instid1(VALU_DEP_1)
	v_cvt_f32_i32_e32 v3, v3
	v_ldexp_f32 v1, v3, v1
	s_delay_alu instid0(VALU_DEP_1) | instskip(NEXT) | instid1(VALU_DEP_1)
	v_bfe_u32 v3, v1, 16, 1
	v_add3_u32 v1, v1, v3, 0x7fff
	s_delay_alu instid0(VALU_DEP_1)
	v_lshrrev_b32_e32 v1, 16, v1
	s_branch .LBB31_529
.LBB31_526:
	s_mov_b32 s23, -1
                                        ; implicit-def: $vgpr1
	s_branch .LBB31_535
.LBB31_527:
	s_mov_b32 s23, -1
                                        ; implicit-def: $vgpr1
	s_branch .LBB31_532
.LBB31_528:
	s_mov_b32 s23, -1
                                        ; implicit-def: $vgpr1
.LBB31_529:
	s_delay_alu instid0(SALU_CYCLE_1)
	s_and_not1_b32 vcc_lo, exec_lo, s23
	s_cbranch_vccnz .LBB31_531
; %bb.530:
	s_wait_loadcnt 0x0
	global_load_b32 v1, v[4:5], off
	s_wait_loadcnt 0x0
	v_cvt_f32_i32_e32 v1, v1
	s_delay_alu instid0(VALU_DEP_1) | instskip(NEXT) | instid1(VALU_DEP_1)
	v_bfe_u32 v3, v1, 16, 1
	v_add3_u32 v1, v1, v3, 0x7fff
	s_delay_alu instid0(VALU_DEP_1)
	v_lshrrev_b32_e32 v1, 16, v1
.LBB31_531:
	s_mov_b32 s23, 0
.LBB31_532:
	s_delay_alu instid0(SALU_CYCLE_1)
	s_and_not1_b32 vcc_lo, exec_lo, s23
	s_cbranch_vccnz .LBB31_534
; %bb.533:
	s_wait_loadcnt 0x0
	global_load_i16 v1, v[4:5], off
	s_wait_loadcnt 0x0
	v_cvt_f32_i32_e32 v1, v1
	s_delay_alu instid0(VALU_DEP_1) | instskip(NEXT) | instid1(VALU_DEP_1)
	v_bfe_u32 v3, v1, 16, 1
	v_add3_u32 v1, v1, v3, 0x7fff
	s_delay_alu instid0(VALU_DEP_1)
	v_lshrrev_b32_e32 v1, 16, v1
.LBB31_534:
	s_mov_b32 s23, 0
.LBB31_535:
	s_delay_alu instid0(SALU_CYCLE_1)
	s_and_not1_b32 vcc_lo, exec_lo, s23
	s_cbranch_vccnz .LBB31_541
; %bb.536:
	s_cmp_gt_i32 s0, 0
	s_mov_b32 s0, 0
	s_cbranch_scc0 .LBB31_538
; %bb.537:
	s_wait_loadcnt 0x0
	global_load_i8 v1, v[4:5], off
	s_wait_loadcnt 0x0
	v_cvt_f32_i32_e32 v1, v1
	s_delay_alu instid0(VALU_DEP_1) | instskip(NEXT) | instid1(VALU_DEP_1)
	v_bfe_u32 v3, v1, 16, 1
	v_add3_u32 v1, v1, v3, 0x7fff
	s_delay_alu instid0(VALU_DEP_1)
	v_lshrrev_b32_e32 v1, 16, v1
	s_branch .LBB31_539
.LBB31_538:
	s_mov_b32 s0, -1
                                        ; implicit-def: $vgpr1
.LBB31_539:
	s_delay_alu instid0(SALU_CYCLE_1)
	s_and_not1_b32 vcc_lo, exec_lo, s0
	s_cbranch_vccnz .LBB31_541
; %bb.540:
	s_wait_loadcnt 0x0
	global_load_u8 v1, v[4:5], off
	s_wait_loadcnt 0x0
	v_cvt_f32_ubyte0_e32 v1, v1
	s_delay_alu instid0(VALU_DEP_1) | instskip(NEXT) | instid1(VALU_DEP_1)
	v_bfe_u32 v3, v1, 16, 1
	v_add3_u32 v1, v1, v3, 0x7fff
	s_delay_alu instid0(VALU_DEP_1)
	v_lshrrev_b32_e32 v1, 16, v1
.LBB31_541:
	s_branch .LBB31_297
.LBB31_542:
	s_mov_b32 s23, 0
	s_mov_b32 s0, s41
.LBB31_543:
                                        ; implicit-def: $vgpr0
.LBB31_544:
	s_and_not1_b32 s24, s41, exec_lo
	s_and_b32 s0, s0, exec_lo
	s_and_not1_b32 s25, s42, exec_lo
	s_and_b32 s22, s22, exec_lo
	s_or_b32 s45, s24, s0
	s_or_b32 s44, s25, s22
	s_or_not1_b32 s0, s23, exec_lo
.LBB31_545:
	s_wait_xcnt 0x0
	s_or_b32 exec_lo, exec_lo, s46
	s_mov_b32 s22, 0
	s_mov_b32 s23, 0
	;; [unrolled: 1-line block ×3, first 2 shown]
                                        ; implicit-def: $vgpr4_vgpr5
                                        ; implicit-def: $vgpr2
                                        ; implicit-def: $vgpr6
	s_and_saveexec_b32 s46, s0
	s_cbranch_execz .LBB31_925
; %bb.546:
	s_mov_b32 s25, -1
	s_mov_b32 s0, s44
	s_mov_b32 s26, s45
	s_mov_b32 s47, exec_lo
	v_cmpx_gt_i32_e64 s38, v0
	s_cbranch_execz .LBB31_822
; %bb.547:
	s_and_not1_b32 vcc_lo, exec_lo, s31
	s_cbranch_vccnz .LBB31_553
; %bb.548:
	s_and_not1_b32 vcc_lo, exec_lo, s40
	s_cbranch_vccnz .LBB31_554
; %bb.549:
	s_add_co_i32 s0, s39, 1
	s_cmp_eq_u32 s29, 2
	s_cbranch_scc1 .LBB31_555
; %bb.550:
	v_dual_mov_b32 v2, 0 :: v_dual_mov_b32 v4, 0
	s_wait_loadcnt 0x0
	v_mov_b32_e32 v1, v0
	s_and_b32 s22, s0, 28
	s_mov_b64 s[24:25], s[2:3]
	s_mov_b64 s[26:27], s[20:21]
.LBB31_551:                             ; =>This Inner Loop Header: Depth=1
	s_clause 0x1
	s_load_b256 s[48:55], s[24:25], 0x4
	s_load_b128 s[64:67], s[24:25], 0x24
	s_load_b256 s[56:63], s[26:27], 0x0
	s_add_co_i32 s23, s23, 4
	s_wait_xcnt 0x0
	s_add_nc_u64 s[24:25], s[24:25], 48
	s_cmp_eq_u32 s22, s23
	s_add_nc_u64 s[26:27], s[26:27], 32
	s_wait_kmcnt 0x0
	v_mul_hi_u32 v3, s49, v1
	s_delay_alu instid0(VALU_DEP_1) | instskip(NEXT) | instid1(VALU_DEP_1)
	v_add_nc_u32_e32 v3, v1, v3
	v_lshrrev_b32_e32 v3, s50, v3
	s_delay_alu instid0(VALU_DEP_1) | instskip(NEXT) | instid1(VALU_DEP_1)
	v_mul_hi_u32 v5, s52, v3
	v_add_nc_u32_e32 v5, v3, v5
	s_delay_alu instid0(VALU_DEP_1) | instskip(NEXT) | instid1(VALU_DEP_1)
	v_lshrrev_b32_e32 v5, s53, v5
	v_mul_hi_u32 v6, s55, v5
	s_delay_alu instid0(VALU_DEP_1) | instskip(SKIP_1) | instid1(VALU_DEP_1)
	v_add_nc_u32_e32 v6, v5, v6
	v_mul_lo_u32 v7, v3, s48
	v_sub_nc_u32_e32 v1, v1, v7
	v_mul_lo_u32 v7, v5, s51
	s_delay_alu instid0(VALU_DEP_4) | instskip(NEXT) | instid1(VALU_DEP_3)
	v_lshrrev_b32_e32 v6, s64, v6
	v_mad_u32 v4, v1, s57, v4
	v_mad_u32 v1, v1, s56, v2
	s_delay_alu instid0(VALU_DEP_4) | instskip(NEXT) | instid1(VALU_DEP_4)
	v_sub_nc_u32_e32 v2, v3, v7
	v_mul_hi_u32 v8, s66, v6
	v_mul_lo_u32 v3, v6, s54
	s_delay_alu instid0(VALU_DEP_3) | instskip(SKIP_1) | instid1(VALU_DEP_3)
	v_mad_u32 v4, v2, s59, v4
	v_mad_u32 v2, v2, s58, v1
	v_dual_add_nc_u32 v7, v6, v8 :: v_dual_sub_nc_u32 v3, v5, v3
	s_delay_alu instid0(VALU_DEP_1) | instskip(NEXT) | instid1(VALU_DEP_2)
	v_lshrrev_b32_e32 v1, s67, v7
	v_mad_u32 v4, v3, s61, v4
	s_delay_alu instid0(VALU_DEP_4) | instskip(NEXT) | instid1(VALU_DEP_3)
	v_mad_u32 v2, v3, s60, v2
	v_mul_lo_u32 v5, v1, s65
	s_delay_alu instid0(VALU_DEP_1) | instskip(NEXT) | instid1(VALU_DEP_1)
	v_sub_nc_u32_e32 v3, v6, v5
	v_mad_u32 v4, v3, s63, v4
	s_delay_alu instid0(VALU_DEP_4)
	v_mad_u32 v2, v3, s62, v2
	s_cbranch_scc0 .LBB31_551
; %bb.552:
	s_delay_alu instid0(VALU_DEP_2)
	v_mov_b32_e32 v3, v4
	s_branch .LBB31_556
.LBB31_553:
	s_mov_b32 s0, -1
                                        ; implicit-def: $vgpr4
                                        ; implicit-def: $vgpr2
	s_branch .LBB31_561
.LBB31_554:
	v_dual_mov_b32 v4, 0 :: v_dual_mov_b32 v2, 0
	s_branch .LBB31_560
.LBB31_555:
	v_mov_b64_e32 v[2:3], 0
	s_wait_loadcnt 0x0
	v_mov_b32_e32 v1, v0
                                        ; implicit-def: $vgpr4
.LBB31_556:
	s_and_b32 s0, s0, 3
	s_mov_b32 s23, 0
	s_cmp_eq_u32 s0, 0
	s_cbranch_scc1 .LBB31_560
; %bb.557:
	s_lshl_b32 s24, s22, 3
	s_mov_b32 s25, s23
	s_mul_u64 s[26:27], s[22:23], 12
	s_add_nc_u64 s[24:25], s[2:3], s[24:25]
	s_delay_alu instid0(SALU_CYCLE_1)
	s_add_nc_u64 s[22:23], s[24:25], 0xc4
	s_add_nc_u64 s[24:25], s[2:3], s[26:27]
.LBB31_558:                             ; =>This Inner Loop Header: Depth=1
	s_load_b96 s[48:50], s[24:25], 0x4
	s_load_b64 s[26:27], s[22:23], 0x0
	s_add_co_i32 s0, s0, -1
	s_wait_xcnt 0x0
	s_add_nc_u64 s[24:25], s[24:25], 12
	s_cmp_lg_u32 s0, 0
	s_add_nc_u64 s[22:23], s[22:23], 8
	s_wait_kmcnt 0x0
	v_mul_hi_u32 v4, s49, v1
	s_delay_alu instid0(VALU_DEP_1) | instskip(NEXT) | instid1(VALU_DEP_1)
	v_add_nc_u32_e32 v4, v1, v4
	v_lshrrev_b32_e32 v4, s50, v4
	s_delay_alu instid0(VALU_DEP_1) | instskip(NEXT) | instid1(VALU_DEP_1)
	v_mul_lo_u32 v5, v4, s48
	v_sub_nc_u32_e32 v1, v1, v5
	s_delay_alu instid0(VALU_DEP_1)
	v_mad_u32 v3, v1, s27, v3
	v_mad_u32 v2, v1, s26, v2
	v_mov_b32_e32 v1, v4
	s_cbranch_scc1 .LBB31_558
; %bb.559:
	s_delay_alu instid0(VALU_DEP_3)
	v_mov_b32_e32 v4, v3
.LBB31_560:
	s_mov_b32 s0, 0
.LBB31_561:
	s_delay_alu instid0(SALU_CYCLE_1)
	s_and_not1_b32 vcc_lo, exec_lo, s0
	s_cbranch_vccnz .LBB31_564
; %bb.562:
	s_wait_loadcnt 0x0
	v_mov_b32_e32 v1, 0
	s_and_not1_b32 vcc_lo, exec_lo, s37
	s_delay_alu instid0(VALU_DEP_1) | instskip(NEXT) | instid1(VALU_DEP_1)
	v_mul_u64_e32 v[2:3], s[16:17], v[0:1]
	v_add_nc_u32_e32 v2, v0, v3
	s_delay_alu instid0(VALU_DEP_1) | instskip(NEXT) | instid1(VALU_DEP_1)
	v_lshrrev_b32_e32 v6, s10, v2
	v_mul_lo_u32 v2, v6, s8
	s_delay_alu instid0(VALU_DEP_1) | instskip(NEXT) | instid1(VALU_DEP_1)
	v_sub_nc_u32_e32 v2, v0, v2
	v_mul_lo_u32 v4, v2, s13
	v_mul_lo_u32 v2, v2, s12
	s_cbranch_vccnz .LBB31_564
; %bb.563:
	v_mov_b32_e32 v7, v1
	s_delay_alu instid0(VALU_DEP_1) | instskip(NEXT) | instid1(VALU_DEP_1)
	v_mul_u64_e32 v[8:9], s[18:19], v[6:7]
	v_add_nc_u32_e32 v1, v6, v9
	s_delay_alu instid0(VALU_DEP_1) | instskip(NEXT) | instid1(VALU_DEP_1)
	v_lshrrev_b32_e32 v1, s1, v1
	v_mul_lo_u32 v1, v1, s11
	s_delay_alu instid0(VALU_DEP_1) | instskip(NEXT) | instid1(VALU_DEP_1)
	v_sub_nc_u32_e32 v1, v6, v1
	v_mad_u32 v2, v1, s14, v2
	v_mad_u32 v4, v1, s15, v4
.LBB31_564:
	v_mov_b32_e32 v5, 0
	s_and_b32 s0, 0xffff, s36
	s_delay_alu instid0(SALU_CYCLE_1) | instskip(NEXT) | instid1(VALU_DEP_1)
	s_cmp_lt_i32 s0, 11
	v_add_nc_u64_e32 v[4:5], s[6:7], v[4:5]
	s_cbranch_scc1 .LBB31_571
; %bb.565:
	s_cmp_gt_i32 s0, 25
	s_cbranch_scc0 .LBB31_572
; %bb.566:
	s_cmp_gt_i32 s0, 28
	s_cbranch_scc0 .LBB31_573
; %bb.567:
	s_cmp_gt_i32 s0, 43
	s_cbranch_scc0 .LBB31_574
; %bb.568:
	s_cmp_gt_i32 s0, 45
	s_cbranch_scc0 .LBB31_577
; %bb.569:
	s_cmp_eq_u32 s0, 46
	s_mov_b32 s24, 0
	s_cbranch_scc0 .LBB31_580
; %bb.570:
	s_wait_loadcnt 0x0
	global_load_b32 v1, v[4:5], off
	s_mov_b32 s23, -1
	s_mov_b32 s22, 0
	s_branch .LBB31_582
.LBB31_571:
	s_mov_b32 s24, -1
	s_mov_b32 s23, 0
	s_mov_b32 s22, s44
                                        ; implicit-def: $vgpr1
	s_branch .LBB31_647
.LBB31_572:
	s_mov_b32 s24, -1
	s_mov_b32 s23, 0
	s_mov_b32 s22, s44
                                        ; implicit-def: $vgpr1
	s_branch .LBB31_611
.LBB31_573:
	s_mov_b32 s24, -1
	s_mov_b32 s23, 0
	s_mov_b32 s22, s44
                                        ; implicit-def: $vgpr1
	s_branch .LBB31_592
.LBB31_574:
	s_mov_b32 s24, -1
	s_mov_b32 s23, 0
	s_mov_b32 s22, s44
                                        ; implicit-def: $vgpr1
	s_branch .LBB31_587
.LBB31_575:
	s_and_not1_saveexec_b32 s27, s27
	s_cbranch_execz .LBB31_382
.LBB31_576:
	v_add_f32_e64 v5, 0x46000000, |v6|
	s_and_not1_b32 s26, s26, exec_lo
	s_delay_alu instid0(VALU_DEP_1) | instskip(NEXT) | instid1(VALU_DEP_1)
	v_and_b32_e32 v5, 0xff, v5
	v_cmp_ne_u32_e32 vcc_lo, 0, v5
	s_and_b32 s44, vcc_lo, exec_lo
	s_delay_alu instid0(SALU_CYCLE_1)
	s_or_b32 s26, s26, s44
	s_or_b32 exec_lo, exec_lo, s27
	v_mov_b32_e32 v7, 0
	s_and_saveexec_b32 s27, s26
	s_cbranch_execnz .LBB31_383
	s_branch .LBB31_384
.LBB31_577:
	s_mov_b32 s24, -1
	s_mov_b32 s23, 0
	s_mov_b32 s22, s44
	s_branch .LBB31_581
.LBB31_578:
	s_and_not1_saveexec_b32 s27, s27
	s_cbranch_execz .LBB31_395
.LBB31_579:
	v_add_f32_e64 v5, 0x42800000, |v6|
	s_and_not1_b32 s26, s26, exec_lo
	s_delay_alu instid0(VALU_DEP_1) | instskip(NEXT) | instid1(VALU_DEP_1)
	v_and_b32_e32 v5, 0xff, v5
	v_cmp_ne_u32_e32 vcc_lo, 0, v5
	s_and_b32 s44, vcc_lo, exec_lo
	s_delay_alu instid0(SALU_CYCLE_1)
	s_or_b32 s26, s26, s44
	s_or_b32 exec_lo, exec_lo, s27
	v_mov_b32_e32 v7, 0
	s_and_saveexec_b32 s27, s26
	s_cbranch_execnz .LBB31_396
	s_branch .LBB31_397
.LBB31_580:
	s_mov_b32 s22, -1
	s_mov_b32 s23, 0
.LBB31_581:
                                        ; implicit-def: $vgpr1
.LBB31_582:
	s_and_b32 vcc_lo, exec_lo, s24
	s_cbranch_vccz .LBB31_586
; %bb.583:
	s_cmp_eq_u32 s0, 44
	s_cbranch_scc0 .LBB31_585
; %bb.584:
	s_wait_loadcnt 0x0
	global_load_u8 v1, v[4:5], off
	s_mov_b32 s22, 0
	s_mov_b32 s23, -1
	s_wait_loadcnt 0x0
	v_lshlrev_b32_e32 v3, 23, v1
	v_cmp_ne_u32_e32 vcc_lo, 0xff, v1
	s_delay_alu instid0(VALU_DEP_2) | instskip(SKIP_1) | instid1(VALU_DEP_2)
	v_cndmask_b32_e32 v3, 0x7f800001, v3, vcc_lo
	v_cmp_ne_u32_e32 vcc_lo, 0, v1
	v_cndmask_b32_e32 v1, 0x400000, v3, vcc_lo
	s_delay_alu instid0(VALU_DEP_1) | instskip(SKIP_1) | instid1(VALU_DEP_2)
	v_add_nc_u32_e32 v3, 0x7fff, v1
	v_cmp_o_f32_e32 vcc_lo, v1, v1
	v_lshrrev_b32_e32 v3, 16, v3
	s_delay_alu instid0(VALU_DEP_1)
	v_cndmask_b32_e32 v1, 0x7fc0, v3, vcc_lo
	s_branch .LBB31_586
.LBB31_585:
	s_mov_b32 s22, -1
                                        ; implicit-def: $vgpr1
.LBB31_586:
	s_mov_b32 s24, 0
.LBB31_587:
	s_delay_alu instid0(SALU_CYCLE_1)
	s_and_b32 vcc_lo, exec_lo, s24
	s_cbranch_vccz .LBB31_591
; %bb.588:
	s_cmp_eq_u32 s0, 29
	s_cbranch_scc0 .LBB31_590
; %bb.589:
	global_load_b64 v[6:7], v[4:5], off
	s_mov_b32 s23, -1
	s_mov_b32 s22, 0
	s_mov_b32 s24, 0
	s_wait_loadcnt 0x0
	v_clz_i32_u32_e32 v1, v7
	s_delay_alu instid0(VALU_DEP_1) | instskip(NEXT) | instid1(VALU_DEP_1)
	v_min_u32_e32 v1, 32, v1
	v_lshlrev_b64_e32 v[6:7], v1, v[6:7]
	v_sub_nc_u32_e32 v1, 32, v1
	s_delay_alu instid0(VALU_DEP_2) | instskip(NEXT) | instid1(VALU_DEP_1)
	v_min_u32_e32 v3, 1, v6
	v_or_b32_e32 v3, v7, v3
	s_delay_alu instid0(VALU_DEP_1) | instskip(NEXT) | instid1(VALU_DEP_1)
	v_cvt_f32_u32_e32 v3, v3
	v_ldexp_f32 v1, v3, v1
	s_delay_alu instid0(VALU_DEP_1) | instskip(NEXT) | instid1(VALU_DEP_1)
	v_bfe_u32 v3, v1, 16, 1
	v_add3_u32 v1, v1, v3, 0x7fff
	s_delay_alu instid0(VALU_DEP_1)
	v_lshrrev_b32_e32 v1, 16, v1
	s_branch .LBB31_592
.LBB31_590:
	s_mov_b32 s22, -1
                                        ; implicit-def: $vgpr1
.LBB31_591:
	s_mov_b32 s24, 0
.LBB31_592:
	s_delay_alu instid0(SALU_CYCLE_1)
	s_and_b32 vcc_lo, exec_lo, s24
	s_cbranch_vccz .LBB31_610
; %bb.593:
	s_cmp_lt_i32 s0, 27
	s_cbranch_scc1 .LBB31_596
; %bb.594:
	s_cmp_gt_i32 s0, 27
	s_cbranch_scc0 .LBB31_597
; %bb.595:
	s_wait_loadcnt 0x0
	global_load_b32 v1, v[4:5], off
	s_mov_b32 s23, 0
	s_wait_loadcnt 0x0
	v_cvt_f32_u32_e32 v1, v1
	s_delay_alu instid0(VALU_DEP_1) | instskip(NEXT) | instid1(VALU_DEP_1)
	v_bfe_u32 v3, v1, 16, 1
	v_add3_u32 v1, v1, v3, 0x7fff
	s_delay_alu instid0(VALU_DEP_1)
	v_lshrrev_b32_e32 v1, 16, v1
	s_branch .LBB31_598
.LBB31_596:
	s_mov_b32 s23, -1
                                        ; implicit-def: $vgpr1
	s_branch .LBB31_601
.LBB31_597:
	s_mov_b32 s23, -1
                                        ; implicit-def: $vgpr1
.LBB31_598:
	s_delay_alu instid0(SALU_CYCLE_1)
	s_and_not1_b32 vcc_lo, exec_lo, s23
	s_cbranch_vccnz .LBB31_600
; %bb.599:
	s_wait_loadcnt 0x0
	global_load_u16 v1, v[4:5], off
	s_wait_loadcnt 0x0
	v_cvt_f32_u32_e32 v1, v1
	s_delay_alu instid0(VALU_DEP_1) | instskip(NEXT) | instid1(VALU_DEP_1)
	v_bfe_u32 v3, v1, 16, 1
	v_add3_u32 v1, v1, v3, 0x7fff
	s_delay_alu instid0(VALU_DEP_1)
	v_lshrrev_b32_e32 v1, 16, v1
.LBB31_600:
	s_mov_b32 s23, 0
.LBB31_601:
	s_delay_alu instid0(SALU_CYCLE_1)
	s_and_not1_b32 vcc_lo, exec_lo, s23
	s_cbranch_vccnz .LBB31_609
; %bb.602:
	s_wait_loadcnt 0x0
	global_load_u8 v1, v[4:5], off
	s_mov_b32 s23, 0
	s_mov_b32 s24, exec_lo
	s_wait_loadcnt 0x0
	v_cmpx_lt_i16_e32 0x7f, v1
	s_xor_b32 s24, exec_lo, s24
	s_cbranch_execz .LBB31_623
; %bb.603:
	s_mov_b32 s23, -1
	s_mov_b32 s25, exec_lo
	v_cmpx_eq_u16_e32 0x80, v1
; %bb.604:
	s_xor_b32 s23, exec_lo, -1
; %bb.605:
	s_or_b32 exec_lo, exec_lo, s25
	s_delay_alu instid0(SALU_CYCLE_1)
	s_and_b32 s23, s23, exec_lo
	s_or_saveexec_b32 s24, s24
	v_mov_b32_e32 v3, 0x7f800001
	s_xor_b32 exec_lo, exec_lo, s24
	s_cbranch_execnz .LBB31_624
.LBB31_606:
	s_or_b32 exec_lo, exec_lo, s24
	s_and_saveexec_b32 s24, s23
	s_cbranch_execz .LBB31_608
.LBB31_607:
	v_and_b32_e32 v3, 0xffff, v1
	s_delay_alu instid0(VALU_DEP_1) | instskip(SKIP_1) | instid1(VALU_DEP_2)
	v_dual_lshlrev_b32 v1, 24, v1 :: v_dual_bitop2_b32 v6, 7, v3 bitop3:0x40
	v_bfe_u32 v9, v3, 3, 4
	v_and_b32_e32 v1, 0x80000000, v1
	s_delay_alu instid0(VALU_DEP_3) | instskip(NEXT) | instid1(VALU_DEP_3)
	v_clz_i32_u32_e32 v7, v6
	v_cmp_eq_u32_e32 vcc_lo, 0, v9
	s_delay_alu instid0(VALU_DEP_2) | instskip(NEXT) | instid1(VALU_DEP_1)
	v_min_u32_e32 v7, 32, v7
	v_subrev_nc_u32_e32 v8, 28, v7
	v_sub_nc_u32_e32 v7, 29, v7
	s_delay_alu instid0(VALU_DEP_2) | instskip(NEXT) | instid1(VALU_DEP_2)
	v_lshlrev_b32_e32 v3, v8, v3
	v_cndmask_b32_e32 v7, v9, v7, vcc_lo
	s_delay_alu instid0(VALU_DEP_2) | instskip(NEXT) | instid1(VALU_DEP_1)
	v_and_b32_e32 v3, 7, v3
	v_cndmask_b32_e32 v3, v6, v3, vcc_lo
	s_delay_alu instid0(VALU_DEP_3) | instskip(NEXT) | instid1(VALU_DEP_2)
	v_lshl_add_u32 v6, v7, 23, 0x3b800000
	v_lshlrev_b32_e32 v3, 20, v3
	s_delay_alu instid0(VALU_DEP_1)
	v_or3_b32 v3, v1, v6, v3
.LBB31_608:
	s_or_b32 exec_lo, exec_lo, s24
	s_delay_alu instid0(VALU_DEP_1) | instskip(SKIP_1) | instid1(VALU_DEP_2)
	v_bfe_u32 v1, v3, 16, 1
	v_cmp_o_f32_e32 vcc_lo, v3, v3
	v_add3_u32 v1, v3, v1, 0x7fff
	s_delay_alu instid0(VALU_DEP_1) | instskip(NEXT) | instid1(VALU_DEP_1)
	v_lshrrev_b32_e32 v1, 16, v1
	v_cndmask_b32_e32 v1, 0x7fc0, v1, vcc_lo
.LBB31_609:
	s_mov_b32 s23, -1
.LBB31_610:
	s_mov_b32 s24, 0
.LBB31_611:
	s_delay_alu instid0(SALU_CYCLE_1)
	s_and_b32 vcc_lo, exec_lo, s24
	s_cbranch_vccz .LBB31_646
; %bb.612:
	s_cmp_gt_i32 s0, 22
	s_cbranch_scc0 .LBB31_622
; %bb.613:
	s_cmp_lt_i32 s0, 24
	s_cbranch_scc1 .LBB31_625
; %bb.614:
	s_cmp_gt_i32 s0, 24
	s_cbranch_scc0 .LBB31_626
; %bb.615:
	s_wait_loadcnt 0x0
	global_load_u8 v1, v[4:5], off
	s_mov_b32 s23, 0
	s_mov_b32 s24, exec_lo
	s_wait_loadcnt 0x0
	v_cmpx_lt_i16_e32 0x7f, v1
	s_xor_b32 s24, exec_lo, s24
	s_cbranch_execz .LBB31_638
; %bb.616:
	s_mov_b32 s23, -1
	s_mov_b32 s25, exec_lo
	v_cmpx_eq_u16_e32 0x80, v1
; %bb.617:
	s_xor_b32 s23, exec_lo, -1
; %bb.618:
	s_or_b32 exec_lo, exec_lo, s25
	s_delay_alu instid0(SALU_CYCLE_1)
	s_and_b32 s23, s23, exec_lo
	s_or_saveexec_b32 s24, s24
	v_mov_b32_e32 v3, 0x7f800001
	s_xor_b32 exec_lo, exec_lo, s24
	s_cbranch_execnz .LBB31_639
.LBB31_619:
	s_or_b32 exec_lo, exec_lo, s24
	s_and_saveexec_b32 s24, s23
	s_cbranch_execz .LBB31_621
.LBB31_620:
	v_and_b32_e32 v3, 0xffff, v1
	s_delay_alu instid0(VALU_DEP_1) | instskip(SKIP_1) | instid1(VALU_DEP_2)
	v_dual_lshlrev_b32 v1, 24, v1 :: v_dual_bitop2_b32 v6, 3, v3 bitop3:0x40
	v_bfe_u32 v9, v3, 2, 5
	v_and_b32_e32 v1, 0x80000000, v1
	s_delay_alu instid0(VALU_DEP_3) | instskip(NEXT) | instid1(VALU_DEP_3)
	v_clz_i32_u32_e32 v7, v6
	v_cmp_eq_u32_e32 vcc_lo, 0, v9
	s_delay_alu instid0(VALU_DEP_2) | instskip(NEXT) | instid1(VALU_DEP_1)
	v_min_u32_e32 v7, 32, v7
	v_subrev_nc_u32_e32 v8, 29, v7
	v_sub_nc_u32_e32 v7, 30, v7
	s_delay_alu instid0(VALU_DEP_2) | instskip(NEXT) | instid1(VALU_DEP_2)
	v_lshlrev_b32_e32 v3, v8, v3
	v_cndmask_b32_e32 v7, v9, v7, vcc_lo
	s_delay_alu instid0(VALU_DEP_2) | instskip(NEXT) | instid1(VALU_DEP_1)
	v_and_b32_e32 v3, 3, v3
	v_cndmask_b32_e32 v3, v6, v3, vcc_lo
	s_delay_alu instid0(VALU_DEP_3) | instskip(NEXT) | instid1(VALU_DEP_2)
	v_lshl_add_u32 v6, v7, 23, 0x37800000
	v_lshlrev_b32_e32 v3, 21, v3
	s_delay_alu instid0(VALU_DEP_1)
	v_or3_b32 v3, v1, v6, v3
.LBB31_621:
	s_or_b32 exec_lo, exec_lo, s24
	s_delay_alu instid0(VALU_DEP_1) | instskip(SKIP_2) | instid1(VALU_DEP_2)
	v_bfe_u32 v1, v3, 16, 1
	v_cmp_o_f32_e32 vcc_lo, v3, v3
	s_mov_b32 s23, 0
	v_add3_u32 v1, v3, v1, 0x7fff
	s_delay_alu instid0(VALU_DEP_1) | instskip(NEXT) | instid1(VALU_DEP_1)
	v_lshrrev_b32_e32 v1, 16, v1
	v_cndmask_b32_e32 v1, 0x7fc0, v1, vcc_lo
	s_branch .LBB31_627
.LBB31_622:
	s_mov_b32 s24, -1
                                        ; implicit-def: $vgpr1
	s_branch .LBB31_633
.LBB31_623:
	s_or_saveexec_b32 s24, s24
	v_mov_b32_e32 v3, 0x7f800001
	s_xor_b32 exec_lo, exec_lo, s24
	s_cbranch_execz .LBB31_606
.LBB31_624:
	v_cmp_ne_u16_e32 vcc_lo, 0, v1
	v_mov_b32_e32 v3, 0
	s_and_not1_b32 s23, s23, exec_lo
	s_and_b32 s25, vcc_lo, exec_lo
	s_delay_alu instid0(SALU_CYCLE_1)
	s_or_b32 s23, s23, s25
	s_or_b32 exec_lo, exec_lo, s24
	s_and_saveexec_b32 s24, s23
	s_cbranch_execnz .LBB31_607
	s_branch .LBB31_608
.LBB31_625:
	s_mov_b32 s23, -1
                                        ; implicit-def: $vgpr1
	s_branch .LBB31_630
.LBB31_626:
	s_mov_b32 s23, -1
                                        ; implicit-def: $vgpr1
.LBB31_627:
	s_delay_alu instid0(SALU_CYCLE_1)
	s_and_b32 vcc_lo, exec_lo, s23
	s_cbranch_vccz .LBB31_629
; %bb.628:
	s_wait_loadcnt 0x0
	global_load_u8 v1, v[4:5], off
	s_wait_loadcnt 0x0
	v_lshlrev_b32_e32 v1, 24, v1
	s_delay_alu instid0(VALU_DEP_1) | instskip(NEXT) | instid1(VALU_DEP_1)
	v_and_b32_e32 v3, 0x7f000000, v1
	v_clz_i32_u32_e32 v6, v3
	v_cmp_ne_u32_e32 vcc_lo, 0, v3
	v_add_nc_u32_e32 v8, 0x1000000, v3
	s_delay_alu instid0(VALU_DEP_3) | instskip(NEXT) | instid1(VALU_DEP_1)
	v_min_u32_e32 v6, 32, v6
	v_sub_nc_u32_e64 v6, v6, 4 clamp
	s_delay_alu instid0(VALU_DEP_1) | instskip(NEXT) | instid1(VALU_DEP_1)
	v_dual_lshlrev_b32 v7, v6, v3 :: v_dual_lshlrev_b32 v6, 23, v6
	v_lshrrev_b32_e32 v7, 4, v7
	s_delay_alu instid0(VALU_DEP_1) | instskip(NEXT) | instid1(VALU_DEP_1)
	v_dual_sub_nc_u32 v6, v7, v6 :: v_dual_ashrrev_i32 v7, 8, v8
	v_add_nc_u32_e32 v6, 0x3c000000, v6
	s_delay_alu instid0(VALU_DEP_1) | instskip(NEXT) | instid1(VALU_DEP_1)
	v_and_or_b32 v6, 0x7f800000, v7, v6
	v_cndmask_b32_e32 v3, 0, v6, vcc_lo
	s_delay_alu instid0(VALU_DEP_1) | instskip(SKIP_1) | instid1(VALU_DEP_2)
	v_and_or_b32 v1, 0x80000000, v1, v3
	v_bfe_u32 v3, v3, 16, 1
	v_cmp_o_f32_e32 vcc_lo, v1, v1
	s_delay_alu instid0(VALU_DEP_2) | instskip(NEXT) | instid1(VALU_DEP_1)
	v_add3_u32 v3, v1, v3, 0x7fff
	v_lshrrev_b32_e32 v3, 16, v3
	s_delay_alu instid0(VALU_DEP_1)
	v_cndmask_b32_e32 v1, 0x7fc0, v3, vcc_lo
.LBB31_629:
	s_mov_b32 s23, 0
.LBB31_630:
	s_delay_alu instid0(SALU_CYCLE_1)
	s_and_not1_b32 vcc_lo, exec_lo, s23
	s_cbranch_vccnz .LBB31_632
; %bb.631:
	s_wait_loadcnt 0x0
	global_load_u8 v1, v[4:5], off
	s_wait_loadcnt 0x0
	v_lshlrev_b32_e32 v3, 25, v1
	v_lshlrev_b16 v1, 8, v1
	s_delay_alu instid0(VALU_DEP_1) | instskip(SKIP_1) | instid1(VALU_DEP_2)
	v_and_or_b32 v7, 0x7f00, v1, 0.5
	v_bfe_i32 v1, v1, 0, 16
	v_add_f32_e32 v7, -0.5, v7
	v_lshrrev_b32_e32 v6, 4, v3
	v_cmp_gt_u32_e32 vcc_lo, 0x8000000, v3
	s_delay_alu instid0(VALU_DEP_2) | instskip(NEXT) | instid1(VALU_DEP_1)
	v_or_b32_e32 v6, 0x70000000, v6
	v_mul_f32_e32 v6, 0x7800000, v6
	s_delay_alu instid0(VALU_DEP_1) | instskip(NEXT) | instid1(VALU_DEP_1)
	v_cndmask_b32_e32 v3, v6, v7, vcc_lo
	v_and_or_b32 v1, 0x80000000, v1, v3
	v_bfe_u32 v3, v3, 16, 1
	s_delay_alu instid0(VALU_DEP_2) | instskip(NEXT) | instid1(VALU_DEP_2)
	v_cmp_o_f32_e32 vcc_lo, v1, v1
	v_add3_u32 v3, v1, v3, 0x7fff
	s_delay_alu instid0(VALU_DEP_1) | instskip(NEXT) | instid1(VALU_DEP_1)
	v_lshrrev_b32_e32 v3, 16, v3
	v_cndmask_b32_e32 v1, 0x7fc0, v3, vcc_lo
.LBB31_632:
	s_mov_b32 s24, 0
	s_mov_b32 s23, -1
.LBB31_633:
	s_and_not1_b32 vcc_lo, exec_lo, s24
	s_cbranch_vccnz .LBB31_646
; %bb.634:
	s_cmp_gt_i32 s0, 14
	s_cbranch_scc0 .LBB31_637
; %bb.635:
	s_cmp_eq_u32 s0, 15
	s_cbranch_scc0 .LBB31_640
; %bb.636:
	s_wait_loadcnt 0x0
	global_load_u16 v1, v[4:5], off
	s_mov_b32 s23, -1
	s_mov_b32 s22, 0
	s_branch .LBB31_641
.LBB31_637:
	s_mov_b32 s24, -1
                                        ; implicit-def: $vgpr1
	s_branch .LBB31_642
.LBB31_638:
	s_or_saveexec_b32 s24, s24
	v_mov_b32_e32 v3, 0x7f800001
	s_xor_b32 exec_lo, exec_lo, s24
	s_cbranch_execz .LBB31_619
.LBB31_639:
	v_cmp_ne_u16_e32 vcc_lo, 0, v1
	v_mov_b32_e32 v3, 0
	s_and_not1_b32 s23, s23, exec_lo
	s_and_b32 s25, vcc_lo, exec_lo
	s_delay_alu instid0(SALU_CYCLE_1)
	s_or_b32 s23, s23, s25
	s_or_b32 exec_lo, exec_lo, s24
	s_and_saveexec_b32 s24, s23
	s_cbranch_execnz .LBB31_620
	s_branch .LBB31_621
.LBB31_640:
	s_mov_b32 s22, -1
                                        ; implicit-def: $vgpr1
.LBB31_641:
	s_mov_b32 s24, 0
.LBB31_642:
	s_delay_alu instid0(SALU_CYCLE_1)
	s_and_b32 vcc_lo, exec_lo, s24
	s_cbranch_vccz .LBB31_646
; %bb.643:
	s_cmp_eq_u32 s0, 11
	s_cbranch_scc0 .LBB31_645
; %bb.644:
	s_wait_loadcnt 0x0
	global_load_u8 v1, v[4:5], off
	s_mov_b32 s22, 0
	s_mov_b32 s23, -1
	s_wait_loadcnt 0x0
	v_cmp_ne_u16_e32 vcc_lo, 0, v1
	v_cndmask_b32_e64 v1, 0, 1.0, vcc_lo
	s_delay_alu instid0(VALU_DEP_1)
	v_lshrrev_b32_e32 v1, 16, v1
	s_branch .LBB31_646
.LBB31_645:
	s_mov_b32 s22, -1
                                        ; implicit-def: $vgpr1
.LBB31_646:
	s_mov_b32 s24, 0
.LBB31_647:
	s_delay_alu instid0(SALU_CYCLE_1)
	s_and_b32 vcc_lo, exec_lo, s24
	s_cbranch_vccz .LBB31_696
; %bb.648:
	s_cmp_lt_i32 s0, 5
	s_cbranch_scc1 .LBB31_653
; %bb.649:
	s_cmp_lt_i32 s0, 8
	s_cbranch_scc1 .LBB31_654
	;; [unrolled: 3-line block ×3, first 2 shown]
; %bb.651:
	s_cmp_gt_i32 s0, 9
	s_cbranch_scc0 .LBB31_656
; %bb.652:
	global_load_b64 v[6:7], v[4:5], off
	s_mov_b32 s23, 0
	s_wait_loadcnt 0x0
	v_cvt_f32_f64_e32 v1, v[6:7]
	s_delay_alu instid0(VALU_DEP_1) | instskip(SKIP_1) | instid1(VALU_DEP_2)
	v_bfe_u32 v3, v1, 16, 1
	v_cmp_o_f32_e32 vcc_lo, v1, v1
	v_add3_u32 v3, v1, v3, 0x7fff
	s_delay_alu instid0(VALU_DEP_1) | instskip(NEXT) | instid1(VALU_DEP_1)
	v_lshrrev_b32_e32 v3, 16, v3
	v_cndmask_b32_e32 v1, 0x7fc0, v3, vcc_lo
	s_branch .LBB31_657
.LBB31_653:
	s_mov_b32 s23, -1
                                        ; implicit-def: $vgpr1
	s_branch .LBB31_675
.LBB31_654:
	s_mov_b32 s23, -1
                                        ; implicit-def: $vgpr1
	s_branch .LBB31_663
.LBB31_655:
	s_mov_b32 s23, -1
                                        ; implicit-def: $vgpr1
	s_branch .LBB31_660
.LBB31_656:
	s_mov_b32 s23, -1
                                        ; implicit-def: $vgpr1
.LBB31_657:
	s_delay_alu instid0(SALU_CYCLE_1)
	s_and_not1_b32 vcc_lo, exec_lo, s23
	s_cbranch_vccnz .LBB31_659
; %bb.658:
	s_wait_loadcnt 0x0
	global_load_b32 v1, v[4:5], off
	s_wait_loadcnt 0x0
	v_bfe_u32 v3, v1, 16, 1
	v_cmp_o_f32_e32 vcc_lo, v1, v1
	s_delay_alu instid0(VALU_DEP_2) | instskip(NEXT) | instid1(VALU_DEP_1)
	v_add3_u32 v3, v1, v3, 0x7fff
	v_lshrrev_b32_e32 v3, 16, v3
	s_delay_alu instid0(VALU_DEP_1)
	v_cndmask_b32_e32 v1, 0x7fc0, v3, vcc_lo
.LBB31_659:
	s_mov_b32 s23, 0
.LBB31_660:
	s_delay_alu instid0(SALU_CYCLE_1)
	s_and_not1_b32 vcc_lo, exec_lo, s23
	s_cbranch_vccnz .LBB31_662
; %bb.661:
	s_wait_loadcnt 0x0
	global_load_b32 v1, v[4:5], off
	s_wait_loadcnt 0x0
	v_cvt_f32_f16_e32 v3, v1
	v_cmp_o_f16_e32 vcc_lo, v1, v1
	s_delay_alu instid0(VALU_DEP_2) | instskip(NEXT) | instid1(VALU_DEP_1)
	v_bfe_u32 v6, v3, 16, 1
	v_add3_u32 v3, v3, v6, 0x7fff
	s_delay_alu instid0(VALU_DEP_1) | instskip(NEXT) | instid1(VALU_DEP_1)
	v_lshrrev_b32_e32 v3, 16, v3
	v_cndmask_b32_e32 v1, 0x7fc0, v3, vcc_lo
.LBB31_662:
	s_mov_b32 s23, 0
.LBB31_663:
	s_delay_alu instid0(SALU_CYCLE_1)
	s_and_not1_b32 vcc_lo, exec_lo, s23
	s_cbranch_vccnz .LBB31_674
; %bb.664:
	s_cmp_lt_i32 s0, 6
	s_cbranch_scc1 .LBB31_667
; %bb.665:
	s_cmp_gt_i32 s0, 6
	s_cbranch_scc0 .LBB31_668
; %bb.666:
	global_load_b64 v[6:7], v[4:5], off
	s_mov_b32 s23, 0
	s_wait_loadcnt 0x0
	v_cvt_f32_f64_e32 v1, v[6:7]
	s_delay_alu instid0(VALU_DEP_1) | instskip(SKIP_1) | instid1(VALU_DEP_2)
	v_bfe_u32 v3, v1, 16, 1
	v_cmp_o_f32_e32 vcc_lo, v1, v1
	v_add3_u32 v3, v1, v3, 0x7fff
	s_delay_alu instid0(VALU_DEP_1) | instskip(NEXT) | instid1(VALU_DEP_1)
	v_lshrrev_b32_e32 v3, 16, v3
	v_cndmask_b32_e32 v1, 0x7fc0, v3, vcc_lo
	s_branch .LBB31_669
.LBB31_667:
	s_mov_b32 s23, -1
                                        ; implicit-def: $vgpr1
	s_branch .LBB31_672
.LBB31_668:
	s_mov_b32 s23, -1
                                        ; implicit-def: $vgpr1
.LBB31_669:
	s_delay_alu instid0(SALU_CYCLE_1)
	s_and_not1_b32 vcc_lo, exec_lo, s23
	s_cbranch_vccnz .LBB31_671
; %bb.670:
	s_wait_loadcnt 0x0
	global_load_b32 v1, v[4:5], off
	s_wait_loadcnt 0x0
	v_bfe_u32 v3, v1, 16, 1
	v_cmp_o_f32_e32 vcc_lo, v1, v1
	s_delay_alu instid0(VALU_DEP_2) | instskip(NEXT) | instid1(VALU_DEP_1)
	v_add3_u32 v3, v1, v3, 0x7fff
	v_lshrrev_b32_e32 v3, 16, v3
	s_delay_alu instid0(VALU_DEP_1)
	v_cndmask_b32_e32 v1, 0x7fc0, v3, vcc_lo
.LBB31_671:
	s_mov_b32 s23, 0
.LBB31_672:
	s_delay_alu instid0(SALU_CYCLE_1)
	s_and_not1_b32 vcc_lo, exec_lo, s23
	s_cbranch_vccnz .LBB31_674
; %bb.673:
	s_wait_loadcnt 0x0
	global_load_u16 v1, v[4:5], off
	s_wait_loadcnt 0x0
	v_cvt_f32_f16_e32 v3, v1
	v_cmp_o_f16_e32 vcc_lo, v1, v1
	s_delay_alu instid0(VALU_DEP_2) | instskip(NEXT) | instid1(VALU_DEP_1)
	v_bfe_u32 v6, v3, 16, 1
	v_add3_u32 v3, v3, v6, 0x7fff
	s_delay_alu instid0(VALU_DEP_1) | instskip(NEXT) | instid1(VALU_DEP_1)
	v_lshrrev_b32_e32 v3, 16, v3
	v_cndmask_b32_e32 v1, 0x7fc0, v3, vcc_lo
.LBB31_674:
	s_mov_b32 s23, 0
.LBB31_675:
	s_delay_alu instid0(SALU_CYCLE_1)
	s_and_not1_b32 vcc_lo, exec_lo, s23
	s_cbranch_vccnz .LBB31_695
; %bb.676:
	s_cmp_lt_i32 s0, 2
	s_cbranch_scc1 .LBB31_680
; %bb.677:
	s_cmp_lt_i32 s0, 3
	s_cbranch_scc1 .LBB31_681
; %bb.678:
	s_cmp_gt_i32 s0, 3
	s_cbranch_scc0 .LBB31_682
; %bb.679:
	global_load_b64 v[6:7], v[4:5], off
	s_mov_b32 s23, 0
	s_wait_loadcnt 0x0
	v_xor_b32_e32 v1, v6, v7
	v_cls_i32_e32 v3, v7
	s_delay_alu instid0(VALU_DEP_2) | instskip(NEXT) | instid1(VALU_DEP_1)
	v_ashrrev_i32_e32 v1, 31, v1
	v_add_nc_u32_e32 v1, 32, v1
	s_delay_alu instid0(VALU_DEP_1) | instskip(NEXT) | instid1(VALU_DEP_1)
	v_add_min_u32_e64 v1, v3, -1, v1
	v_lshlrev_b64_e32 v[6:7], v1, v[6:7]
	v_sub_nc_u32_e32 v1, 32, v1
	s_delay_alu instid0(VALU_DEP_2) | instskip(NEXT) | instid1(VALU_DEP_1)
	v_min_u32_e32 v3, 1, v6
	v_or_b32_e32 v3, v7, v3
	s_delay_alu instid0(VALU_DEP_1) | instskip(NEXT) | instid1(VALU_DEP_1)
	v_cvt_f32_i32_e32 v3, v3
	v_ldexp_f32 v1, v3, v1
	s_delay_alu instid0(VALU_DEP_1) | instskip(NEXT) | instid1(VALU_DEP_1)
	v_bfe_u32 v3, v1, 16, 1
	v_add3_u32 v1, v1, v3, 0x7fff
	s_delay_alu instid0(VALU_DEP_1)
	v_lshrrev_b32_e32 v1, 16, v1
	s_branch .LBB31_683
.LBB31_680:
	s_mov_b32 s23, -1
                                        ; implicit-def: $vgpr1
	s_branch .LBB31_689
.LBB31_681:
	s_mov_b32 s23, -1
                                        ; implicit-def: $vgpr1
	s_branch .LBB31_686
.LBB31_682:
	s_mov_b32 s23, -1
                                        ; implicit-def: $vgpr1
.LBB31_683:
	s_delay_alu instid0(SALU_CYCLE_1)
	s_and_not1_b32 vcc_lo, exec_lo, s23
	s_cbranch_vccnz .LBB31_685
; %bb.684:
	s_wait_loadcnt 0x0
	global_load_b32 v1, v[4:5], off
	s_wait_loadcnt 0x0
	v_cvt_f32_i32_e32 v1, v1
	s_delay_alu instid0(VALU_DEP_1) | instskip(NEXT) | instid1(VALU_DEP_1)
	v_bfe_u32 v3, v1, 16, 1
	v_add3_u32 v1, v1, v3, 0x7fff
	s_delay_alu instid0(VALU_DEP_1)
	v_lshrrev_b32_e32 v1, 16, v1
.LBB31_685:
	s_mov_b32 s23, 0
.LBB31_686:
	s_delay_alu instid0(SALU_CYCLE_1)
	s_and_not1_b32 vcc_lo, exec_lo, s23
	s_cbranch_vccnz .LBB31_688
; %bb.687:
	s_wait_loadcnt 0x0
	global_load_i16 v1, v[4:5], off
	s_wait_loadcnt 0x0
	v_cvt_f32_i32_e32 v1, v1
	s_delay_alu instid0(VALU_DEP_1) | instskip(NEXT) | instid1(VALU_DEP_1)
	v_bfe_u32 v3, v1, 16, 1
	v_add3_u32 v1, v1, v3, 0x7fff
	s_delay_alu instid0(VALU_DEP_1)
	v_lshrrev_b32_e32 v1, 16, v1
.LBB31_688:
	s_mov_b32 s23, 0
.LBB31_689:
	s_delay_alu instid0(SALU_CYCLE_1)
	s_and_not1_b32 vcc_lo, exec_lo, s23
	s_cbranch_vccnz .LBB31_695
; %bb.690:
	s_cmp_gt_i32 s0, 0
	s_mov_b32 s0, 0
	s_cbranch_scc0 .LBB31_692
; %bb.691:
	s_wait_loadcnt 0x0
	global_load_i8 v1, v[4:5], off
	s_wait_loadcnt 0x0
	v_cvt_f32_i32_e32 v1, v1
	s_delay_alu instid0(VALU_DEP_1) | instskip(NEXT) | instid1(VALU_DEP_1)
	v_bfe_u32 v3, v1, 16, 1
	v_add3_u32 v1, v1, v3, 0x7fff
	s_delay_alu instid0(VALU_DEP_1)
	v_lshrrev_b32_e32 v1, 16, v1
	s_branch .LBB31_693
.LBB31_692:
	s_mov_b32 s0, -1
                                        ; implicit-def: $vgpr1
.LBB31_693:
	s_delay_alu instid0(SALU_CYCLE_1)
	s_and_not1_b32 vcc_lo, exec_lo, s0
	s_cbranch_vccnz .LBB31_695
; %bb.694:
	s_wait_loadcnt 0x0
	global_load_u8 v1, v[4:5], off
	s_wait_loadcnt 0x0
	v_cvt_f32_ubyte0_e32 v1, v1
	s_delay_alu instid0(VALU_DEP_1) | instskip(NEXT) | instid1(VALU_DEP_1)
	v_bfe_u32 v3, v1, 16, 1
	v_add3_u32 v1, v1, v3, 0x7fff
	s_delay_alu instid0(VALU_DEP_1)
	v_lshrrev_b32_e32 v1, 16, v1
.LBB31_695:
	s_mov_b32 s23, -1
.LBB31_696:
	s_delay_alu instid0(SALU_CYCLE_1)
	s_and_not1_b32 vcc_lo, exec_lo, s23
	s_cbranch_vccnz .LBB31_704
; %bb.697:
	s_wait_loadcnt 0x0
	v_dual_mov_b32 v3, 0 :: v_dual_lshlrev_b32 v4, 16, v1
	s_and_b32 s23, s34, 0xff
	s_mov_b32 s25, 0
	s_mov_b32 s24, -1
	s_delay_alu instid0(VALU_DEP_1)
	v_cmp_nle_f32_e32 vcc_lo, s9, v4
	v_cmp_nge_f32_e64 s0, s35, v4
	v_add_nc_u64_e32 v[2:3], s[4:5], v[2:3]
	s_or_b32 vcc_lo, s0, vcc_lo
	s_cmp_lt_i32 s23, 11
	v_cndmask_b32_e32 v1, 0, v1, vcc_lo
	s_mov_b32 s0, s45
	s_cbranch_scc1 .LBB31_705
; %bb.698:
	s_and_b32 s24, 0xffff, s23
	s_delay_alu instid0(SALU_CYCLE_1)
	s_cmp_gt_i32 s24, 25
	s_cbranch_scc0 .LBB31_746
; %bb.699:
	s_cmp_gt_i32 s24, 28
	s_cbranch_scc0 .LBB31_747
; %bb.700:
	s_cmp_gt_i32 s24, 43
	s_cbranch_scc0 .LBB31_748
; %bb.701:
	s_cmp_gt_i32 s24, 45
	s_cbranch_scc0 .LBB31_749
; %bb.702:
	s_mov_b32 s26, 0
	s_mov_b32 s0, -1
	s_cmp_eq_u32 s24, 46
	s_cbranch_scc0 .LBB31_750
; %bb.703:
	v_and_b32_e32 v4, 0xffff, v1
	s_mov_b32 s25, -1
	s_mov_b32 s0, 0
	global_store_b32 v[2:3], v4, off
	s_branch .LBB31_750
.LBB31_704:
	s_mov_b32 s23, 0
	s_mov_b32 s0, s45
	s_branch .LBB31_745
.LBB31_705:
	s_and_b32 vcc_lo, exec_lo, s24
	s_cbranch_vccz .LBB31_819
; %bb.706:
	s_and_b32 s23, 0xffff, s23
	s_mov_b32 s24, -1
	s_cmp_lt_i32 s23, 5
	s_cbranch_scc1 .LBB31_727
; %bb.707:
	s_cmp_lt_i32 s23, 8
	s_cbranch_scc1 .LBB31_717
; %bb.708:
	;; [unrolled: 3-line block ×3, first 2 shown]
	s_cmp_gt_i32 s23, 9
	s_cbranch_scc0 .LBB31_711
; %bb.710:
	s_wait_xcnt 0x0
	v_dual_lshlrev_b32 v4, 16, v1 :: v_dual_mov_b32 v6, 0
	s_mov_b32 s24, 0
	s_delay_alu instid0(VALU_DEP_1) | instskip(NEXT) | instid1(VALU_DEP_2)
	v_cvt_f64_f32_e32 v[4:5], v4
	v_mov_b32_e32 v7, v6
	global_store_b128 v[2:3], v[4:7], off
.LBB31_711:
	s_and_not1_b32 vcc_lo, exec_lo, s24
	s_cbranch_vccnz .LBB31_713
; %bb.712:
	s_wait_xcnt 0x0
	v_dual_mov_b32 v5, 0 :: v_dual_lshlrev_b32 v4, 16, v1
	global_store_b64 v[2:3], v[4:5], off
.LBB31_713:
	s_mov_b32 s24, 0
.LBB31_714:
	s_delay_alu instid0(SALU_CYCLE_1)
	s_and_not1_b32 vcc_lo, exec_lo, s24
	s_cbranch_vccnz .LBB31_716
; %bb.715:
	s_wait_xcnt 0x0
	v_lshlrev_b32_e32 v4, 16, v1
	s_delay_alu instid0(VALU_DEP_1) | instskip(NEXT) | instid1(VALU_DEP_1)
	v_cvt_f16_f32_e32 v4, v4
	v_and_b32_e32 v4, 0xffff, v4
	global_store_b32 v[2:3], v4, off
.LBB31_716:
	s_mov_b32 s24, 0
.LBB31_717:
	s_delay_alu instid0(SALU_CYCLE_1)
	s_and_not1_b32 vcc_lo, exec_lo, s24
	s_cbranch_vccnz .LBB31_726
; %bb.718:
	s_cmp_lt_i32 s23, 6
	s_mov_b32 s24, -1
	s_cbranch_scc1 .LBB31_724
; %bb.719:
	s_cmp_gt_i32 s23, 6
	s_cbranch_scc0 .LBB31_721
; %bb.720:
	s_wait_xcnt 0x0
	v_lshlrev_b32_e32 v4, 16, v1
	s_mov_b32 s24, 0
	s_delay_alu instid0(VALU_DEP_1)
	v_cvt_f64_f32_e32 v[4:5], v4
	global_store_b64 v[2:3], v[4:5], off
.LBB31_721:
	s_and_not1_b32 vcc_lo, exec_lo, s24
	s_cbranch_vccnz .LBB31_723
; %bb.722:
	s_wait_xcnt 0x0
	v_lshlrev_b32_e32 v4, 16, v1
	global_store_b32 v[2:3], v4, off
.LBB31_723:
	s_mov_b32 s24, 0
.LBB31_724:
	s_delay_alu instid0(SALU_CYCLE_1)
	s_and_not1_b32 vcc_lo, exec_lo, s24
	s_cbranch_vccnz .LBB31_726
; %bb.725:
	s_wait_xcnt 0x0
	v_lshlrev_b32_e32 v4, 16, v1
	s_delay_alu instid0(VALU_DEP_1)
	v_cvt_f16_f32_e32 v4, v4
	global_store_b16 v[2:3], v4, off
.LBB31_726:
	s_mov_b32 s24, 0
.LBB31_727:
	s_delay_alu instid0(SALU_CYCLE_1)
	s_and_not1_b32 vcc_lo, exec_lo, s24
	s_cbranch_vccnz .LBB31_743
; %bb.728:
	s_cmp_lt_i32 s23, 2
	s_mov_b32 s24, -1
	s_cbranch_scc1 .LBB31_738
; %bb.729:
	s_cmp_lt_i32 s23, 3
	s_cbranch_scc1 .LBB31_735
; %bb.730:
	s_cmp_gt_i32 s23, 3
	s_cbranch_scc0 .LBB31_732
; %bb.731:
	s_wait_xcnt 0x0
	v_lshlrev_b32_e32 v4, 16, v1
	s_mov_b32 s24, 0
	s_delay_alu instid0(VALU_DEP_1) | instskip(NEXT) | instid1(VALU_DEP_1)
	v_trunc_f32_e32 v4, v4
	v_mul_f32_e64 v5, 0x2f800000, |v4|
	s_delay_alu instid0(VALU_DEP_1) | instskip(NEXT) | instid1(VALU_DEP_1)
	v_floor_f32_e32 v5, v5
	v_fma_f32 v6, 0xcf800000, v5, |v4|
	v_ashrrev_i32_e32 v4, 31, v4
	v_cvt_u32_f32_e32 v7, v5
	s_delay_alu instid0(VALU_DEP_3) | instskip(NEXT) | instid1(VALU_DEP_2)
	v_cvt_u32_f32_e32 v6, v6
	v_dual_mov_b32 v5, v4 :: v_dual_bitop2_b32 v7, v7, v4 bitop3:0x14
	s_delay_alu instid0(VALU_DEP_2) | instskip(NEXT) | instid1(VALU_DEP_1)
	v_xor_b32_e32 v6, v6, v4
	v_sub_nc_u64_e32 v[4:5], v[6:7], v[4:5]
	global_store_b64 v[2:3], v[4:5], off
.LBB31_732:
	s_and_not1_b32 vcc_lo, exec_lo, s24
	s_cbranch_vccnz .LBB31_734
; %bb.733:
	s_wait_xcnt 0x0
	v_lshlrev_b32_e32 v4, 16, v1
	s_delay_alu instid0(VALU_DEP_1)
	v_cvt_i32_f32_e32 v4, v4
	global_store_b32 v[2:3], v4, off
.LBB31_734:
	s_mov_b32 s24, 0
.LBB31_735:
	s_delay_alu instid0(SALU_CYCLE_1)
	s_and_not1_b32 vcc_lo, exec_lo, s24
	s_cbranch_vccnz .LBB31_737
; %bb.736:
	s_wait_xcnt 0x0
	v_lshlrev_b32_e32 v4, 16, v1
	s_delay_alu instid0(VALU_DEP_1)
	v_cvt_i32_f32_e32 v4, v4
	global_store_b16 v[2:3], v4, off
.LBB31_737:
	s_mov_b32 s24, 0
.LBB31_738:
	s_delay_alu instid0(SALU_CYCLE_1)
	s_and_not1_b32 vcc_lo, exec_lo, s24
	s_cbranch_vccnz .LBB31_743
; %bb.739:
	s_wait_xcnt 0x0
	v_lshlrev_b32_e32 v1, 16, v1
	s_cmp_gt_i32 s23, 0
	s_mov_b32 s23, -1
	s_cbranch_scc0 .LBB31_741
; %bb.740:
	s_delay_alu instid0(VALU_DEP_1)
	v_cvt_i32_f32_e32 v4, v1
	s_mov_b32 s23, 0
	global_store_b8 v[2:3], v4, off
.LBB31_741:
	s_and_not1_b32 vcc_lo, exec_lo, s23
	s_cbranch_vccnz .LBB31_743
; %bb.742:
	v_trunc_f32_e32 v1, v1
	s_wait_xcnt 0x0
	s_delay_alu instid0(VALU_DEP_1) | instskip(NEXT) | instid1(VALU_DEP_1)
	v_mul_f32_e64 v4, 0x2f800000, |v1|
	v_floor_f32_e32 v4, v4
	s_delay_alu instid0(VALU_DEP_1) | instskip(SKIP_1) | instid1(VALU_DEP_2)
	v_fma_f32 v4, 0xcf800000, v4, |v1|
	v_ashrrev_i32_e32 v1, 31, v1
	v_cvt_u32_f32_e32 v4, v4
	s_delay_alu instid0(VALU_DEP_1) | instskip(NEXT) | instid1(VALU_DEP_1)
	v_xor_b32_e32 v4, v4, v1
	v_sub_nc_u32_e32 v1, v4, v1
	global_store_b8 v[2:3], v1, off
.LBB31_743:
	s_branch .LBB31_820
.LBB31_744:
	s_mov_b32 s23, 0
.LBB31_745:
                                        ; implicit-def: $vgpr0
	s_branch .LBB31_821
.LBB31_746:
	s_mov_b32 s26, -1
	s_mov_b32 s0, s45
	s_branch .LBB31_777
.LBB31_747:
	s_mov_b32 s26, -1
	s_mov_b32 s0, s45
	s_branch .LBB31_760
.LBB31_748:
	s_mov_b32 s26, -1
	s_mov_b32 s0, s45
	s_branch .LBB31_756
.LBB31_749:
	s_mov_b32 s26, -1
	s_mov_b32 s0, s45
.LBB31_750:
	s_and_b32 vcc_lo, exec_lo, s26
	s_cbranch_vccz .LBB31_755
; %bb.751:
	s_cmp_eq_u32 s24, 44
	s_mov_b32 s0, -1
	s_cbranch_scc0 .LBB31_755
; %bb.752:
	s_wait_xcnt 0x0
	v_and_b32_e32 v4, 0xffff, v1
	v_mov_b32_e32 v5, 0xff
	s_mov_b32 s25, exec_lo
	s_delay_alu instid0(VALU_DEP_2) | instskip(NEXT) | instid1(VALU_DEP_1)
	v_bfe_u32 v6, v4, 7, 8
	v_cmpx_ne_u32_e32 0xff, v6
	s_cbranch_execz .LBB31_754
; %bb.753:
	v_dual_lshlrev_b32 v5, 16, v4 :: v_dual_bitop2_b32 v7, 64, v4 bitop3:0x40
	v_lshrrev_b32_e32 v4, 7, v4
	s_delay_alu instid0(VALU_DEP_2) | instskip(NEXT) | instid1(VALU_DEP_3)
	v_and_or_b32 v5, 0x3f0000, v5, v6
	v_cmp_ne_u32_e32 vcc_lo, 0, v7
	s_delay_alu instid0(VALU_DEP_2) | instskip(SKIP_1) | instid1(SALU_CYCLE_1)
	v_cmp_ne_u32_e64 s0, 0, v5
	s_and_b32 s0, vcc_lo, s0
	v_cndmask_b32_e64 v5, 0, 1, s0
	s_delay_alu instid0(VALU_DEP_1)
	v_add_nc_u32_e32 v5, v4, v5
.LBB31_754:
	s_or_b32 exec_lo, exec_lo, s25
	s_mov_b32 s25, -1
	s_mov_b32 s0, 0
	global_store_b8 v[2:3], v5, off
.LBB31_755:
	s_mov_b32 s26, 0
.LBB31_756:
	s_delay_alu instid0(SALU_CYCLE_1)
	s_and_b32 vcc_lo, exec_lo, s26
	s_cbranch_vccz .LBB31_759
; %bb.757:
	s_cmp_eq_u32 s24, 29
	s_mov_b32 s0, -1
	s_cbranch_scc0 .LBB31_759
; %bb.758:
	s_wait_xcnt 0x0
	v_lshlrev_b32_e32 v4, 16, v1
	s_mov_b32 s25, -1
	s_mov_b32 s0, 0
	s_mov_b32 s26, 0
	s_delay_alu instid0(VALU_DEP_1) | instskip(NEXT) | instid1(VALU_DEP_1)
	v_trunc_f32_e32 v4, v4
	v_mul_f32_e32 v5, 0x2f800000, v4
	s_delay_alu instid0(VALU_DEP_1) | instskip(NEXT) | instid1(VALU_DEP_1)
	v_floor_f32_e32 v5, v5
	v_fmamk_f32 v4, v5, 0xcf800000, v4
	v_cvt_u32_f32_e32 v5, v5
	s_delay_alu instid0(VALU_DEP_2)
	v_cvt_u32_f32_e32 v4, v4
	global_store_b64 v[2:3], v[4:5], off
	s_branch .LBB31_760
.LBB31_759:
	s_mov_b32 s26, 0
.LBB31_760:
	s_delay_alu instid0(SALU_CYCLE_1)
	s_and_b32 vcc_lo, exec_lo, s26
	s_cbranch_vccz .LBB31_776
; %bb.761:
	s_cmp_lt_i32 s24, 27
	s_mov_b32 s25, -1
	s_cbranch_scc1 .LBB31_767
; %bb.762:
	s_cmp_gt_i32 s24, 27
	s_cbranch_scc0 .LBB31_764
; %bb.763:
	s_wait_xcnt 0x0
	v_lshlrev_b32_e32 v4, 16, v1
	s_mov_b32 s25, 0
	s_delay_alu instid0(VALU_DEP_1)
	v_cvt_u32_f32_e32 v4, v4
	global_store_b32 v[2:3], v4, off
.LBB31_764:
	s_and_not1_b32 vcc_lo, exec_lo, s25
	s_cbranch_vccnz .LBB31_766
; %bb.765:
	s_wait_xcnt 0x0
	v_lshlrev_b32_e32 v4, 16, v1
	s_delay_alu instid0(VALU_DEP_1)
	v_cvt_u32_f32_e32 v4, v4
	global_store_b16 v[2:3], v4, off
.LBB31_766:
	s_mov_b32 s25, 0
.LBB31_767:
	s_delay_alu instid0(SALU_CYCLE_1)
	s_and_not1_b32 vcc_lo, exec_lo, s25
	s_cbranch_vccnz .LBB31_775
; %bb.768:
	v_dual_mov_b32 v7, 0x80 :: v_dual_lshlrev_b32 v6, 16, v1
	s_mov_b32 s25, exec_lo
	s_wait_xcnt 0x0
	s_delay_alu instid0(VALU_DEP_1) | instskip(NEXT) | instid1(VALU_DEP_1)
	v_and_b32_e32 v5, 0x7fffffff, v6
	v_cmpx_gt_u32_e32 0x43800000, v5
	s_cbranch_execz .LBB31_774
; %bb.769:
	v_and_b32_e32 v4, 0xffff, v1
	v_cmp_lt_u32_e32 vcc_lo, 0x3bffffff, v5
	s_mov_b32 s26, 0
                                        ; implicit-def: $vgpr5
	s_and_saveexec_b32 s27, vcc_lo
	s_delay_alu instid0(SALU_CYCLE_1)
	s_xor_b32 s27, exec_lo, s27
	s_cbranch_execz .LBB31_852
; %bb.770:
	v_bfe_u32 v5, v4, 4, 1
	s_mov_b32 s26, exec_lo
	s_delay_alu instid0(VALU_DEP_1) | instskip(NEXT) | instid1(VALU_DEP_1)
	v_add3_u32 v5, v6, v5, 0x487ffff
                                        ; implicit-def: $vgpr6
	v_lshrrev_b32_e32 v5, 20, v5
	s_and_not1_saveexec_b32 s27, s27
	s_cbranch_execnz .LBB31_853
.LBB31_771:
	s_or_b32 exec_lo, exec_lo, s27
	v_mov_b32_e32 v7, 0
	s_and_saveexec_b32 s27, s26
.LBB31_772:
	v_lshrrev_b32_e32 v4, 8, v4
	s_delay_alu instid0(VALU_DEP_1)
	v_and_or_b32 v7, 0x80, v4, v5
.LBB31_773:
	s_or_b32 exec_lo, exec_lo, s27
.LBB31_774:
	s_delay_alu instid0(SALU_CYCLE_1)
	s_or_b32 exec_lo, exec_lo, s25
	global_store_b8 v[2:3], v7, off
.LBB31_775:
	s_mov_b32 s25, -1
.LBB31_776:
	s_mov_b32 s26, 0
.LBB31_777:
	s_delay_alu instid0(SALU_CYCLE_1)
	s_and_b32 vcc_lo, exec_lo, s26
	s_cbranch_vccz .LBB31_818
; %bb.778:
	s_cmp_gt_i32 s24, 22
	s_mov_b32 s26, -1
	s_cbranch_scc0 .LBB31_810
; %bb.779:
	s_cmp_lt_i32 s24, 24
	s_mov_b32 s25, -1
	s_cbranch_scc1 .LBB31_799
; %bb.780:
	s_cmp_gt_i32 s24, 24
	s_cbranch_scc0 .LBB31_788
; %bb.781:
	s_wait_xcnt 0x0
	v_dual_mov_b32 v7, 0x80 :: v_dual_lshlrev_b32 v6, 16, v1
	s_mov_b32 s25, exec_lo
	s_delay_alu instid0(VALU_DEP_1) | instskip(NEXT) | instid1(VALU_DEP_1)
	v_and_b32_e32 v5, 0x7fffffff, v6
	v_cmpx_gt_u32_e32 0x47800000, v5
	s_cbranch_execz .LBB31_787
; %bb.782:
	v_and_b32_e32 v4, 0xffff, v1
	v_cmp_lt_u32_e32 vcc_lo, 0x37ffffff, v5
	s_mov_b32 s26, 0
                                        ; implicit-def: $vgpr5
	s_and_saveexec_b32 s27, vcc_lo
	s_delay_alu instid0(SALU_CYCLE_1)
	s_xor_b32 s27, exec_lo, s27
	s_cbranch_execz .LBB31_855
; %bb.783:
	v_bfe_u32 v5, v4, 5, 1
	s_mov_b32 s26, exec_lo
	s_delay_alu instid0(VALU_DEP_1) | instskip(NEXT) | instid1(VALU_DEP_1)
	v_add3_u32 v5, v6, v5, 0x88fffff
                                        ; implicit-def: $vgpr6
	v_lshrrev_b32_e32 v5, 21, v5
	s_and_not1_saveexec_b32 s27, s27
	s_cbranch_execnz .LBB31_856
.LBB31_784:
	s_or_b32 exec_lo, exec_lo, s27
	v_mov_b32_e32 v7, 0
	s_and_saveexec_b32 s27, s26
.LBB31_785:
	v_lshrrev_b32_e32 v4, 8, v4
	s_delay_alu instid0(VALU_DEP_1)
	v_and_or_b32 v7, 0x80, v4, v5
.LBB31_786:
	s_or_b32 exec_lo, exec_lo, s27
.LBB31_787:
	s_delay_alu instid0(SALU_CYCLE_1)
	s_or_b32 exec_lo, exec_lo, s25
	s_mov_b32 s25, 0
	global_store_b8 v[2:3], v7, off
.LBB31_788:
	s_and_b32 vcc_lo, exec_lo, s25
	s_cbranch_vccz .LBB31_798
; %bb.789:
	v_lshlrev_b32_e32 v6, 16, v1
	s_wait_xcnt 0x0
	v_and_b32_e32 v4, 0xffff, v1
	s_mov_b32 s25, exec_lo
                                        ; implicit-def: $vgpr5
	s_delay_alu instid0(VALU_DEP_2) | instskip(NEXT) | instid1(VALU_DEP_1)
	v_and_b32_e32 v7, 0x7fffffff, v6
	v_cmpx_gt_u32_e32 0x43f00000, v7
	s_xor_b32 s25, exec_lo, s25
	s_cbranch_execz .LBB31_795
; %bb.790:
	s_mov_b32 s26, exec_lo
                                        ; implicit-def: $vgpr5
	v_cmpx_lt_u32_e32 0x3c7fffff, v7
	s_xor_b32 s26, exec_lo, s26
; %bb.791:
	v_bfe_u32 v5, v4, 4, 1
	s_delay_alu instid0(VALU_DEP_1) | instskip(NEXT) | instid1(VALU_DEP_1)
	v_add3_u32 v5, v6, v5, 0x407ffff
	v_and_b32_e32 v6, 0xff00000, v5
	v_lshrrev_b32_e32 v5, 20, v5
	s_delay_alu instid0(VALU_DEP_2) | instskip(NEXT) | instid1(VALU_DEP_2)
	v_cmp_ne_u32_e32 vcc_lo, 0x7f00000, v6
                                        ; implicit-def: $vgpr6
	v_cndmask_b32_e32 v5, 0x7e, v5, vcc_lo
; %bb.792:
	s_and_not1_saveexec_b32 s26, s26
; %bb.793:
	v_add_f32_e64 v5, 0x46800000, |v6|
; %bb.794:
	s_or_b32 exec_lo, exec_lo, s26
                                        ; implicit-def: $vgpr7
.LBB31_795:
	s_and_not1_saveexec_b32 s25, s25
; %bb.796:
	v_mov_b32_e32 v5, 0x7f
	v_cmp_lt_u32_e32 vcc_lo, 0x7f800000, v7
	s_delay_alu instid0(VALU_DEP_2)
	v_cndmask_b32_e32 v5, 0x7e, v5, vcc_lo
; %bb.797:
	s_or_b32 exec_lo, exec_lo, s25
	v_lshrrev_b32_e32 v4, 8, v4
	s_delay_alu instid0(VALU_DEP_1)
	v_and_or_b32 v4, 0x80, v4, v5
	global_store_b8 v[2:3], v4, off
.LBB31_798:
	s_mov_b32 s25, 0
.LBB31_799:
	s_delay_alu instid0(SALU_CYCLE_1)
	s_and_not1_b32 vcc_lo, exec_lo, s25
	s_cbranch_vccnz .LBB31_809
; %bb.800:
	v_lshlrev_b32_e32 v6, 16, v1
	s_wait_xcnt 0x0
	v_and_b32_e32 v4, 0xffff, v1
	s_mov_b32 s25, exec_lo
                                        ; implicit-def: $vgpr5
	s_delay_alu instid0(VALU_DEP_2) | instskip(NEXT) | instid1(VALU_DEP_1)
	v_and_b32_e32 v7, 0x7fffffff, v6
	v_cmpx_gt_u32_e32 0x47800000, v7
	s_xor_b32 s25, exec_lo, s25
	s_cbranch_execz .LBB31_806
; %bb.801:
	s_mov_b32 s26, exec_lo
                                        ; implicit-def: $vgpr5
	v_cmpx_lt_u32_e32 0x387fffff, v7
	s_xor_b32 s26, exec_lo, s26
; %bb.802:
	v_bfe_u32 v5, v4, 5, 1
	s_delay_alu instid0(VALU_DEP_1) | instskip(NEXT) | instid1(VALU_DEP_1)
	v_add3_u32 v5, v6, v5, 0x80fffff
                                        ; implicit-def: $vgpr6
	v_lshrrev_b32_e32 v5, 21, v5
; %bb.803:
	s_and_not1_saveexec_b32 s26, s26
; %bb.804:
	v_add_f32_e64 v5, 0x43000000, |v6|
; %bb.805:
	s_or_b32 exec_lo, exec_lo, s26
                                        ; implicit-def: $vgpr7
.LBB31_806:
	s_and_not1_saveexec_b32 s25, s25
; %bb.807:
	v_mov_b32_e32 v5, 0x7f
	v_cmp_lt_u32_e32 vcc_lo, 0x7f800000, v7
	s_delay_alu instid0(VALU_DEP_2)
	v_cndmask_b32_e32 v5, 0x7c, v5, vcc_lo
; %bb.808:
	s_or_b32 exec_lo, exec_lo, s25
	v_lshrrev_b32_e32 v4, 8, v4
	s_delay_alu instid0(VALU_DEP_1)
	v_and_or_b32 v4, 0x80, v4, v5
	global_store_b8 v[2:3], v4, off
.LBB31_809:
	s_mov_b32 s26, 0
	s_mov_b32 s25, -1
.LBB31_810:
	s_and_not1_b32 vcc_lo, exec_lo, s26
	s_cbranch_vccnz .LBB31_818
; %bb.811:
	s_cmp_gt_i32 s24, 14
	s_mov_b32 s26, -1
	s_cbranch_scc0 .LBB31_815
; %bb.812:
	s_cmp_eq_u32 s24, 15
	s_mov_b32 s0, -1
	s_cbranch_scc0 .LBB31_814
; %bb.813:
	s_mov_b32 s25, -1
	s_mov_b32 s0, 0
	global_store_b16 v[2:3], v1, off
.LBB31_814:
	s_mov_b32 s26, 0
.LBB31_815:
	s_delay_alu instid0(SALU_CYCLE_1)
	s_and_b32 vcc_lo, exec_lo, s26
	s_cbranch_vccz .LBB31_818
; %bb.816:
	s_cmp_eq_u32 s24, 11
	s_mov_b32 s0, -1
	s_cbranch_scc0 .LBB31_818
; %bb.817:
	s_wait_xcnt 0x0
	v_and_b32_e32 v4, 0x7fff, v1
	s_mov_b32 s0, 0
	s_mov_b32 s25, -1
	s_delay_alu instid0(VALU_DEP_1)
	v_cmp_ne_u16_e32 vcc_lo, 0, v4
	v_cndmask_b32_e64 v4, 0, 1, vcc_lo
	global_store_b8 v[2:3], v4, off
.LBB31_818:
.LBB31_819:
	s_and_not1_b32 vcc_lo, exec_lo, s25
	s_cbranch_vccnz .LBB31_744
.LBB31_820:
	v_add_nc_u32_e32 v0, 0x80, v0
	s_mov_b32 s23, -1
.LBB31_821:
	s_and_not1_b32 s24, s45, exec_lo
	s_and_b32 s0, s0, exec_lo
	s_and_not1_b32 s25, s44, exec_lo
	s_and_b32 s22, s22, exec_lo
	s_or_b32 s26, s24, s0
	s_or_b32 s0, s25, s22
	s_or_not1_b32 s25, s23, exec_lo
.LBB31_822:
	s_wait_xcnt 0x0
	s_or_b32 exec_lo, exec_lo, s47
	s_mov_b32 s22, 0
	s_mov_b32 s23, 0
	;; [unrolled: 1-line block ×3, first 2 shown]
                                        ; implicit-def: $vgpr4_vgpr5
                                        ; implicit-def: $vgpr2
                                        ; implicit-def: $vgpr6
	s_and_saveexec_b32 s27, s25
	s_cbranch_execz .LBB31_924
; %bb.823:
	v_cmp_gt_i32_e32 vcc_lo, s38, v0
	s_mov_b32 s25, s0
                                        ; implicit-def: $vgpr4_vgpr5
                                        ; implicit-def: $vgpr2
                                        ; implicit-def: $vgpr6
	s_and_saveexec_b32 s38, vcc_lo
	s_cbranch_execz .LBB31_923
; %bb.824:
	s_and_not1_b32 vcc_lo, exec_lo, s31
	s_cbranch_vccnz .LBB31_830
; %bb.825:
	s_and_not1_b32 vcc_lo, exec_lo, s40
	s_cbranch_vccnz .LBB31_831
; %bb.826:
	s_add_co_i32 s39, s39, 1
	s_cmp_eq_u32 s29, 2
	s_cbranch_scc1 .LBB31_832
; %bb.827:
	v_dual_mov_b32 v2, 0 :: v_dual_mov_b32 v4, 0
	s_wait_loadcnt 0x0
	v_mov_b32_e32 v1, v0
	s_and_b32 s22, s39, 28
	s_mov_b64 s[24:25], s[2:3]
.LBB31_828:                             ; =>This Inner Loop Header: Depth=1
	s_clause 0x1
	s_load_b256 s[48:55], s[24:25], 0x4
	s_load_b128 s[64:67], s[24:25], 0x24
	s_load_b256 s[56:63], s[20:21], 0x0
	s_add_co_i32 s23, s23, 4
	s_wait_xcnt 0x0
	s_add_nc_u64 s[24:25], s[24:25], 48
	s_cmp_eq_u32 s22, s23
	s_add_nc_u64 s[20:21], s[20:21], 32
	s_wait_kmcnt 0x0
	v_mul_hi_u32 v3, s49, v1
	s_delay_alu instid0(VALU_DEP_1) | instskip(NEXT) | instid1(VALU_DEP_1)
	v_add_nc_u32_e32 v3, v1, v3
	v_lshrrev_b32_e32 v3, s50, v3
	s_delay_alu instid0(VALU_DEP_1) | instskip(NEXT) | instid1(VALU_DEP_1)
	v_mul_hi_u32 v5, s52, v3
	v_add_nc_u32_e32 v5, v3, v5
	s_delay_alu instid0(VALU_DEP_1) | instskip(NEXT) | instid1(VALU_DEP_1)
	v_lshrrev_b32_e32 v5, s53, v5
	v_mul_hi_u32 v6, s55, v5
	s_delay_alu instid0(VALU_DEP_1) | instskip(SKIP_1) | instid1(VALU_DEP_1)
	v_add_nc_u32_e32 v6, v5, v6
	v_mul_lo_u32 v7, v3, s48
	v_sub_nc_u32_e32 v1, v1, v7
	v_mul_lo_u32 v7, v5, s51
	s_delay_alu instid0(VALU_DEP_4) | instskip(NEXT) | instid1(VALU_DEP_3)
	v_lshrrev_b32_e32 v6, s64, v6
	v_mad_u32 v4, v1, s57, v4
	v_mad_u32 v1, v1, s56, v2
	s_delay_alu instid0(VALU_DEP_4) | instskip(NEXT) | instid1(VALU_DEP_4)
	v_sub_nc_u32_e32 v2, v3, v7
	v_mul_hi_u32 v8, s66, v6
	v_mul_lo_u32 v3, v6, s54
	s_delay_alu instid0(VALU_DEP_3) | instskip(SKIP_1) | instid1(VALU_DEP_3)
	v_mad_u32 v4, v2, s59, v4
	v_mad_u32 v2, v2, s58, v1
	v_dual_add_nc_u32 v7, v6, v8 :: v_dual_sub_nc_u32 v3, v5, v3
	s_delay_alu instid0(VALU_DEP_1) | instskip(NEXT) | instid1(VALU_DEP_2)
	v_lshrrev_b32_e32 v1, s67, v7
	v_mad_u32 v4, v3, s61, v4
	s_delay_alu instid0(VALU_DEP_4) | instskip(NEXT) | instid1(VALU_DEP_3)
	v_mad_u32 v2, v3, s60, v2
	v_mul_lo_u32 v5, v1, s65
	s_delay_alu instid0(VALU_DEP_1) | instskip(NEXT) | instid1(VALU_DEP_1)
	v_sub_nc_u32_e32 v3, v6, v5
	v_mad_u32 v4, v3, s63, v4
	s_delay_alu instid0(VALU_DEP_4)
	v_mad_u32 v2, v3, s62, v2
	s_cbranch_scc0 .LBB31_828
; %bb.829:
	s_delay_alu instid0(VALU_DEP_2)
	v_mov_b32_e32 v3, v4
	s_branch .LBB31_833
.LBB31_830:
	s_mov_b32 s20, -1
                                        ; implicit-def: $vgpr4
                                        ; implicit-def: $vgpr2
	s_branch .LBB31_838
.LBB31_831:
	v_dual_mov_b32 v4, 0 :: v_dual_mov_b32 v2, 0
	s_branch .LBB31_837
.LBB31_832:
	v_mov_b64_e32 v[2:3], 0
	s_wait_loadcnt 0x0
	v_mov_b32_e32 v1, v0
                                        ; implicit-def: $vgpr4
.LBB31_833:
	s_and_b32 s24, s39, 3
	s_mov_b32 s23, 0
	s_cmp_eq_u32 s24, 0
	s_cbranch_scc1 .LBB31_837
; %bb.834:
	s_lshl_b32 s20, s22, 3
	s_mov_b32 s21, s23
	s_mul_u64 s[22:23], s[22:23], 12
	s_add_nc_u64 s[20:21], s[2:3], s[20:21]
	s_add_nc_u64 s[22:23], s[2:3], s[22:23]
	s_add_nc_u64 s[20:21], s[20:21], 0xc4
.LBB31_835:                             ; =>This Inner Loop Header: Depth=1
	s_load_b96 s[48:50], s[22:23], 0x4
	s_add_co_i32 s24, s24, -1
	s_wait_xcnt 0x0
	s_add_nc_u64 s[22:23], s[22:23], 12
	s_cmp_lg_u32 s24, 0
	s_wait_kmcnt 0x0
	v_mul_hi_u32 v4, s49, v1
	s_delay_alu instid0(VALU_DEP_1) | instskip(NEXT) | instid1(VALU_DEP_1)
	v_add_nc_u32_e32 v4, v1, v4
	v_lshrrev_b32_e32 v4, s50, v4
	s_load_b64 s[50:51], s[20:21], 0x0
	s_wait_xcnt 0x0
	s_add_nc_u64 s[20:21], s[20:21], 8
	s_delay_alu instid0(VALU_DEP_1) | instskip(NEXT) | instid1(VALU_DEP_1)
	v_mul_lo_u32 v5, v4, s48
	v_sub_nc_u32_e32 v1, v1, v5
	s_wait_kmcnt 0x0
	s_delay_alu instid0(VALU_DEP_1)
	v_mad_u32 v3, v1, s51, v3
	v_mad_u32 v2, v1, s50, v2
	v_mov_b32_e32 v1, v4
	s_cbranch_scc1 .LBB31_835
; %bb.836:
	s_delay_alu instid0(VALU_DEP_3)
	v_mov_b32_e32 v4, v3
.LBB31_837:
	s_mov_b32 s20, 0
.LBB31_838:
	s_delay_alu instid0(SALU_CYCLE_1)
	s_and_not1_b32 vcc_lo, exec_lo, s20
	s_cbranch_vccnz .LBB31_841
; %bb.839:
	s_wait_loadcnt 0x0
	v_mov_b32_e32 v1, 0
	s_and_not1_b32 vcc_lo, exec_lo, s37
	s_delay_alu instid0(VALU_DEP_1) | instskip(NEXT) | instid1(VALU_DEP_1)
	v_mul_u64_e32 v[2:3], s[16:17], v[0:1]
	v_add_nc_u32_e32 v2, v0, v3
	s_delay_alu instid0(VALU_DEP_1) | instskip(NEXT) | instid1(VALU_DEP_1)
	v_lshrrev_b32_e32 v6, s10, v2
	v_mul_lo_u32 v2, v6, s8
	s_delay_alu instid0(VALU_DEP_1) | instskip(NEXT) | instid1(VALU_DEP_1)
	v_sub_nc_u32_e32 v0, v0, v2
	v_mul_lo_u32 v4, v0, s13
	v_mul_lo_u32 v2, v0, s12
	s_cbranch_vccnz .LBB31_841
; %bb.840:
	v_mov_b32_e32 v7, v1
	s_delay_alu instid0(VALU_DEP_1) | instskip(NEXT) | instid1(VALU_DEP_1)
	v_mul_u64_e32 v[0:1], s[18:19], v[6:7]
	v_add_nc_u32_e32 v0, v6, v1
	s_delay_alu instid0(VALU_DEP_1) | instskip(NEXT) | instid1(VALU_DEP_1)
	v_lshrrev_b32_e32 v0, s1, v0
	v_mul_lo_u32 v0, v0, s11
	s_delay_alu instid0(VALU_DEP_1) | instskip(NEXT) | instid1(VALU_DEP_1)
	v_sub_nc_u32_e32 v0, v6, v0
	v_mad_u32 v2, v0, s14, v2
	v_mad_u32 v4, v0, s15, v4
.LBB31_841:
	v_mov_b32_e32 v5, 0
	s_and_b32 s1, 0xffff, s36
	s_delay_alu instid0(SALU_CYCLE_1) | instskip(NEXT) | instid1(VALU_DEP_1)
	s_cmp_lt_i32 s1, 11
	v_add_nc_u64_e32 v[4:5], s[6:7], v[4:5]
	s_cbranch_scc1 .LBB31_848
; %bb.842:
	s_cmp_gt_i32 s1, 25
	s_mov_b32 s7, 0
	s_cbranch_scc0 .LBB31_849
; %bb.843:
	s_cmp_gt_i32 s1, 28
	s_cbranch_scc0 .LBB31_850
; %bb.844:
	s_cmp_gt_i32 s1, 43
	;; [unrolled: 3-line block ×3, first 2 shown]
	s_cbranch_scc0 .LBB31_854
; %bb.846:
	s_cmp_eq_u32 s1, 46
	s_mov_b32 s10, 0
	s_cbranch_scc0 .LBB31_857
; %bb.847:
	global_load_b32 v6, v[4:5], off
	s_mov_b32 s6, 0
	s_mov_b32 s8, -1
	s_branch .LBB31_859
.LBB31_848:
	s_mov_b32 s1, -1
	s_mov_b32 s8, 0
	s_mov_b32 s7, 0
	;; [unrolled: 1-line block ×3, first 2 shown]
                                        ; implicit-def: $vgpr6
	s_branch .LBB31_922
.LBB31_849:
	s_mov_b32 s10, -1
	s_mov_b32 s8, 0
	s_mov_b32 s6, s0
                                        ; implicit-def: $vgpr6
	s_branch .LBB31_888
.LBB31_850:
	s_mov_b32 s10, -1
	s_mov_b32 s8, 0
	s_mov_b32 s6, s0
                                        ; implicit-def: $vgpr6
	s_branch .LBB31_869
.LBB31_851:
	s_mov_b32 s10, -1
	s_mov_b32 s8, 0
	s_mov_b32 s6, s0
                                        ; implicit-def: $vgpr6
	s_branch .LBB31_864
.LBB31_852:
	s_and_not1_saveexec_b32 s27, s27
	s_cbranch_execz .LBB31_771
.LBB31_853:
	v_add_f32_e64 v5, 0x46000000, |v6|
	s_and_not1_b32 s26, s26, exec_lo
	s_delay_alu instid0(VALU_DEP_1) | instskip(NEXT) | instid1(VALU_DEP_1)
	v_and_b32_e32 v5, 0xff, v5
	v_cmp_ne_u32_e32 vcc_lo, 0, v5
	s_and_b32 s48, vcc_lo, exec_lo
	s_delay_alu instid0(SALU_CYCLE_1)
	s_or_b32 s26, s26, s48
	s_or_b32 exec_lo, exec_lo, s27
	v_mov_b32_e32 v7, 0
	s_and_saveexec_b32 s27, s26
	s_cbranch_execnz .LBB31_772
	s_branch .LBB31_773
.LBB31_854:
	s_mov_b32 s10, -1
	s_mov_b32 s8, 0
	s_mov_b32 s6, s0
	s_branch .LBB31_858
.LBB31_855:
	s_and_not1_saveexec_b32 s27, s27
	s_cbranch_execz .LBB31_784
.LBB31_856:
	v_add_f32_e64 v5, 0x42800000, |v6|
	s_and_not1_b32 s26, s26, exec_lo
	s_delay_alu instid0(VALU_DEP_1) | instskip(NEXT) | instid1(VALU_DEP_1)
	v_and_b32_e32 v5, 0xff, v5
	v_cmp_ne_u32_e32 vcc_lo, 0, v5
	s_and_b32 s48, vcc_lo, exec_lo
	s_delay_alu instid0(SALU_CYCLE_1)
	s_or_b32 s26, s26, s48
	s_or_b32 exec_lo, exec_lo, s27
	v_mov_b32_e32 v7, 0
	s_and_saveexec_b32 s27, s26
	s_cbranch_execnz .LBB31_785
	s_branch .LBB31_786
.LBB31_857:
	s_mov_b32 s6, -1
	s_mov_b32 s8, 0
.LBB31_858:
                                        ; implicit-def: $vgpr6
.LBB31_859:
	s_and_b32 vcc_lo, exec_lo, s10
	s_cbranch_vccz .LBB31_863
; %bb.860:
	s_cmp_eq_u32 s1, 44
	s_cbranch_scc0 .LBB31_862
; %bb.861:
	global_load_u8 v0, v[4:5], off
	s_mov_b32 s6, 0
	s_mov_b32 s8, -1
	s_wait_loadcnt 0x0
	v_lshlrev_b32_e32 v1, 23, v0
	v_cmp_ne_u32_e32 vcc_lo, 0xff, v0
	s_delay_alu instid0(VALU_DEP_2) | instskip(SKIP_1) | instid1(VALU_DEP_2)
	v_cndmask_b32_e32 v1, 0x7f800001, v1, vcc_lo
	v_cmp_ne_u32_e32 vcc_lo, 0, v0
	v_cndmask_b32_e32 v0, 0x400000, v1, vcc_lo
	s_delay_alu instid0(VALU_DEP_1) | instskip(NEXT) | instid1(VALU_DEP_1)
	v_add_nc_u32_e32 v1, 0x7fff, v0
	v_lshrrev_b32_e32 v1, 16, v1
	v_cmp_o_f32_e32 vcc_lo, v0, v0
	s_delay_alu instid0(VALU_DEP_2)
	v_cndmask_b32_e32 v6, 0x7fc0, v1, vcc_lo
	s_branch .LBB31_863
.LBB31_862:
	s_mov_b32 s6, -1
                                        ; implicit-def: $vgpr6
.LBB31_863:
	s_mov_b32 s10, 0
.LBB31_864:
	s_delay_alu instid0(SALU_CYCLE_1)
	s_and_b32 vcc_lo, exec_lo, s10
	s_cbranch_vccz .LBB31_868
; %bb.865:
	s_cmp_eq_u32 s1, 29
	s_cbranch_scc0 .LBB31_867
; %bb.866:
	s_wait_loadcnt 0x0
	global_load_b64 v[0:1], v[4:5], off
	s_mov_b32 s6, 0
	s_mov_b32 s8, -1
	s_mov_b32 s10, 0
	s_wait_loadcnt 0x0
	v_clz_i32_u32_e32 v3, v1
	s_delay_alu instid0(VALU_DEP_1) | instskip(NEXT) | instid1(VALU_DEP_1)
	v_min_u32_e32 v3, 32, v3
	v_lshlrev_b64_e32 v[0:1], v3, v[0:1]
	s_delay_alu instid0(VALU_DEP_1) | instskip(NEXT) | instid1(VALU_DEP_1)
	v_min_u32_e32 v0, 1, v0
	v_dual_sub_nc_u32 v1, 32, v3 :: v_dual_bitop2_b32 v0, v1, v0 bitop3:0x54
	s_delay_alu instid0(VALU_DEP_1) | instskip(NEXT) | instid1(VALU_DEP_1)
	v_cvt_f32_u32_e32 v0, v0
	v_ldexp_f32 v0, v0, v1
	s_delay_alu instid0(VALU_DEP_1) | instskip(NEXT) | instid1(VALU_DEP_1)
	v_bfe_u32 v1, v0, 16, 1
	v_add3_u32 v0, v0, v1, 0x7fff
	s_delay_alu instid0(VALU_DEP_1)
	v_lshrrev_b32_e32 v6, 16, v0
	s_branch .LBB31_869
.LBB31_867:
	s_mov_b32 s6, -1
                                        ; implicit-def: $vgpr6
.LBB31_868:
	s_mov_b32 s10, 0
.LBB31_869:
	s_delay_alu instid0(SALU_CYCLE_1)
	s_and_b32 vcc_lo, exec_lo, s10
	s_cbranch_vccz .LBB31_887
; %bb.870:
	s_cmp_lt_i32 s1, 27
	s_cbranch_scc1 .LBB31_873
; %bb.871:
	s_cmp_gt_i32 s1, 27
	s_cbranch_scc0 .LBB31_874
; %bb.872:
	global_load_b32 v0, v[4:5], off
	s_mov_b32 s8, 0
	s_wait_loadcnt 0x0
	v_cvt_f32_u32_e32 v0, v0
	s_delay_alu instid0(VALU_DEP_1) | instskip(NEXT) | instid1(VALU_DEP_1)
	v_bfe_u32 v1, v0, 16, 1
	v_add3_u32 v0, v0, v1, 0x7fff
	s_delay_alu instid0(VALU_DEP_1)
	v_lshrrev_b32_e32 v6, 16, v0
	s_branch .LBB31_875
.LBB31_873:
	s_mov_b32 s8, -1
                                        ; implicit-def: $vgpr6
	s_branch .LBB31_878
.LBB31_874:
	s_mov_b32 s8, -1
                                        ; implicit-def: $vgpr6
.LBB31_875:
	s_delay_alu instid0(SALU_CYCLE_1)
	s_and_not1_b32 vcc_lo, exec_lo, s8
	s_cbranch_vccnz .LBB31_877
; %bb.876:
	global_load_u16 v0, v[4:5], off
	s_wait_loadcnt 0x0
	v_cvt_f32_u32_e32 v0, v0
	s_delay_alu instid0(VALU_DEP_1) | instskip(NEXT) | instid1(VALU_DEP_1)
	v_bfe_u32 v1, v0, 16, 1
	v_add3_u32 v0, v0, v1, 0x7fff
	s_delay_alu instid0(VALU_DEP_1)
	v_lshrrev_b32_e32 v6, 16, v0
.LBB31_877:
	s_mov_b32 s8, 0
.LBB31_878:
	s_delay_alu instid0(SALU_CYCLE_1)
	s_and_not1_b32 vcc_lo, exec_lo, s8
	s_cbranch_vccnz .LBB31_886
; %bb.879:
	global_load_u8 v0, v[4:5], off
	s_mov_b32 s8, 0
	s_mov_b32 s10, exec_lo
	s_wait_loadcnt 0x0
	v_cmpx_lt_i16_e32 0x7f, v0
	s_xor_b32 s10, exec_lo, s10
	s_cbranch_execz .LBB31_900
; %bb.880:
	s_mov_b32 s8, -1
	s_mov_b32 s11, exec_lo
	v_cmpx_eq_u16_e32 0x80, v0
; %bb.881:
	s_xor_b32 s8, exec_lo, -1
; %bb.882:
	s_or_b32 exec_lo, exec_lo, s11
	s_delay_alu instid0(SALU_CYCLE_1)
	s_and_b32 s8, s8, exec_lo
	s_or_saveexec_b32 s10, s10
	v_mov_b32_e32 v1, 0x7f800001
	s_xor_b32 exec_lo, exec_lo, s10
	s_cbranch_execnz .LBB31_901
.LBB31_883:
	s_or_b32 exec_lo, exec_lo, s10
	s_and_saveexec_b32 s10, s8
	s_cbranch_execz .LBB31_885
.LBB31_884:
	v_and_b32_e32 v1, 0xffff, v0
	s_delay_alu instid0(VALU_DEP_1) | instskip(SKIP_1) | instid1(VALU_DEP_2)
	v_and_b32_e32 v3, 7, v1
	v_bfe_u32 v8, v1, 3, 4
	v_clz_i32_u32_e32 v6, v3
	s_delay_alu instid0(VALU_DEP_2) | instskip(NEXT) | instid1(VALU_DEP_2)
	v_cmp_eq_u32_e32 vcc_lo, 0, v8
	v_min_u32_e32 v6, 32, v6
	s_delay_alu instid0(VALU_DEP_1) | instskip(NEXT) | instid1(VALU_DEP_1)
	v_subrev_nc_u32_e32 v7, 28, v6
	v_dual_lshlrev_b32 v1, v7, v1 :: v_dual_sub_nc_u32 v6, 29, v6
	s_delay_alu instid0(VALU_DEP_1) | instskip(NEXT) | instid1(VALU_DEP_1)
	v_dual_lshlrev_b32 v0, 24, v0 :: v_dual_bitop2_b32 v1, 7, v1 bitop3:0x40
	v_dual_cndmask_b32 v6, v8, v6 :: v_dual_cndmask_b32 v1, v3, v1
	s_delay_alu instid0(VALU_DEP_2) | instskip(NEXT) | instid1(VALU_DEP_2)
	v_and_b32_e32 v0, 0x80000000, v0
	v_lshl_add_u32 v3, v6, 23, 0x3b800000
	s_delay_alu instid0(VALU_DEP_3) | instskip(NEXT) | instid1(VALU_DEP_1)
	v_lshlrev_b32_e32 v1, 20, v1
	v_or3_b32 v1, v0, v3, v1
.LBB31_885:
	s_or_b32 exec_lo, exec_lo, s10
	s_delay_alu instid0(VALU_DEP_1) | instskip(SKIP_1) | instid1(VALU_DEP_2)
	v_bfe_u32 v0, v1, 16, 1
	v_cmp_o_f32_e32 vcc_lo, v1, v1
	v_add3_u32 v0, v1, v0, 0x7fff
	s_delay_alu instid0(VALU_DEP_1) | instskip(NEXT) | instid1(VALU_DEP_1)
	v_lshrrev_b32_e32 v0, 16, v0
	v_cndmask_b32_e32 v6, 0x7fc0, v0, vcc_lo
.LBB31_886:
	s_mov_b32 s8, -1
.LBB31_887:
	s_mov_b32 s10, 0
.LBB31_888:
	s_delay_alu instid0(SALU_CYCLE_1)
	s_and_b32 vcc_lo, exec_lo, s10
	s_cbranch_vccz .LBB31_921
; %bb.889:
	s_cmp_gt_i32 s1, 22
	s_cbranch_scc0 .LBB31_899
; %bb.890:
	s_cmp_lt_i32 s1, 24
	s_cbranch_scc1 .LBB31_902
; %bb.891:
	s_cmp_gt_i32 s1, 24
	s_cbranch_scc0 .LBB31_903
; %bb.892:
	global_load_u8 v0, v[4:5], off
	s_mov_b32 s8, exec_lo
	s_wait_loadcnt 0x0
	v_cmpx_lt_i16_e32 0x7f, v0
	s_xor_b32 s8, exec_lo, s8
	s_cbranch_execz .LBB31_915
; %bb.893:
	s_mov_b32 s7, -1
	s_mov_b32 s10, exec_lo
	v_cmpx_eq_u16_e32 0x80, v0
; %bb.894:
	s_xor_b32 s7, exec_lo, -1
; %bb.895:
	s_or_b32 exec_lo, exec_lo, s10
	s_delay_alu instid0(SALU_CYCLE_1)
	s_and_b32 s7, s7, exec_lo
	s_or_saveexec_b32 s8, s8
	v_mov_b32_e32 v1, 0x7f800001
	s_xor_b32 exec_lo, exec_lo, s8
	s_cbranch_execnz .LBB31_916
.LBB31_896:
	s_or_b32 exec_lo, exec_lo, s8
	s_and_saveexec_b32 s8, s7
	s_cbranch_execz .LBB31_898
.LBB31_897:
	v_and_b32_e32 v1, 0xffff, v0
	s_delay_alu instid0(VALU_DEP_1) | instskip(SKIP_1) | instid1(VALU_DEP_2)
	v_and_b32_e32 v3, 3, v1
	v_bfe_u32 v8, v1, 2, 5
	v_clz_i32_u32_e32 v6, v3
	s_delay_alu instid0(VALU_DEP_2) | instskip(NEXT) | instid1(VALU_DEP_2)
	v_cmp_eq_u32_e32 vcc_lo, 0, v8
	v_min_u32_e32 v6, 32, v6
	s_delay_alu instid0(VALU_DEP_1) | instskip(NEXT) | instid1(VALU_DEP_1)
	v_subrev_nc_u32_e32 v7, 29, v6
	v_dual_lshlrev_b32 v1, v7, v1 :: v_dual_sub_nc_u32 v6, 30, v6
	s_delay_alu instid0(VALU_DEP_1) | instskip(NEXT) | instid1(VALU_DEP_1)
	v_dual_lshlrev_b32 v0, 24, v0 :: v_dual_bitop2_b32 v1, 3, v1 bitop3:0x40
	v_dual_cndmask_b32 v6, v8, v6 :: v_dual_cndmask_b32 v1, v3, v1
	s_delay_alu instid0(VALU_DEP_2) | instskip(NEXT) | instid1(VALU_DEP_2)
	v_and_b32_e32 v0, 0x80000000, v0
	v_lshl_add_u32 v3, v6, 23, 0x37800000
	s_delay_alu instid0(VALU_DEP_3) | instskip(NEXT) | instid1(VALU_DEP_1)
	v_lshlrev_b32_e32 v1, 21, v1
	v_or3_b32 v1, v0, v3, v1
.LBB31_898:
	s_or_b32 exec_lo, exec_lo, s8
	s_delay_alu instid0(VALU_DEP_1) | instskip(SKIP_2) | instid1(VALU_DEP_2)
	v_bfe_u32 v0, v1, 16, 1
	v_cmp_o_f32_e32 vcc_lo, v1, v1
	s_mov_b32 s7, 0
	v_add3_u32 v0, v1, v0, 0x7fff
	s_delay_alu instid0(VALU_DEP_1) | instskip(NEXT) | instid1(VALU_DEP_1)
	v_lshrrev_b32_e32 v0, 16, v0
	v_cndmask_b32_e32 v6, 0x7fc0, v0, vcc_lo
	s_branch .LBB31_904
.LBB31_899:
	s_mov_b32 s7, -1
                                        ; implicit-def: $vgpr6
	s_branch .LBB31_910
.LBB31_900:
	s_or_saveexec_b32 s10, s10
	v_mov_b32_e32 v1, 0x7f800001
	s_xor_b32 exec_lo, exec_lo, s10
	s_cbranch_execz .LBB31_883
.LBB31_901:
	v_cmp_ne_u16_e32 vcc_lo, 0, v0
	v_mov_b32_e32 v1, 0
	s_and_not1_b32 s8, s8, exec_lo
	s_and_b32 s11, vcc_lo, exec_lo
	s_delay_alu instid0(SALU_CYCLE_1)
	s_or_b32 s8, s8, s11
	s_or_b32 exec_lo, exec_lo, s10
	s_and_saveexec_b32 s10, s8
	s_cbranch_execnz .LBB31_884
	s_branch .LBB31_885
.LBB31_902:
	s_mov_b32 s7, -1
                                        ; implicit-def: $vgpr6
	s_branch .LBB31_907
.LBB31_903:
	s_mov_b32 s7, -1
                                        ; implicit-def: $vgpr6
.LBB31_904:
	s_delay_alu instid0(SALU_CYCLE_1)
	s_and_b32 vcc_lo, exec_lo, s7
	s_cbranch_vccz .LBB31_906
; %bb.905:
	global_load_u8 v0, v[4:5], off
	s_wait_loadcnt 0x0
	v_lshlrev_b32_e32 v0, 24, v0
	s_delay_alu instid0(VALU_DEP_1) | instskip(NEXT) | instid1(VALU_DEP_1)
	v_and_b32_e32 v1, 0x7f000000, v0
	v_clz_i32_u32_e32 v3, v1
	v_add_nc_u32_e32 v7, 0x1000000, v1
	v_cmp_ne_u32_e32 vcc_lo, 0, v1
	s_delay_alu instid0(VALU_DEP_3) | instskip(NEXT) | instid1(VALU_DEP_1)
	v_min_u32_e32 v3, 32, v3
	v_sub_nc_u32_e64 v3, v3, 4 clamp
	s_delay_alu instid0(VALU_DEP_1) | instskip(NEXT) | instid1(VALU_DEP_1)
	v_dual_lshlrev_b32 v6, v3, v1 :: v_dual_lshlrev_b32 v3, 23, v3
	v_lshrrev_b32_e32 v6, 4, v6
	s_delay_alu instid0(VALU_DEP_1) | instskip(SKIP_1) | instid1(VALU_DEP_2)
	v_sub_nc_u32_e32 v3, v6, v3
	v_ashrrev_i32_e32 v6, 8, v7
	v_add_nc_u32_e32 v3, 0x3c000000, v3
	s_delay_alu instid0(VALU_DEP_1) | instskip(NEXT) | instid1(VALU_DEP_1)
	v_and_or_b32 v3, 0x7f800000, v6, v3
	v_cndmask_b32_e32 v1, 0, v3, vcc_lo
	s_delay_alu instid0(VALU_DEP_1) | instskip(SKIP_1) | instid1(VALU_DEP_2)
	v_and_or_b32 v0, 0x80000000, v0, v1
	v_bfe_u32 v1, v1, 16, 1
	v_cmp_o_f32_e32 vcc_lo, v0, v0
	s_delay_alu instid0(VALU_DEP_2) | instskip(NEXT) | instid1(VALU_DEP_1)
	v_add3_u32 v1, v0, v1, 0x7fff
	v_lshrrev_b32_e32 v1, 16, v1
	s_delay_alu instid0(VALU_DEP_1)
	v_cndmask_b32_e32 v6, 0x7fc0, v1, vcc_lo
.LBB31_906:
	s_mov_b32 s7, 0
.LBB31_907:
	s_delay_alu instid0(SALU_CYCLE_1)
	s_and_not1_b32 vcc_lo, exec_lo, s7
	s_cbranch_vccnz .LBB31_909
; %bb.908:
	global_load_u8 v0, v[4:5], off
	s_wait_loadcnt 0x0
	v_lshlrev_b32_e32 v1, 25, v0
	v_lshlrev_b16 v0, 8, v0
	s_delay_alu instid0(VALU_DEP_1) | instskip(SKIP_1) | instid1(VALU_DEP_2)
	v_and_or_b32 v6, 0x7f00, v0, 0.5
	v_bfe_i32 v0, v0, 0, 16
	v_dual_add_f32 v6, -0.5, v6 :: v_dual_lshrrev_b32 v3, 4, v1
	v_cmp_gt_u32_e32 vcc_lo, 0x8000000, v1
	s_delay_alu instid0(VALU_DEP_2) | instskip(NEXT) | instid1(VALU_DEP_1)
	v_or_b32_e32 v3, 0x70000000, v3
	v_mul_f32_e32 v3, 0x7800000, v3
	s_delay_alu instid0(VALU_DEP_1) | instskip(NEXT) | instid1(VALU_DEP_1)
	v_cndmask_b32_e32 v1, v3, v6, vcc_lo
	v_and_or_b32 v0, 0x80000000, v0, v1
	v_bfe_u32 v1, v1, 16, 1
	s_delay_alu instid0(VALU_DEP_2) | instskip(NEXT) | instid1(VALU_DEP_2)
	v_cmp_o_f32_e32 vcc_lo, v0, v0
	v_add3_u32 v1, v0, v1, 0x7fff
	s_delay_alu instid0(VALU_DEP_1) | instskip(NEXT) | instid1(VALU_DEP_1)
	v_lshrrev_b32_e32 v1, 16, v1
	v_cndmask_b32_e32 v6, 0x7fc0, v1, vcc_lo
.LBB31_909:
	s_mov_b32 s7, 0
	s_mov_b32 s8, -1
.LBB31_910:
	s_and_not1_b32 vcc_lo, exec_lo, s7
	s_mov_b32 s7, 0
	s_cbranch_vccnz .LBB31_921
; %bb.911:
	s_cmp_gt_i32 s1, 14
	s_cbranch_scc0 .LBB31_914
; %bb.912:
	s_cmp_eq_u32 s1, 15
	s_cbranch_scc0 .LBB31_917
; %bb.913:
	s_wait_loadcnt 0x0
	global_load_u16 v6, v[4:5], off
	s_mov_b32 s6, 0
	s_mov_b32 s8, -1
	s_branch .LBB31_919
.LBB31_914:
	s_mov_b32 s7, -1
	s_branch .LBB31_918
.LBB31_915:
	s_or_saveexec_b32 s8, s8
	v_mov_b32_e32 v1, 0x7f800001
	s_xor_b32 exec_lo, exec_lo, s8
	s_cbranch_execz .LBB31_896
.LBB31_916:
	v_cmp_ne_u16_e32 vcc_lo, 0, v0
	v_mov_b32_e32 v1, 0
	s_and_not1_b32 s7, s7, exec_lo
	s_and_b32 s10, vcc_lo, exec_lo
	s_delay_alu instid0(SALU_CYCLE_1)
	s_or_b32 s7, s7, s10
	s_or_b32 exec_lo, exec_lo, s8
	s_and_saveexec_b32 s8, s7
	s_cbranch_execnz .LBB31_897
	s_branch .LBB31_898
.LBB31_917:
	s_mov_b32 s6, -1
.LBB31_918:
                                        ; implicit-def: $vgpr6
.LBB31_919:
	s_and_b32 vcc_lo, exec_lo, s7
	s_mov_b32 s7, 0
	s_cbranch_vccz .LBB31_921
; %bb.920:
	s_cmp_lg_u32 s1, 11
	s_mov_b32 s7, -1
	s_cselect_b32 s1, -1, 0
	s_and_not1_b32 s6, s6, exec_lo
	s_and_b32 s1, s1, exec_lo
	s_delay_alu instid0(SALU_CYCLE_1)
	s_or_b32 s6, s6, s1
.LBB31_921:
	s_mov_b32 s1, 0
.LBB31_922:
	s_delay_alu instid0(SALU_CYCLE_1)
	s_and_b32 s23, s1, exec_lo
	s_and_not1_b32 s1, s0, exec_lo
	s_and_b32 s6, s6, exec_lo
	s_and_b32 s24, s8, exec_lo
	;; [unrolled: 1-line block ×3, first 2 shown]
	s_or_b32 s25, s1, s6
.LBB31_923:
	s_wait_xcnt 0x0
	s_or_b32 exec_lo, exec_lo, s38
	s_delay_alu instid0(SALU_CYCLE_1)
	s_and_not1_b32 s0, s0, exec_lo
	s_and_b32 s1, s25, exec_lo
	s_and_b32 s24, s24, exec_lo
	;; [unrolled: 1-line block ×4, first 2 shown]
	s_or_b32 s0, s0, s1
.LBB31_924:
	s_or_b32 exec_lo, exec_lo, s27
	s_delay_alu instid0(SALU_CYCLE_1)
	s_and_not1_b32 s1, s45, exec_lo
	s_and_b32 s6, s26, exec_lo
	s_and_b32 s0, s0, exec_lo
	s_or_b32 s45, s1, s6
	s_and_not1_b32 s1, s44, exec_lo
	s_and_b32 s24, s24, exec_lo
	s_and_b32 s23, s23, exec_lo
	;; [unrolled: 1-line block ×3, first 2 shown]
	s_or_b32 s44, s1, s0
.LBB31_925:
	s_or_b32 exec_lo, exec_lo, s46
	s_delay_alu instid0(SALU_CYCLE_1)
	s_and_not1_b32 s0, s41, exec_lo
	s_and_b32 s1, s45, exec_lo
	s_and_b32 s6, s44, exec_lo
	s_or_b32 s41, s0, s1
	s_and_not1_b32 s1, s42, exec_lo
	s_and_b32 s0, s24, exec_lo
	s_and_b32 s23, s23, exec_lo
	;; [unrolled: 1-line block ×3, first 2 shown]
	s_or_b32 s42, s1, s6
	s_or_b32 exec_lo, exec_lo, s43
	s_mov_b32 s1, 0
	s_and_saveexec_b32 s6, s42
	s_cbranch_execz .LBB31_276
.LBB31_926:
	s_mov_b32 s1, exec_lo
	s_and_not1_b32 s17, s17, exec_lo
	s_trap 2
	s_or_b32 exec_lo, exec_lo, s6
	s_and_saveexec_b32 s6, s17
	s_delay_alu instid0(SALU_CYCLE_1)
	s_xor_b32 s6, exec_lo, s6
	s_cbranch_execnz .LBB31_277
.LBB31_927:
	s_or_b32 exec_lo, exec_lo, s6
	s_and_saveexec_b32 s6, s23
	s_cbranch_execz .LBB31_973
.LBB31_928:
	s_sext_i32_i16 s7, s36
	s_delay_alu instid0(SALU_CYCLE_1)
	s_cmp_lt_i32 s7, 5
	s_cbranch_scc1 .LBB31_933
; %bb.929:
	s_cmp_lt_i32 s7, 8
	s_cbranch_scc1 .LBB31_934
; %bb.930:
	;; [unrolled: 3-line block ×3, first 2 shown]
	s_cmp_gt_i32 s7, 9
	s_cbranch_scc0 .LBB31_936
; %bb.932:
	s_wait_loadcnt 0x0
	global_load_b64 v[0:1], v[4:5], off
	s_mov_b32 s7, 0
	s_wait_loadcnt 0x0
	v_cvt_f32_f64_e32 v0, v[0:1]
	s_delay_alu instid0(VALU_DEP_1) | instskip(SKIP_1) | instid1(VALU_DEP_2)
	v_bfe_u32 v1, v0, 16, 1
	v_cmp_o_f32_e32 vcc_lo, v0, v0
	v_add3_u32 v1, v0, v1, 0x7fff
	s_delay_alu instid0(VALU_DEP_1) | instskip(NEXT) | instid1(VALU_DEP_1)
	v_lshrrev_b32_e32 v1, 16, v1
	v_cndmask_b32_e32 v6, 0x7fc0, v1, vcc_lo
	s_branch .LBB31_937
.LBB31_933:
                                        ; implicit-def: $vgpr6
	s_branch .LBB31_954
.LBB31_934:
                                        ; implicit-def: $vgpr6
	s_branch .LBB31_943
.LBB31_935:
	s_mov_b32 s7, -1
                                        ; implicit-def: $vgpr6
	s_branch .LBB31_940
.LBB31_936:
	s_mov_b32 s7, -1
                                        ; implicit-def: $vgpr6
.LBB31_937:
	s_delay_alu instid0(SALU_CYCLE_1)
	s_and_not1_b32 vcc_lo, exec_lo, s7
	s_cbranch_vccnz .LBB31_939
; %bb.938:
	global_load_b32 v0, v[4:5], off
	s_wait_loadcnt 0x0
	v_bfe_u32 v1, v0, 16, 1
	v_cmp_o_f32_e32 vcc_lo, v0, v0
	s_delay_alu instid0(VALU_DEP_2) | instskip(NEXT) | instid1(VALU_DEP_1)
	v_add3_u32 v1, v0, v1, 0x7fff
	v_lshrrev_b32_e32 v1, 16, v1
	s_delay_alu instid0(VALU_DEP_1)
	v_cndmask_b32_e32 v6, 0x7fc0, v1, vcc_lo
.LBB31_939:
	s_mov_b32 s7, 0
.LBB31_940:
	s_delay_alu instid0(SALU_CYCLE_1)
	s_and_not1_b32 vcc_lo, exec_lo, s7
	s_cbranch_vccnz .LBB31_942
; %bb.941:
	global_load_b32 v0, v[4:5], off
	s_wait_loadcnt 0x0
	v_cvt_f32_f16_e32 v1, v0
	v_cmp_o_f16_e32 vcc_lo, v0, v0
	s_delay_alu instid0(VALU_DEP_2) | instskip(NEXT) | instid1(VALU_DEP_1)
	v_bfe_u32 v3, v1, 16, 1
	v_add3_u32 v1, v1, v3, 0x7fff
	s_delay_alu instid0(VALU_DEP_1) | instskip(NEXT) | instid1(VALU_DEP_1)
	v_lshrrev_b32_e32 v1, 16, v1
	v_cndmask_b32_e32 v6, 0x7fc0, v1, vcc_lo
.LBB31_942:
	s_cbranch_execnz .LBB31_953
.LBB31_943:
	s_sext_i32_i16 s7, s36
	s_delay_alu instid0(SALU_CYCLE_1)
	s_cmp_lt_i32 s7, 6
	s_cbranch_scc1 .LBB31_946
; %bb.944:
	s_cmp_gt_i32 s7, 6
	s_cbranch_scc0 .LBB31_947
; %bb.945:
	s_wait_loadcnt 0x0
	global_load_b64 v[0:1], v[4:5], off
	s_mov_b32 s7, 0
	s_wait_loadcnt 0x0
	v_cvt_f32_f64_e32 v0, v[0:1]
	s_delay_alu instid0(VALU_DEP_1) | instskip(SKIP_1) | instid1(VALU_DEP_2)
	v_bfe_u32 v1, v0, 16, 1
	v_cmp_o_f32_e32 vcc_lo, v0, v0
	v_add3_u32 v1, v0, v1, 0x7fff
	s_delay_alu instid0(VALU_DEP_1) | instskip(NEXT) | instid1(VALU_DEP_1)
	v_lshrrev_b32_e32 v1, 16, v1
	v_cndmask_b32_e32 v6, 0x7fc0, v1, vcc_lo
	s_branch .LBB31_948
.LBB31_946:
	s_mov_b32 s7, -1
                                        ; implicit-def: $vgpr6
	s_branch .LBB31_951
.LBB31_947:
	s_mov_b32 s7, -1
                                        ; implicit-def: $vgpr6
.LBB31_948:
	s_delay_alu instid0(SALU_CYCLE_1)
	s_and_not1_b32 vcc_lo, exec_lo, s7
	s_cbranch_vccnz .LBB31_950
; %bb.949:
	global_load_b32 v0, v[4:5], off
	s_wait_loadcnt 0x0
	v_bfe_u32 v1, v0, 16, 1
	v_cmp_o_f32_e32 vcc_lo, v0, v0
	s_delay_alu instid0(VALU_DEP_2) | instskip(NEXT) | instid1(VALU_DEP_1)
	v_add3_u32 v1, v0, v1, 0x7fff
	v_lshrrev_b32_e32 v1, 16, v1
	s_delay_alu instid0(VALU_DEP_1)
	v_cndmask_b32_e32 v6, 0x7fc0, v1, vcc_lo
.LBB31_950:
	s_mov_b32 s7, 0
.LBB31_951:
	s_delay_alu instid0(SALU_CYCLE_1)
	s_and_not1_b32 vcc_lo, exec_lo, s7
	s_cbranch_vccnz .LBB31_953
; %bb.952:
	global_load_u16 v0, v[4:5], off
	s_wait_loadcnt 0x0
	v_cvt_f32_f16_e32 v1, v0
	v_cmp_o_f16_e32 vcc_lo, v0, v0
	s_delay_alu instid0(VALU_DEP_2) | instskip(NEXT) | instid1(VALU_DEP_1)
	v_bfe_u32 v3, v1, 16, 1
	v_add3_u32 v1, v1, v3, 0x7fff
	s_delay_alu instid0(VALU_DEP_1) | instskip(NEXT) | instid1(VALU_DEP_1)
	v_lshrrev_b32_e32 v1, 16, v1
	v_cndmask_b32_e32 v6, 0x7fc0, v1, vcc_lo
.LBB31_953:
	s_cbranch_execnz .LBB31_972
.LBB31_954:
	s_sext_i32_i16 s7, s36
	s_delay_alu instid0(SALU_CYCLE_1)
	s_cmp_lt_i32 s7, 2
	s_cbranch_scc1 .LBB31_958
; %bb.955:
	s_cmp_lt_i32 s7, 3
	s_cbranch_scc1 .LBB31_959
; %bb.956:
	s_cmp_gt_i32 s7, 3
	s_cbranch_scc0 .LBB31_960
; %bb.957:
	s_wait_loadcnt 0x0
	global_load_b64 v[0:1], v[4:5], off
	s_mov_b32 s7, 0
	s_wait_loadcnt 0x0
	v_xor_b32_e32 v3, v0, v1
	v_cls_i32_e32 v6, v1
	s_delay_alu instid0(VALU_DEP_2) | instskip(NEXT) | instid1(VALU_DEP_1)
	v_ashrrev_i32_e32 v3, 31, v3
	v_add_nc_u32_e32 v3, 32, v3
	s_delay_alu instid0(VALU_DEP_1) | instskip(NEXT) | instid1(VALU_DEP_1)
	v_add_min_u32_e64 v3, v6, -1, v3
	v_lshlrev_b64_e32 v[0:1], v3, v[0:1]
	s_delay_alu instid0(VALU_DEP_1) | instskip(NEXT) | instid1(VALU_DEP_1)
	v_min_u32_e32 v0, 1, v0
	v_dual_sub_nc_u32 v1, 32, v3 :: v_dual_bitop2_b32 v0, v1, v0 bitop3:0x54
	s_delay_alu instid0(VALU_DEP_1) | instskip(NEXT) | instid1(VALU_DEP_1)
	v_cvt_f32_i32_e32 v0, v0
	v_ldexp_f32 v0, v0, v1
	s_delay_alu instid0(VALU_DEP_1) | instskip(NEXT) | instid1(VALU_DEP_1)
	v_bfe_u32 v1, v0, 16, 1
	v_add3_u32 v0, v0, v1, 0x7fff
	s_delay_alu instid0(VALU_DEP_1)
	v_lshrrev_b32_e32 v6, 16, v0
	s_branch .LBB31_961
.LBB31_958:
                                        ; implicit-def: $vgpr6
	s_branch .LBB31_967
.LBB31_959:
	s_mov_b32 s7, -1
                                        ; implicit-def: $vgpr6
	s_branch .LBB31_964
.LBB31_960:
	s_mov_b32 s7, -1
                                        ; implicit-def: $vgpr6
.LBB31_961:
	s_delay_alu instid0(SALU_CYCLE_1)
	s_and_not1_b32 vcc_lo, exec_lo, s7
	s_cbranch_vccnz .LBB31_963
; %bb.962:
	global_load_b32 v0, v[4:5], off
	s_wait_loadcnt 0x0
	v_cvt_f32_i32_e32 v0, v0
	s_delay_alu instid0(VALU_DEP_1) | instskip(NEXT) | instid1(VALU_DEP_1)
	v_bfe_u32 v1, v0, 16, 1
	v_add3_u32 v0, v0, v1, 0x7fff
	s_delay_alu instid0(VALU_DEP_1)
	v_lshrrev_b32_e32 v6, 16, v0
.LBB31_963:
	s_mov_b32 s7, 0
.LBB31_964:
	s_delay_alu instid0(SALU_CYCLE_1)
	s_and_not1_b32 vcc_lo, exec_lo, s7
	s_cbranch_vccnz .LBB31_966
; %bb.965:
	global_load_i16 v0, v[4:5], off
	s_wait_loadcnt 0x0
	v_cvt_f32_i32_e32 v0, v0
	s_delay_alu instid0(VALU_DEP_1) | instskip(NEXT) | instid1(VALU_DEP_1)
	v_bfe_u32 v1, v0, 16, 1
	v_add3_u32 v0, v0, v1, 0x7fff
	s_delay_alu instid0(VALU_DEP_1)
	v_lshrrev_b32_e32 v6, 16, v0
.LBB31_966:
	s_cbranch_execnz .LBB31_972
.LBB31_967:
	s_sext_i32_i16 s7, s36
	s_delay_alu instid0(SALU_CYCLE_1)
	s_cmp_gt_i32 s7, 0
	s_mov_b32 s7, 0
	s_cbranch_scc0 .LBB31_969
; %bb.968:
	global_load_i8 v0, v[4:5], off
	s_wait_loadcnt 0x0
	v_cvt_f32_i32_e32 v0, v0
	s_delay_alu instid0(VALU_DEP_1) | instskip(NEXT) | instid1(VALU_DEP_1)
	v_bfe_u32 v1, v0, 16, 1
	v_add3_u32 v0, v0, v1, 0x7fff
	s_delay_alu instid0(VALU_DEP_1)
	v_lshrrev_b32_e32 v6, 16, v0
	s_branch .LBB31_970
.LBB31_969:
	s_mov_b32 s7, -1
                                        ; implicit-def: $vgpr6
.LBB31_970:
	s_delay_alu instid0(SALU_CYCLE_1)
	s_and_not1_b32 vcc_lo, exec_lo, s7
	s_cbranch_vccnz .LBB31_972
; %bb.971:
	global_load_u8 v0, v[4:5], off
	s_wait_loadcnt 0x0
	v_cvt_f32_ubyte0_e32 v0, v0
	s_delay_alu instid0(VALU_DEP_1) | instskip(NEXT) | instid1(VALU_DEP_1)
	v_bfe_u32 v1, v0, 16, 1
	v_add3_u32 v0, v0, v1, 0x7fff
	s_delay_alu instid0(VALU_DEP_1)
	v_lshrrev_b32_e32 v6, 16, v0
.LBB31_972:
	s_or_b32 s0, s0, exec_lo
.LBB31_973:
	s_wait_xcnt 0x0
	s_or_b32 exec_lo, exec_lo, s6
	s_mov_b32 s10, 0
	s_mov_b32 s8, 0
                                        ; implicit-def: $sgpr6
                                        ; implicit-def: $vgpr0_vgpr1
                                        ; implicit-def: $vgpr3
	s_and_saveexec_b32 s7, s0
	s_cbranch_execz .LBB31_1048
; %bb.974:
	s_wait_loadcnt 0x0
	v_dual_mov_b32 v3, 0 :: v_dual_lshlrev_b32 v0, 16, v6
	s_and_b32 s6, s34, 0xff
	s_delay_alu instid0(VALU_DEP_1) | instskip(SKIP_1) | instid1(VALU_DEP_3)
	v_cmp_nle_f32_e32 vcc_lo, s9, v0
	v_cmp_nge_f32_e64 s0, s35, v0
	v_add_nc_u64_e32 v[0:1], s[4:5], v[2:3]
	s_mov_b32 s9, 0
	s_mov_b32 s5, -1
	s_or_b32 vcc_lo, s0, vcc_lo
	s_cmp_lt_i32 s6, 11
	v_cndmask_b32_e32 v3, 0, v6, vcc_lo
	s_mov_b32 s0, s41
	s_cbranch_scc1 .LBB31_1052
; %bb.975:
	s_and_b32 s4, 0xffff, s6
	s_mov_b32 s0, s41
	s_cmp_gt_i32 s4, 25
	s_cbranch_scc0 .LBB31_1008
; %bb.976:
	s_cmp_gt_i32 s4, 28
	s_mov_b32 s0, s41
	s_cbranch_scc0 .LBB31_992
; %bb.977:
	s_cmp_gt_i32 s4, 43
	s_mov_b32 s0, s41
	;; [unrolled: 4-line block ×3, first 2 shown]
	s_cbranch_scc0 .LBB31_982
; %bb.979:
	s_cmp_eq_u32 s4, 46
	s_mov_b32 s0, -1
	s_cbranch_scc0 .LBB31_981
; %bb.980:
	v_and_b32_e32 v2, 0xffff, v3
	s_mov_b32 s0, 0
	global_store_b32 v[0:1], v2, off
.LBB31_981:
	s_mov_b32 s5, 0
.LBB31_982:
	s_delay_alu instid0(SALU_CYCLE_1)
	s_and_b32 vcc_lo, exec_lo, s5
	s_cbranch_vccz .LBB31_987
; %bb.983:
	s_cmp_eq_u32 s4, 44
	s_mov_b32 s0, -1
	s_cbranch_scc0 .LBB31_987
; %bb.984:
	s_wait_xcnt 0x0
	v_and_b32_e32 v2, 0xffff, v3
	v_mov_b32_e32 v4, 0xff
	s_mov_b32 s5, exec_lo
	s_delay_alu instid0(VALU_DEP_2) | instskip(NEXT) | instid1(VALU_DEP_1)
	v_bfe_u32 v5, v2, 7, 8
	v_cmpx_ne_u32_e32 0xff, v5
	s_cbranch_execz .LBB31_986
; %bb.985:
	v_dual_lshlrev_b32 v4, 16, v2 :: v_dual_bitop2_b32 v6, 64, v2 bitop3:0x40
	v_lshrrev_b32_e32 v2, 7, v2
	s_delay_alu instid0(VALU_DEP_2) | instskip(NEXT) | instid1(VALU_DEP_3)
	v_and_or_b32 v4, 0x3f0000, v4, v5
	v_cmp_ne_u32_e32 vcc_lo, 0, v6
	s_delay_alu instid0(VALU_DEP_2) | instskip(SKIP_1) | instid1(SALU_CYCLE_1)
	v_cmp_ne_u32_e64 s0, 0, v4
	s_and_b32 s0, vcc_lo, s0
	v_cndmask_b32_e64 v4, 0, 1, s0
	s_delay_alu instid0(VALU_DEP_1)
	v_add_nc_u32_e32 v4, v2, v4
.LBB31_986:
	s_or_b32 exec_lo, exec_lo, s5
	s_mov_b32 s0, 0
	global_store_b8 v[0:1], v4, off
.LBB31_987:
	s_mov_b32 s5, 0
.LBB31_988:
	s_delay_alu instid0(SALU_CYCLE_1)
	s_and_b32 vcc_lo, exec_lo, s5
	s_cbranch_vccz .LBB31_991
; %bb.989:
	s_cmp_eq_u32 s4, 29
	s_mov_b32 s0, -1
	s_cbranch_scc0 .LBB31_991
; %bb.990:
	s_wait_xcnt 0x0
	v_lshlrev_b32_e32 v2, 16, v3
	s_mov_b32 s0, 0
	s_delay_alu instid0(VALU_DEP_1) | instskip(NEXT) | instid1(VALU_DEP_1)
	v_trunc_f32_e32 v2, v2
	v_mul_f32_e32 v4, 0x2f800000, v2
	s_delay_alu instid0(VALU_DEP_1) | instskip(NEXT) | instid1(VALU_DEP_1)
	v_floor_f32_e32 v4, v4
	v_fmamk_f32 v2, v4, 0xcf800000, v2
	v_cvt_u32_f32_e32 v5, v4
	s_delay_alu instid0(VALU_DEP_2)
	v_cvt_u32_f32_e32 v4, v2
	global_store_b64 v[0:1], v[4:5], off
.LBB31_991:
	s_mov_b32 s5, 0
.LBB31_992:
	s_delay_alu instid0(SALU_CYCLE_1)
	s_and_b32 vcc_lo, exec_lo, s5
	s_cbranch_vccz .LBB31_1007
; %bb.993:
	s_cmp_lt_i32 s4, 27
	s_mov_b32 s5, -1
	s_cbranch_scc1 .LBB31_999
; %bb.994:
	s_cmp_gt_i32 s4, 27
	s_cbranch_scc0 .LBB31_996
; %bb.995:
	s_wait_xcnt 0x0
	v_lshlrev_b32_e32 v2, 16, v3
	s_mov_b32 s5, 0
	s_delay_alu instid0(VALU_DEP_1)
	v_cvt_u32_f32_e32 v2, v2
	global_store_b32 v[0:1], v2, off
.LBB31_996:
	s_and_not1_b32 vcc_lo, exec_lo, s5
	s_cbranch_vccnz .LBB31_998
; %bb.997:
	s_wait_xcnt 0x0
	v_lshlrev_b32_e32 v2, 16, v3
	s_delay_alu instid0(VALU_DEP_1)
	v_cvt_u32_f32_e32 v2, v2
	global_store_b16 v[0:1], v2, off
.LBB31_998:
	s_mov_b32 s5, 0
.LBB31_999:
	s_delay_alu instid0(SALU_CYCLE_1)
	s_and_not1_b32 vcc_lo, exec_lo, s5
	s_cbranch_vccnz .LBB31_1007
; %bb.1000:
	s_wait_xcnt 0x0
	v_dual_mov_b32 v6, 0x80 :: v_dual_lshlrev_b32 v5, 16, v3
	s_mov_b32 s5, exec_lo
	s_delay_alu instid0(VALU_DEP_1) | instskip(NEXT) | instid1(VALU_DEP_1)
	v_and_b32_e32 v4, 0x7fffffff, v5
	v_cmpx_gt_u32_e32 0x43800000, v4
	s_cbranch_execz .LBB31_1006
; %bb.1001:
	v_and_b32_e32 v2, 0xffff, v3
	v_cmp_lt_u32_e32 vcc_lo, 0x3bffffff, v4
                                        ; implicit-def: $vgpr4
	s_and_saveexec_b32 s9, vcc_lo
	s_delay_alu instid0(SALU_CYCLE_1)
	s_xor_b32 s9, exec_lo, s9
	s_cbranch_execz .LBB31_1167
; %bb.1002:
	v_bfe_u32 v4, v2, 4, 1
	s_mov_b32 s8, exec_lo
	s_delay_alu instid0(VALU_DEP_1) | instskip(NEXT) | instid1(VALU_DEP_1)
	v_add3_u32 v4, v5, v4, 0x487ffff
                                        ; implicit-def: $vgpr5
	v_lshrrev_b32_e32 v4, 20, v4
	s_and_not1_saveexec_b32 s9, s9
	s_cbranch_execnz .LBB31_1168
.LBB31_1003:
	s_or_b32 exec_lo, exec_lo, s9
	v_mov_b32_e32 v6, 0
	s_and_saveexec_b32 s9, s8
.LBB31_1004:
	v_lshrrev_b32_e32 v2, 8, v2
	s_delay_alu instid0(VALU_DEP_1)
	v_and_or_b32 v6, 0x80, v2, v4
.LBB31_1005:
	s_or_b32 exec_lo, exec_lo, s9
.LBB31_1006:
	s_delay_alu instid0(SALU_CYCLE_1)
	s_or_b32 exec_lo, exec_lo, s5
	global_store_b8 v[0:1], v6, off
.LBB31_1007:
	s_mov_b32 s5, 0
.LBB31_1008:
	s_delay_alu instid0(SALU_CYCLE_1)
	s_and_b32 vcc_lo, exec_lo, s5
	s_mov_b32 s5, 0
	s_cbranch_vccz .LBB31_1051
; %bb.1009:
	s_cmp_gt_i32 s4, 22
	s_mov_b32 s8, -1
	s_cbranch_scc0 .LBB31_1041
; %bb.1010:
	s_cmp_lt_i32 s4, 24
	s_cbranch_scc1 .LBB31_1030
; %bb.1011:
	s_cmp_gt_i32 s4, 24
	s_cbranch_scc0 .LBB31_1019
; %bb.1012:
	s_wait_xcnt 0x0
	v_dual_mov_b32 v6, 0x80 :: v_dual_lshlrev_b32 v5, 16, v3
	s_mov_b32 s8, exec_lo
	s_delay_alu instid0(VALU_DEP_1) | instskip(NEXT) | instid1(VALU_DEP_1)
	v_and_b32_e32 v4, 0x7fffffff, v5
	v_cmpx_gt_u32_e32 0x47800000, v4
	s_cbranch_execz .LBB31_1018
; %bb.1013:
	v_and_b32_e32 v2, 0xffff, v3
	v_cmp_lt_u32_e32 vcc_lo, 0x37ffffff, v4
	s_mov_b32 s9, 0
                                        ; implicit-def: $vgpr4
	s_and_saveexec_b32 s10, vcc_lo
	s_delay_alu instid0(SALU_CYCLE_1)
	s_xor_b32 s10, exec_lo, s10
	s_cbranch_execz .LBB31_1293
; %bb.1014:
	v_bfe_u32 v4, v2, 5, 1
	s_mov_b32 s9, exec_lo
	s_delay_alu instid0(VALU_DEP_1) | instskip(NEXT) | instid1(VALU_DEP_1)
	v_add3_u32 v4, v5, v4, 0x88fffff
                                        ; implicit-def: $vgpr5
	v_lshrrev_b32_e32 v4, 21, v4
	s_and_not1_saveexec_b32 s10, s10
	s_cbranch_execnz .LBB31_1294
.LBB31_1015:
	s_or_b32 exec_lo, exec_lo, s10
	v_mov_b32_e32 v6, 0
	s_and_saveexec_b32 s10, s9
.LBB31_1016:
	v_lshrrev_b32_e32 v2, 8, v2
	s_delay_alu instid0(VALU_DEP_1)
	v_and_or_b32 v6, 0x80, v2, v4
.LBB31_1017:
	s_or_b32 exec_lo, exec_lo, s10
.LBB31_1018:
	s_delay_alu instid0(SALU_CYCLE_1)
	s_or_b32 exec_lo, exec_lo, s8
	s_mov_b32 s8, 0
	global_store_b8 v[0:1], v6, off
.LBB31_1019:
	s_and_b32 vcc_lo, exec_lo, s8
	s_cbranch_vccz .LBB31_1029
; %bb.1020:
	s_wait_xcnt 0x0
	v_lshlrev_b32_e32 v5, 16, v3
	v_and_b32_e32 v2, 0xffff, v3
	s_mov_b32 s8, exec_lo
                                        ; implicit-def: $vgpr4
	s_delay_alu instid0(VALU_DEP_2) | instskip(NEXT) | instid1(VALU_DEP_1)
	v_and_b32_e32 v6, 0x7fffffff, v5
	v_cmpx_gt_u32_e32 0x43f00000, v6
	s_xor_b32 s8, exec_lo, s8
	s_cbranch_execz .LBB31_1026
; %bb.1021:
	s_mov_b32 s9, exec_lo
                                        ; implicit-def: $vgpr4
	v_cmpx_lt_u32_e32 0x3c7fffff, v6
	s_xor_b32 s9, exec_lo, s9
; %bb.1022:
	v_bfe_u32 v4, v2, 4, 1
	s_delay_alu instid0(VALU_DEP_1) | instskip(NEXT) | instid1(VALU_DEP_1)
	v_add3_u32 v4, v5, v4, 0x407ffff
	v_and_b32_e32 v5, 0xff00000, v4
	v_lshrrev_b32_e32 v4, 20, v4
	s_delay_alu instid0(VALU_DEP_2) | instskip(NEXT) | instid1(VALU_DEP_2)
	v_cmp_ne_u32_e32 vcc_lo, 0x7f00000, v5
                                        ; implicit-def: $vgpr5
	v_cndmask_b32_e32 v4, 0x7e, v4, vcc_lo
; %bb.1023:
	s_and_not1_saveexec_b32 s9, s9
; %bb.1024:
	v_add_f32_e64 v4, 0x46800000, |v5|
; %bb.1025:
	s_or_b32 exec_lo, exec_lo, s9
                                        ; implicit-def: $vgpr6
.LBB31_1026:
	s_and_not1_saveexec_b32 s8, s8
; %bb.1027:
	v_mov_b32_e32 v4, 0x7f
	v_cmp_lt_u32_e32 vcc_lo, 0x7f800000, v6
	s_delay_alu instid0(VALU_DEP_2)
	v_cndmask_b32_e32 v4, 0x7e, v4, vcc_lo
; %bb.1028:
	s_or_b32 exec_lo, exec_lo, s8
	v_lshrrev_b32_e32 v2, 8, v2
	s_delay_alu instid0(VALU_DEP_1)
	v_and_or_b32 v2, 0x80, v2, v4
	global_store_b8 v[0:1], v2, off
.LBB31_1029:
	s_mov_b32 s8, 0
.LBB31_1030:
	s_delay_alu instid0(SALU_CYCLE_1)
	s_and_not1_b32 vcc_lo, exec_lo, s8
	s_cbranch_vccnz .LBB31_1040
; %bb.1031:
	s_wait_xcnt 0x0
	v_lshlrev_b32_e32 v5, 16, v3
	v_and_b32_e32 v2, 0xffff, v3
	s_mov_b32 s8, exec_lo
                                        ; implicit-def: $vgpr4
	s_delay_alu instid0(VALU_DEP_2) | instskip(NEXT) | instid1(VALU_DEP_1)
	v_and_b32_e32 v6, 0x7fffffff, v5
	v_cmpx_gt_u32_e32 0x47800000, v6
	s_xor_b32 s8, exec_lo, s8
	s_cbranch_execz .LBB31_1037
; %bb.1032:
	s_mov_b32 s9, exec_lo
                                        ; implicit-def: $vgpr4
	v_cmpx_lt_u32_e32 0x387fffff, v6
	s_xor_b32 s9, exec_lo, s9
; %bb.1033:
	v_bfe_u32 v4, v2, 5, 1
	s_delay_alu instid0(VALU_DEP_1) | instskip(NEXT) | instid1(VALU_DEP_1)
	v_add3_u32 v4, v5, v4, 0x80fffff
                                        ; implicit-def: $vgpr5
	v_lshrrev_b32_e32 v4, 21, v4
; %bb.1034:
	s_and_not1_saveexec_b32 s9, s9
; %bb.1035:
	v_add_f32_e64 v4, 0x43000000, |v5|
; %bb.1036:
	s_or_b32 exec_lo, exec_lo, s9
                                        ; implicit-def: $vgpr6
.LBB31_1037:
	s_and_not1_saveexec_b32 s8, s8
; %bb.1038:
	v_mov_b32_e32 v4, 0x7f
	v_cmp_lt_u32_e32 vcc_lo, 0x7f800000, v6
	s_delay_alu instid0(VALU_DEP_2)
	v_cndmask_b32_e32 v4, 0x7c, v4, vcc_lo
; %bb.1039:
	s_or_b32 exec_lo, exec_lo, s8
	v_lshrrev_b32_e32 v2, 8, v2
	s_delay_alu instid0(VALU_DEP_1)
	v_and_or_b32 v2, 0x80, v2, v4
	global_store_b8 v[0:1], v2, off
.LBB31_1040:
	s_mov_b32 s8, 0
.LBB31_1041:
	s_delay_alu instid0(SALU_CYCLE_1)
	s_and_not1_b32 vcc_lo, exec_lo, s8
	s_mov_b32 s9, 0
	s_cbranch_vccnz .LBB31_1052
; %bb.1042:
	s_cmp_gt_i32 s4, 14
	s_mov_b32 s8, -1
	s_cbranch_scc0 .LBB31_1046
; %bb.1043:
	s_cmp_eq_u32 s4, 15
	s_mov_b32 s0, -1
	s_cbranch_scc0 .LBB31_1045
; %bb.1044:
	s_mov_b32 s0, 0
	global_store_b16 v[0:1], v3, off
.LBB31_1045:
	s_mov_b32 s8, 0
.LBB31_1046:
	s_delay_alu instid0(SALU_CYCLE_1)
	s_and_b32 vcc_lo, exec_lo, s8
	s_cbranch_vccz .LBB31_1052
; %bb.1047:
	s_cmp_lg_u32 s4, 11
	s_mov_b32 s9, -1
	s_cselect_b32 s4, -1, 0
	s_and_not1_b32 s0, s0, exec_lo
	s_and_b32 s4, s4, exec_lo
	s_delay_alu instid0(SALU_CYCLE_1)
	s_or_b32 s0, s0, s4
	s_branch .LBB31_1052
.LBB31_1048:
	s_or_b32 exec_lo, exec_lo, s7
	s_and_saveexec_b32 s0, s41
	s_cbranch_execnz .LBB31_1053
.LBB31_1049:
	s_or_b32 exec_lo, exec_lo, s0
	s_and_saveexec_b32 s0, s10
	s_delay_alu instid0(SALU_CYCLE_1)
	s_xor_b32 s0, exec_lo, s0
	s_cbranch_execz .LBB31_1054
.LBB31_1050:
	v_and_b32_e32 v2, 0x7fff, v3
	s_delay_alu instid0(VALU_DEP_1)
	v_cmp_ne_u16_e32 vcc_lo, 0, v2
	v_cndmask_b32_e64 v2, 0, 1, vcc_lo
	s_wait_loadcnt 0x0
	global_store_b8 v[0:1], v2, off
	s_wait_xcnt 0x0
	s_or_b32 exec_lo, exec_lo, s0
	s_and_saveexec_b32 s0, s8
	s_delay_alu instid0(SALU_CYCLE_1)
	s_xor_b32 s0, exec_lo, s0
	s_cbranch_execz .LBB31_1092
	s_branch .LBB31_1055
.LBB31_1051:
	s_mov_b32 s9, 0
.LBB31_1052:
	s_and_not1_b32 s4, s41, exec_lo
	s_and_b32 s0, s0, exec_lo
	s_and_b32 s8, s5, exec_lo
	;; [unrolled: 1-line block ×3, first 2 shown]
	s_or_b32 s41, s4, s0
	s_wait_xcnt 0x0
	s_or_b32 exec_lo, exec_lo, s7
	s_and_saveexec_b32 s0, s41
	s_cbranch_execz .LBB31_1049
.LBB31_1053:
	s_or_b32 s1, s1, exec_lo
	s_and_not1_b32 s10, s10, exec_lo
	s_trap 2
	s_or_b32 exec_lo, exec_lo, s0
	s_and_saveexec_b32 s0, s10
	s_delay_alu instid0(SALU_CYCLE_1)
	s_xor_b32 s0, exec_lo, s0
	s_cbranch_execnz .LBB31_1050
.LBB31_1054:
	s_or_b32 exec_lo, exec_lo, s0
	s_and_saveexec_b32 s0, s8
	s_delay_alu instid0(SALU_CYCLE_1)
	s_xor_b32 s0, exec_lo, s0
	s_cbranch_execz .LBB31_1092
.LBB31_1055:
	s_sext_i32_i16 s5, s6
	s_mov_b32 s4, -1
	s_cmp_lt_i32 s5, 5
	s_cbranch_scc1 .LBB31_1076
; %bb.1056:
	s_cmp_lt_i32 s5, 8
	s_cbranch_scc1 .LBB31_1066
; %bb.1057:
	;; [unrolled: 3-line block ×3, first 2 shown]
	s_cmp_gt_i32 s5, 9
	s_cbranch_scc0 .LBB31_1060
; %bb.1059:
	s_wait_loadcnt 0x0
	v_dual_lshlrev_b32 v2, 16, v3 :: v_dual_mov_b32 v6, 0
	s_mov_b32 s4, 0
	s_delay_alu instid0(VALU_DEP_1) | instskip(NEXT) | instid1(VALU_DEP_2)
	v_cvt_f64_f32_e32 v[4:5], v2
	v_mov_b32_e32 v7, v6
	global_store_b128 v[0:1], v[4:7], off
.LBB31_1060:
	s_and_not1_b32 vcc_lo, exec_lo, s4
	s_cbranch_vccnz .LBB31_1062
; %bb.1061:
	s_wait_xcnt 0x0
	v_dual_mov_b32 v5, 0 :: v_dual_lshlrev_b32 v4, 16, v3
	s_wait_loadcnt 0x0
	global_store_b64 v[0:1], v[4:5], off
.LBB31_1062:
	s_mov_b32 s4, 0
.LBB31_1063:
	s_delay_alu instid0(SALU_CYCLE_1)
	s_and_not1_b32 vcc_lo, exec_lo, s4
	s_cbranch_vccnz .LBB31_1065
; %bb.1064:
	v_lshlrev_b32_e32 v2, 16, v3
	s_delay_alu instid0(VALU_DEP_1) | instskip(NEXT) | instid1(VALU_DEP_1)
	v_cvt_f16_f32_e32 v2, v2
	v_and_b32_e32 v2, 0xffff, v2
	s_wait_loadcnt 0x0
	global_store_b32 v[0:1], v2, off
.LBB31_1065:
	s_mov_b32 s4, 0
.LBB31_1066:
	s_delay_alu instid0(SALU_CYCLE_1)
	s_and_not1_b32 vcc_lo, exec_lo, s4
	s_cbranch_vccnz .LBB31_1075
; %bb.1067:
	s_sext_i32_i16 s5, s6
	s_mov_b32 s4, -1
	s_cmp_lt_i32 s5, 6
	s_cbranch_scc1 .LBB31_1073
; %bb.1068:
	s_cmp_gt_i32 s5, 6
	s_cbranch_scc0 .LBB31_1070
; %bb.1069:
	s_wait_xcnt 0x0
	v_lshlrev_b32_e32 v2, 16, v3
	s_mov_b32 s4, 0
	s_delay_alu instid0(VALU_DEP_1)
	v_cvt_f64_f32_e32 v[4:5], v2
	s_wait_loadcnt 0x0
	global_store_b64 v[0:1], v[4:5], off
.LBB31_1070:
	s_and_not1_b32 vcc_lo, exec_lo, s4
	s_cbranch_vccnz .LBB31_1072
; %bb.1071:
	s_wait_xcnt 0x0
	v_lshlrev_b32_e32 v2, 16, v3
	s_wait_loadcnt 0x0
	global_store_b32 v[0:1], v2, off
.LBB31_1072:
	s_mov_b32 s4, 0
.LBB31_1073:
	s_delay_alu instid0(SALU_CYCLE_1)
	s_and_not1_b32 vcc_lo, exec_lo, s4
	s_cbranch_vccnz .LBB31_1075
; %bb.1074:
	s_wait_xcnt 0x0
	v_lshlrev_b32_e32 v2, 16, v3
	s_delay_alu instid0(VALU_DEP_1)
	v_cvt_f16_f32_e32 v2, v2
	s_wait_loadcnt 0x0
	global_store_b16 v[0:1], v2, off
.LBB31_1075:
	s_mov_b32 s4, 0
.LBB31_1076:
	s_delay_alu instid0(SALU_CYCLE_1)
	s_and_not1_b32 vcc_lo, exec_lo, s4
	s_cbranch_vccnz .LBB31_1092
; %bb.1077:
	s_sext_i32_i16 s5, s6
	s_mov_b32 s4, -1
	s_cmp_lt_i32 s5, 2
	s_cbranch_scc1 .LBB31_1087
; %bb.1078:
	s_cmp_lt_i32 s5, 3
	s_cbranch_scc1 .LBB31_1084
; %bb.1079:
	s_cmp_gt_i32 s5, 3
	s_cbranch_scc0 .LBB31_1081
; %bb.1080:
	s_wait_xcnt 0x0
	v_lshlrev_b32_e32 v2, 16, v3
	s_mov_b32 s4, 0
	s_delay_alu instid0(VALU_DEP_1) | instskip(NEXT) | instid1(VALU_DEP_1)
	v_trunc_f32_e32 v2, v2
	v_mul_f32_e64 v4, 0x2f800000, |v2|
	s_delay_alu instid0(VALU_DEP_1) | instskip(SKIP_2) | instid1(VALU_DEP_2)
	v_floor_f32_e32 v5, v4
	v_ashrrev_i32_e32 v4, 31, v2
	s_wait_loadcnt 0x0
	v_fma_f32 v6, 0xcf800000, v5, |v2|
	v_cvt_u32_f32_e32 v2, v5
	s_delay_alu instid0(VALU_DEP_3) | instskip(NEXT) | instid1(VALU_DEP_3)
	v_mov_b32_e32 v5, v4
	v_cvt_u32_f32_e32 v6, v6
	s_delay_alu instid0(VALU_DEP_3) | instskip(NEXT) | instid1(VALU_DEP_2)
	v_xor_b32_e32 v7, v2, v4
	v_xor_b32_e32 v6, v6, v4
	s_delay_alu instid0(VALU_DEP_1)
	v_sub_nc_u64_e32 v[4:5], v[6:7], v[4:5]
	global_store_b64 v[0:1], v[4:5], off
.LBB31_1081:
	s_and_not1_b32 vcc_lo, exec_lo, s4
	s_cbranch_vccnz .LBB31_1083
; %bb.1082:
	s_wait_xcnt 0x0
	v_lshlrev_b32_e32 v2, 16, v3
	s_delay_alu instid0(VALU_DEP_1)
	v_cvt_i32_f32_e32 v2, v2
	s_wait_loadcnt 0x0
	global_store_b32 v[0:1], v2, off
.LBB31_1083:
	s_mov_b32 s4, 0
.LBB31_1084:
	s_delay_alu instid0(SALU_CYCLE_1)
	s_and_not1_b32 vcc_lo, exec_lo, s4
	s_cbranch_vccnz .LBB31_1086
; %bb.1085:
	s_wait_xcnt 0x0
	v_lshlrev_b32_e32 v2, 16, v3
	s_delay_alu instid0(VALU_DEP_1)
	v_cvt_i32_f32_e32 v2, v2
	s_wait_loadcnt 0x0
	global_store_b16 v[0:1], v2, off
.LBB31_1086:
	s_mov_b32 s4, 0
.LBB31_1087:
	s_delay_alu instid0(SALU_CYCLE_1)
	s_and_not1_b32 vcc_lo, exec_lo, s4
	s_cbranch_vccnz .LBB31_1092
; %bb.1088:
	s_sext_i32_i16 s4, s6
	s_delay_alu instid0(SALU_CYCLE_1)
	s_cmp_gt_i32 s4, 0
	s_mov_b32 s4, -1
	s_cbranch_scc0 .LBB31_1090
; %bb.1089:
	s_wait_xcnt 0x0
	v_lshlrev_b32_e32 v2, 16, v3
	s_mov_b32 s4, 0
	s_delay_alu instid0(VALU_DEP_1)
	v_cvt_i32_f32_e32 v2, v2
	s_wait_loadcnt 0x0
	global_store_b8 v[0:1], v2, off
.LBB31_1090:
	s_and_not1_b32 vcc_lo, exec_lo, s4
	s_cbranch_vccnz .LBB31_1092
; %bb.1091:
	s_wait_xcnt 0x0
	v_lshlrev_b32_e32 v2, 16, v3
	s_delay_alu instid0(VALU_DEP_1) | instskip(NEXT) | instid1(VALU_DEP_1)
	v_trunc_f32_e32 v2, v2
	v_mul_f32_e64 v3, 0x2f800000, |v2|
	s_delay_alu instid0(VALU_DEP_1) | instskip(NEXT) | instid1(VALU_DEP_1)
	v_floor_f32_e32 v3, v3
	v_fma_f32 v3, 0xcf800000, v3, |v2|
	v_ashrrev_i32_e32 v2, 31, v2
	s_delay_alu instid0(VALU_DEP_2) | instskip(NEXT) | instid1(VALU_DEP_1)
	v_cvt_u32_f32_e32 v3, v3
	v_xor_b32_e32 v3, v3, v2
	s_delay_alu instid0(VALU_DEP_1)
	v_sub_nc_u32_e32 v2, v3, v2
	s_wait_loadcnt 0x0
	global_store_b8 v[0:1], v2, off
.LBB31_1092:
	s_wait_xcnt 0x0
	s_or_b32 exec_lo, exec_lo, s0
	s_delay_alu instid0(SALU_CYCLE_1)
	s_and_b32 s8, s1, exec_lo
                                        ; implicit-def: $vgpr9
                                        ; implicit-def: $vgpr0
.LBB31_1093:
	s_or_saveexec_b32 s9, s33
	s_mov_b32 s0, 0
                                        ; implicit-def: $vgpr2_vgpr3
                                        ; implicit-def: $sgpr6
                                        ; implicit-def: $vgpr1
	s_xor_b32 exec_lo, exec_lo, s9
	s_cbranch_execz .LBB31_2102
; %bb.1094:
	s_wait_loadcnt 0x0
	v_cndmask_b32_e64 v1, 0, 1, s31
	s_and_not1_b32 vcc_lo, exec_lo, s31
	s_cbranch_vccnz .LBB31_1100
; %bb.1095:
	s_cmp_lg_u32 s28, 0
	s_mov_b32 s10, 0
	s_cbranch_scc0 .LBB31_1101
; %bb.1096:
	s_min_u32 s1, s29, 15
	s_delay_alu instid0(SALU_CYCLE_1)
	s_add_co_i32 s1, s1, 1
	s_cmp_eq_u32 s29, 2
	s_cbranch_scc1 .LBB31_1102
; %bb.1097:
	v_dual_mov_b32 v6, 0 :: v_dual_mov_b32 v14, 0
	v_mov_b32_e32 v2, v0
	s_and_b32 s0, s1, 28
	s_add_nc_u64 s[4:5], s[2:3], 0xc4
	s_mov_b32 s11, 0
	s_mov_b64 s[6:7], s[2:3]
.LBB31_1098:                            ; =>This Inner Loop Header: Depth=1
	s_clause 0x1
	s_load_b256 s[12:19], s[6:7], 0x4
	s_load_b128 s[36:39], s[6:7], 0x24
	s_load_b256 s[20:27], s[4:5], 0x0
	s_add_co_i32 s11, s11, 4
	s_wait_xcnt 0x0
	s_add_nc_u64 s[6:7], s[6:7], 48
	s_cmp_lg_u32 s0, s11
	s_add_nc_u64 s[4:5], s[4:5], 32
	s_wait_kmcnt 0x0
	v_mul_hi_u32 v3, s13, v2
	s_delay_alu instid0(VALU_DEP_1) | instskip(NEXT) | instid1(VALU_DEP_1)
	v_add_nc_u32_e32 v3, v2, v3
	v_lshrrev_b32_e32 v3, s14, v3
	s_delay_alu instid0(VALU_DEP_1) | instskip(NEXT) | instid1(VALU_DEP_1)
	v_mul_hi_u32 v4, s16, v3
	v_add_nc_u32_e32 v4, v3, v4
	s_delay_alu instid0(VALU_DEP_1) | instskip(NEXT) | instid1(VALU_DEP_1)
	v_lshrrev_b32_e32 v4, s17, v4
	v_mul_hi_u32 v5, s19, v4
	s_delay_alu instid0(VALU_DEP_1) | instskip(SKIP_1) | instid1(VALU_DEP_1)
	v_add_nc_u32_e32 v5, v4, v5
	v_mul_lo_u32 v7, v3, s12
	v_sub_nc_u32_e32 v2, v2, v7
	v_mul_lo_u32 v7, v4, s15
	s_delay_alu instid0(VALU_DEP_4) | instskip(NEXT) | instid1(VALU_DEP_3)
	v_lshrrev_b32_e32 v5, s36, v5
	v_mad_u32 v10, v2, s21, v14
	v_mad_u32 v2, v2, s20, v6
	s_delay_alu instid0(VALU_DEP_4) | instskip(NEXT) | instid1(VALU_DEP_4)
	v_sub_nc_u32_e32 v3, v3, v7
	v_mul_hi_u32 v8, s38, v5
	v_mul_lo_u32 v6, v5, s18
	s_delay_alu instid0(VALU_DEP_1) | instskip(NEXT) | instid1(VALU_DEP_4)
	v_dual_add_nc_u32 v7, v5, v8 :: v_dual_sub_nc_u32 v4, v4, v6
	v_mad_u32 v8, v3, s23, v10
	v_mad_u32 v3, v3, s22, v2
	s_delay_alu instid0(VALU_DEP_3) | instskip(NEXT) | instid1(VALU_DEP_1)
	v_lshrrev_b32_e32 v2, s39, v7
	v_mul_lo_u32 v6, v2, s37
	s_delay_alu instid0(VALU_DEP_4) | instskip(NEXT) | instid1(VALU_DEP_4)
	v_mad_u32 v7, v4, s25, v8
	v_mad_u32 v3, v4, s24, v3
	s_delay_alu instid0(VALU_DEP_3) | instskip(NEXT) | instid1(VALU_DEP_1)
	v_sub_nc_u32_e32 v4, v5, v6
	v_mad_u32 v14, v4, s27, v7
	s_delay_alu instid0(VALU_DEP_3)
	v_mad_u32 v6, v4, s26, v3
	s_cbranch_scc1 .LBB31_1098
; %bb.1099:
	s_delay_alu instid0(VALU_DEP_2)
	v_mov_b32_e32 v7, v14
	s_and_b32 s6, s1, 3
	s_mov_b32 s1, 0
	s_cmp_eq_u32 s6, 0
	s_cbranch_scc0 .LBB31_1103
	s_branch .LBB31_1106
.LBB31_1100:
	s_mov_b32 s10, -1
                                        ; implicit-def: $vgpr14
                                        ; implicit-def: $vgpr6
	s_branch .LBB31_1106
.LBB31_1101:
	v_dual_mov_b32 v14, 0 :: v_dual_mov_b32 v6, 0
	s_branch .LBB31_1106
.LBB31_1102:
	v_mov_b64_e32 v[6:7], 0
	v_mov_b32_e32 v2, v0
                                        ; implicit-def: $vgpr14
	s_and_b32 s6, s1, 3
	s_mov_b32 s1, 0
	s_cmp_eq_u32 s6, 0
	s_cbranch_scc1 .LBB31_1106
.LBB31_1103:
	s_lshl_b32 s4, s0, 3
	s_mov_b32 s5, s1
	s_mul_u64 s[12:13], s[0:1], 12
	s_add_nc_u64 s[4:5], s[2:3], s[4:5]
	s_delay_alu instid0(SALU_CYCLE_1)
	s_add_nc_u64 s[0:1], s[4:5], 0xc4
	s_add_nc_u64 s[4:5], s[2:3], s[12:13]
.LBB31_1104:                            ; =>This Inner Loop Header: Depth=1
	s_load_b96 s[12:14], s[4:5], 0x4
	s_add_co_i32 s6, s6, -1
	s_wait_xcnt 0x0
	s_add_nc_u64 s[4:5], s[4:5], 12
	s_cmp_lg_u32 s6, 0
	s_wait_kmcnt 0x0
	v_mul_hi_u32 v3, s13, v2
	s_delay_alu instid0(VALU_DEP_1) | instskip(NEXT) | instid1(VALU_DEP_1)
	v_add_nc_u32_e32 v3, v2, v3
	v_lshrrev_b32_e32 v3, s14, v3
	s_load_b64 s[14:15], s[0:1], 0x0
	s_wait_xcnt 0x0
	s_add_nc_u64 s[0:1], s[0:1], 8
	s_delay_alu instid0(VALU_DEP_1) | instskip(NEXT) | instid1(VALU_DEP_1)
	v_mul_lo_u32 v4, v3, s12
	v_sub_nc_u32_e32 v2, v2, v4
	s_wait_kmcnt 0x0
	s_delay_alu instid0(VALU_DEP_1)
	v_mad_u32 v7, v2, s15, v7
	v_mad_u32 v6, v2, s14, v6
	v_mov_b32_e32 v2, v3
	s_cbranch_scc1 .LBB31_1104
; %bb.1105:
	s_delay_alu instid0(VALU_DEP_3)
	v_mov_b32_e32 v14, v7
.LBB31_1106:
	s_and_not1_b32 vcc_lo, exec_lo, s10
	s_cbranch_vccnz .LBB31_1109
; %bb.1107:
	s_clause 0x1
	s_load_b96 s[4:6], s[2:3], 0x4
	s_load_b64 s[0:1], s[2:3], 0xc4
	s_cmp_lt_u32 s28, 2
	s_wait_kmcnt 0x0
	v_mul_hi_u32 v2, s5, v0
	s_delay_alu instid0(VALU_DEP_1) | instskip(NEXT) | instid1(VALU_DEP_1)
	v_add_nc_u32_e32 v2, v0, v2
	v_lshrrev_b32_e32 v2, s6, v2
	s_delay_alu instid0(VALU_DEP_1) | instskip(NEXT) | instid1(VALU_DEP_1)
	v_mul_lo_u32 v3, v2, s4
	v_sub_nc_u32_e32 v3, v0, v3
	s_delay_alu instid0(VALU_DEP_1)
	v_mul_lo_u32 v14, v3, s1
	v_mul_lo_u32 v6, v3, s0
	s_cbranch_scc1 .LBB31_1109
; %bb.1108:
	s_clause 0x1
	s_load_b96 s[4:6], s[2:3], 0x10
	s_load_b64 s[0:1], s[2:3], 0xcc
	s_wait_kmcnt 0x0
	v_mul_hi_u32 v3, s5, v2
	s_delay_alu instid0(VALU_DEP_1) | instskip(NEXT) | instid1(VALU_DEP_1)
	v_add_nc_u32_e32 v3, v2, v3
	v_lshrrev_b32_e32 v3, s6, v3
	s_delay_alu instid0(VALU_DEP_1) | instskip(NEXT) | instid1(VALU_DEP_1)
	v_mul_lo_u32 v3, v3, s4
	v_sub_nc_u32_e32 v2, v2, v3
	s_delay_alu instid0(VALU_DEP_1)
	v_mad_u32 v6, v2, s0, v6
	v_mad_u32 v14, v2, s1, v14
.LBB31_1109:
	v_cmp_ne_u32_e32 vcc_lo, 1, v1
	v_add_nc_u32_e32 v2, 0x80, v0
	s_cbranch_vccnz .LBB31_1115
; %bb.1110:
	s_cmp_lg_u32 s28, 0
	s_mov_b32 s10, 0
	s_cbranch_scc0 .LBB31_1116
; %bb.1111:
	s_min_u32 s1, s29, 15
	s_delay_alu instid0(SALU_CYCLE_1)
	s_add_co_i32 s1, s1, 1
	s_cmp_eq_u32 s29, 2
	s_cbranch_scc1 .LBB31_1117
; %bb.1112:
	v_dual_mov_b32 v4, 0 :: v_dual_mov_b32 v12, 0
	v_mov_b32_e32 v3, v2
	s_and_b32 s0, s1, 28
	s_add_nc_u64 s[4:5], s[2:3], 0xc4
	s_mov_b32 s11, 0
	s_mov_b64 s[6:7], s[2:3]
.LBB31_1113:                            ; =>This Inner Loop Header: Depth=1
	s_clause 0x1
	s_load_b256 s[12:19], s[6:7], 0x4
	s_load_b128 s[36:39], s[6:7], 0x24
	s_load_b256 s[20:27], s[4:5], 0x0
	s_add_co_i32 s11, s11, 4
	s_wait_xcnt 0x0
	s_add_nc_u64 s[6:7], s[6:7], 48
	s_cmp_lg_u32 s0, s11
	s_add_nc_u64 s[4:5], s[4:5], 32
	s_wait_kmcnt 0x0
	v_mul_hi_u32 v5, s13, v3
	s_delay_alu instid0(VALU_DEP_1) | instskip(NEXT) | instid1(VALU_DEP_1)
	v_add_nc_u32_e32 v5, v3, v5
	v_lshrrev_b32_e32 v5, s14, v5
	s_delay_alu instid0(VALU_DEP_1) | instskip(NEXT) | instid1(VALU_DEP_1)
	v_mul_hi_u32 v7, s16, v5
	v_add_nc_u32_e32 v7, v5, v7
	s_delay_alu instid0(VALU_DEP_1) | instskip(NEXT) | instid1(VALU_DEP_1)
	v_lshrrev_b32_e32 v7, s17, v7
	v_mul_hi_u32 v8, s19, v7
	s_delay_alu instid0(VALU_DEP_1) | instskip(SKIP_1) | instid1(VALU_DEP_1)
	v_add_nc_u32_e32 v8, v7, v8
	v_mul_lo_u32 v10, v5, s12
	v_sub_nc_u32_e32 v3, v3, v10
	v_mul_lo_u32 v10, v7, s15
	s_delay_alu instid0(VALU_DEP_4) | instskip(NEXT) | instid1(VALU_DEP_3)
	v_lshrrev_b32_e32 v8, s36, v8
	v_mad_u32 v12, v3, s21, v12
	v_mad_u32 v3, v3, s20, v4
	s_delay_alu instid0(VALU_DEP_4) | instskip(NEXT) | instid1(VALU_DEP_4)
	v_sub_nc_u32_e32 v4, v5, v10
	v_mul_hi_u32 v11, s38, v8
	v_mul_lo_u32 v5, v8, s18
	s_delay_alu instid0(VALU_DEP_1) | instskip(NEXT) | instid1(VALU_DEP_4)
	v_dual_add_nc_u32 v10, v8, v11 :: v_dual_sub_nc_u32 v5, v7, v5
	v_mad_u32 v11, v4, s23, v12
	v_mad_u32 v4, v4, s22, v3
	s_delay_alu instid0(VALU_DEP_3) | instskip(NEXT) | instid1(VALU_DEP_1)
	v_lshrrev_b32_e32 v3, s39, v10
	v_mul_lo_u32 v7, v3, s37
	s_delay_alu instid0(VALU_DEP_4) | instskip(NEXT) | instid1(VALU_DEP_4)
	v_mad_u32 v10, v5, s25, v11
	v_mad_u32 v4, v5, s24, v4
	s_delay_alu instid0(VALU_DEP_3) | instskip(NEXT) | instid1(VALU_DEP_1)
	v_sub_nc_u32_e32 v5, v8, v7
	v_mad_u32 v12, v5, s27, v10
	s_delay_alu instid0(VALU_DEP_3)
	v_mad_u32 v4, v5, s26, v4
	s_cbranch_scc1 .LBB31_1113
; %bb.1114:
	s_delay_alu instid0(VALU_DEP_2)
	v_mov_b32_e32 v5, v12
	s_and_b32 s6, s1, 3
	s_mov_b32 s1, 0
	s_cmp_eq_u32 s6, 0
	s_cbranch_scc0 .LBB31_1118
	s_branch .LBB31_1121
.LBB31_1115:
	s_mov_b32 s10, -1
                                        ; implicit-def: $vgpr12
                                        ; implicit-def: $vgpr4
	s_branch .LBB31_1121
.LBB31_1116:
	v_dual_mov_b32 v12, 0 :: v_dual_mov_b32 v4, 0
	s_branch .LBB31_1121
.LBB31_1117:
	v_mov_b64_e32 v[4:5], 0
	v_mov_b32_e32 v3, v2
	s_mov_b32 s0, 0
                                        ; implicit-def: $vgpr12
	s_and_b32 s6, s1, 3
	s_mov_b32 s1, 0
	s_cmp_eq_u32 s6, 0
	s_cbranch_scc1 .LBB31_1121
.LBB31_1118:
	s_lshl_b32 s4, s0, 3
	s_mov_b32 s5, s1
	s_mul_u64 s[12:13], s[0:1], 12
	s_add_nc_u64 s[4:5], s[2:3], s[4:5]
	s_delay_alu instid0(SALU_CYCLE_1)
	s_add_nc_u64 s[0:1], s[4:5], 0xc4
	s_add_nc_u64 s[4:5], s[2:3], s[12:13]
.LBB31_1119:                            ; =>This Inner Loop Header: Depth=1
	s_load_b96 s[12:14], s[4:5], 0x4
	s_add_co_i32 s6, s6, -1
	s_wait_xcnt 0x0
	s_add_nc_u64 s[4:5], s[4:5], 12
	s_cmp_lg_u32 s6, 0
	s_wait_kmcnt 0x0
	v_mul_hi_u32 v7, s13, v3
	s_delay_alu instid0(VALU_DEP_1) | instskip(NEXT) | instid1(VALU_DEP_1)
	v_add_nc_u32_e32 v7, v3, v7
	v_lshrrev_b32_e32 v7, s14, v7
	s_load_b64 s[14:15], s[0:1], 0x0
	s_wait_xcnt 0x0
	s_add_nc_u64 s[0:1], s[0:1], 8
	s_delay_alu instid0(VALU_DEP_1) | instskip(NEXT) | instid1(VALU_DEP_1)
	v_mul_lo_u32 v8, v7, s12
	v_sub_nc_u32_e32 v3, v3, v8
	s_wait_kmcnt 0x0
	s_delay_alu instid0(VALU_DEP_1)
	v_mad_u32 v5, v3, s15, v5
	v_mad_u32 v4, v3, s14, v4
	v_mov_b32_e32 v3, v7
	s_cbranch_scc1 .LBB31_1119
; %bb.1120:
	s_delay_alu instid0(VALU_DEP_3)
	v_mov_b32_e32 v12, v5
.LBB31_1121:
	s_and_not1_b32 vcc_lo, exec_lo, s10
	s_cbranch_vccnz .LBB31_1124
; %bb.1122:
	s_clause 0x1
	s_load_b96 s[4:6], s[2:3], 0x4
	s_load_b64 s[0:1], s[2:3], 0xc4
	s_cmp_lt_u32 s28, 2
	s_wait_kmcnt 0x0
	v_mul_hi_u32 v3, s5, v2
	s_delay_alu instid0(VALU_DEP_1) | instskip(NEXT) | instid1(VALU_DEP_1)
	v_add_nc_u32_e32 v3, v2, v3
	v_lshrrev_b32_e32 v3, s6, v3
	s_delay_alu instid0(VALU_DEP_1) | instskip(NEXT) | instid1(VALU_DEP_1)
	v_mul_lo_u32 v4, v3, s4
	v_sub_nc_u32_e32 v2, v2, v4
	s_delay_alu instid0(VALU_DEP_1)
	v_mul_lo_u32 v12, v2, s1
	v_mul_lo_u32 v4, v2, s0
	s_cbranch_scc1 .LBB31_1124
; %bb.1123:
	s_clause 0x1
	s_load_b96 s[4:6], s[2:3], 0x10
	s_load_b64 s[0:1], s[2:3], 0xcc
	s_wait_kmcnt 0x0
	v_mul_hi_u32 v2, s5, v3
	s_delay_alu instid0(VALU_DEP_1) | instskip(NEXT) | instid1(VALU_DEP_1)
	v_add_nc_u32_e32 v2, v3, v2
	v_lshrrev_b32_e32 v2, s6, v2
	s_delay_alu instid0(VALU_DEP_1) | instskip(NEXT) | instid1(VALU_DEP_1)
	v_mul_lo_u32 v2, v2, s4
	v_sub_nc_u32_e32 v2, v3, v2
	s_delay_alu instid0(VALU_DEP_1)
	v_mad_u32 v4, v2, s0, v4
	v_mad_u32 v12, v2, s1, v12
.LBB31_1124:
	v_cmp_ne_u32_e32 vcc_lo, 1, v1
	v_add_nc_u32_e32 v0, 0x100, v0
	s_cbranch_vccnz .LBB31_1130
; %bb.1125:
	s_cmp_lg_u32 s28, 0
	s_mov_b32 s10, 0
	s_cbranch_scc0 .LBB31_1131
; %bb.1126:
	s_min_u32 s1, s29, 15
	s_delay_alu instid0(SALU_CYCLE_1)
	s_add_co_i32 s1, s1, 1
	s_cmp_eq_u32 s29, 2
	s_cbranch_scc1 .LBB31_1132
; %bb.1127:
	v_dual_mov_b32 v2, 0 :: v_dual_mov_b32 v10, 0
	v_mov_b32_e32 v5, v0
	s_and_b32 s0, s1, 28
	s_add_nc_u64 s[4:5], s[2:3], 0xc4
	s_mov_b32 s11, 0
	s_mov_b64 s[6:7], s[2:3]
.LBB31_1128:                            ; =>This Inner Loop Header: Depth=1
	s_clause 0x1
	s_load_b256 s[12:19], s[6:7], 0x4
	s_load_b128 s[36:39], s[6:7], 0x24
	s_load_b256 s[20:27], s[4:5], 0x0
	s_add_co_i32 s11, s11, 4
	s_wait_xcnt 0x0
	s_add_nc_u64 s[6:7], s[6:7], 48
	s_cmp_lg_u32 s0, s11
	s_add_nc_u64 s[4:5], s[4:5], 32
	s_wait_kmcnt 0x0
	v_mul_hi_u32 v3, s13, v5
	s_delay_alu instid0(VALU_DEP_1) | instskip(NEXT) | instid1(VALU_DEP_1)
	v_add_nc_u32_e32 v3, v5, v3
	v_lshrrev_b32_e32 v3, s14, v3
	s_delay_alu instid0(VALU_DEP_1) | instskip(NEXT) | instid1(VALU_DEP_1)
	v_mul_hi_u32 v7, s16, v3
	v_add_nc_u32_e32 v7, v3, v7
	s_delay_alu instid0(VALU_DEP_1) | instskip(NEXT) | instid1(VALU_DEP_1)
	v_lshrrev_b32_e32 v7, s17, v7
	v_mul_hi_u32 v8, s19, v7
	s_delay_alu instid0(VALU_DEP_1) | instskip(NEXT) | instid1(VALU_DEP_1)
	v_add_nc_u32_e32 v8, v7, v8
	v_lshrrev_b32_e32 v8, s36, v8
	v_mul_lo_u32 v11, v3, s12
	s_delay_alu instid0(VALU_DEP_2) | instskip(NEXT) | instid1(VALU_DEP_2)
	v_mul_hi_u32 v13, s38, v8
	v_sub_nc_u32_e32 v5, v5, v11
	s_delay_alu instid0(VALU_DEP_1) | instskip(SKIP_1) | instid1(VALU_DEP_4)
	v_mad_u32 v10, v5, s21, v10
	v_mad_u32 v2, v5, s20, v2
	v_add_nc_u32_e32 v5, v8, v13
	s_delay_alu instid0(VALU_DEP_1) | instskip(SKIP_1) | instid1(VALU_DEP_1)
	v_lshrrev_b32_e32 v5, s39, v5
	v_mul_lo_u32 v11, v7, s15
	v_sub_nc_u32_e32 v3, v3, v11
	v_mul_lo_u32 v11, v8, s18
	s_delay_alu instid0(VALU_DEP_2) | instskip(SKIP_1) | instid1(VALU_DEP_3)
	v_mad_u32 v10, v3, s23, v10
	v_mad_u32 v2, v3, s22, v2
	v_sub_nc_u32_e32 v3, v7, v11
	v_mul_lo_u32 v7, v5, s37
	s_delay_alu instid0(VALU_DEP_2) | instskip(NEXT) | instid1(VALU_DEP_4)
	v_mad_u32 v10, v3, s25, v10
	v_mad_u32 v2, v3, s24, v2
	s_delay_alu instid0(VALU_DEP_3) | instskip(NEXT) | instid1(VALU_DEP_1)
	v_sub_nc_u32_e32 v3, v8, v7
	v_mad_u32 v10, v3, s27, v10
	s_delay_alu instid0(VALU_DEP_3)
	v_mad_u32 v2, v3, s26, v2
	s_cbranch_scc1 .LBB31_1128
; %bb.1129:
	s_delay_alu instid0(VALU_DEP_2)
	v_mov_b32_e32 v3, v10
	s_and_b32 s6, s1, 3
	s_mov_b32 s1, 0
	s_cmp_eq_u32 s6, 0
	s_cbranch_scc0 .LBB31_1133
	s_branch .LBB31_1136
.LBB31_1130:
	s_mov_b32 s10, -1
                                        ; implicit-def: $vgpr10
                                        ; implicit-def: $vgpr2
	s_branch .LBB31_1136
.LBB31_1131:
	v_dual_mov_b32 v10, 0 :: v_dual_mov_b32 v2, 0
	s_branch .LBB31_1136
.LBB31_1132:
	v_mov_b64_e32 v[2:3], 0
	v_mov_b32_e32 v5, v0
	s_mov_b32 s0, 0
                                        ; implicit-def: $vgpr10
	s_and_b32 s6, s1, 3
	s_mov_b32 s1, 0
	s_cmp_eq_u32 s6, 0
	s_cbranch_scc1 .LBB31_1136
.LBB31_1133:
	s_lshl_b32 s4, s0, 3
	s_mov_b32 s5, s1
	s_mul_u64 s[12:13], s[0:1], 12
	s_add_nc_u64 s[4:5], s[2:3], s[4:5]
	s_delay_alu instid0(SALU_CYCLE_1)
	s_add_nc_u64 s[0:1], s[4:5], 0xc4
	s_add_nc_u64 s[4:5], s[2:3], s[12:13]
.LBB31_1134:                            ; =>This Inner Loop Header: Depth=1
	s_load_b96 s[12:14], s[4:5], 0x4
	s_add_co_i32 s6, s6, -1
	s_wait_xcnt 0x0
	s_add_nc_u64 s[4:5], s[4:5], 12
	s_cmp_lg_u32 s6, 0
	s_wait_kmcnt 0x0
	v_mul_hi_u32 v7, s13, v5
	s_delay_alu instid0(VALU_DEP_1) | instskip(NEXT) | instid1(VALU_DEP_1)
	v_add_nc_u32_e32 v7, v5, v7
	v_lshrrev_b32_e32 v7, s14, v7
	s_load_b64 s[14:15], s[0:1], 0x0
	s_wait_xcnt 0x0
	s_add_nc_u64 s[0:1], s[0:1], 8
	s_delay_alu instid0(VALU_DEP_1) | instskip(NEXT) | instid1(VALU_DEP_1)
	v_mul_lo_u32 v8, v7, s12
	v_sub_nc_u32_e32 v5, v5, v8
	s_wait_kmcnt 0x0
	s_delay_alu instid0(VALU_DEP_1)
	v_mad_u32 v3, v5, s15, v3
	v_mad_u32 v2, v5, s14, v2
	v_mov_b32_e32 v5, v7
	s_cbranch_scc1 .LBB31_1134
; %bb.1135:
	s_delay_alu instid0(VALU_DEP_3)
	v_mov_b32_e32 v10, v3
.LBB31_1136:
	s_and_not1_b32 vcc_lo, exec_lo, s10
	s_cbranch_vccnz .LBB31_1139
; %bb.1137:
	s_clause 0x1
	s_load_b96 s[4:6], s[2:3], 0x4
	s_load_b64 s[0:1], s[2:3], 0xc4
	s_cmp_lt_u32 s28, 2
	s_wait_kmcnt 0x0
	v_mul_hi_u32 v2, s5, v0
	s_delay_alu instid0(VALU_DEP_1) | instskip(NEXT) | instid1(VALU_DEP_1)
	v_add_nc_u32_e32 v2, v0, v2
	v_lshrrev_b32_e32 v3, s6, v2
	s_delay_alu instid0(VALU_DEP_1) | instskip(NEXT) | instid1(VALU_DEP_1)
	v_mul_lo_u32 v2, v3, s4
	v_sub_nc_u32_e32 v0, v0, v2
	s_delay_alu instid0(VALU_DEP_1)
	v_mul_lo_u32 v10, v0, s1
	v_mul_lo_u32 v2, v0, s0
	s_cbranch_scc1 .LBB31_1139
; %bb.1138:
	s_clause 0x1
	s_load_b96 s[4:6], s[2:3], 0x10
	s_load_b64 s[0:1], s[2:3], 0xcc
	s_wait_kmcnt 0x0
	v_mul_hi_u32 v0, s5, v3
	s_delay_alu instid0(VALU_DEP_1) | instskip(NEXT) | instid1(VALU_DEP_1)
	v_add_nc_u32_e32 v0, v3, v0
	v_lshrrev_b32_e32 v0, s6, v0
	s_delay_alu instid0(VALU_DEP_1) | instskip(NEXT) | instid1(VALU_DEP_1)
	v_mul_lo_u32 v0, v0, s4
	v_sub_nc_u32_e32 v0, v3, v0
	s_delay_alu instid0(VALU_DEP_1)
	v_mad_u32 v2, v0, s0, v2
	v_mad_u32 v10, v0, s1, v10
.LBB31_1139:
	v_cmp_ne_u32_e32 vcc_lo, 1, v1
	s_cbranch_vccnz .LBB31_1145
; %bb.1140:
	s_cmp_lg_u32 s28, 0
	s_mov_b32 s10, 0
	s_cbranch_scc0 .LBB31_1146
; %bb.1141:
	s_min_u32 s1, s29, 15
	s_delay_alu instid0(SALU_CYCLE_1)
	s_add_co_i32 s1, s1, 1
	s_cmp_eq_u32 s29, 2
	s_cbranch_scc1 .LBB31_1147
; %bb.1142:
	v_dual_mov_b32 v0, 0 :: v_dual_mov_b32 v8, 0
	v_mov_b32_e32 v3, v9
	s_and_b32 s0, s1, 28
	s_add_nc_u64 s[4:5], s[2:3], 0xc4
	s_mov_b32 s11, 0
	s_mov_b64 s[6:7], s[2:3]
.LBB31_1143:                            ; =>This Inner Loop Header: Depth=1
	s_clause 0x1
	s_load_b256 s[12:19], s[6:7], 0x4
	s_load_b128 s[36:39], s[6:7], 0x24
	s_load_b256 s[20:27], s[4:5], 0x0
	s_add_co_i32 s11, s11, 4
	s_wait_xcnt 0x0
	s_add_nc_u64 s[6:7], s[6:7], 48
	s_cmp_lg_u32 s0, s11
	s_add_nc_u64 s[4:5], s[4:5], 32
	s_wait_kmcnt 0x0
	v_mul_hi_u32 v1, s13, v3
	s_delay_alu instid0(VALU_DEP_1) | instskip(NEXT) | instid1(VALU_DEP_1)
	v_add_nc_u32_e32 v1, v3, v1
	v_lshrrev_b32_e32 v1, s14, v1
	s_delay_alu instid0(VALU_DEP_1) | instskip(NEXT) | instid1(VALU_DEP_1)
	v_mul_lo_u32 v11, v1, s12
	v_sub_nc_u32_e32 v3, v3, v11
	v_mul_hi_u32 v5, s16, v1
	s_delay_alu instid0(VALU_DEP_2) | instskip(SKIP_1) | instid1(VALU_DEP_3)
	v_mad_u32 v8, v3, s21, v8
	v_mad_u32 v0, v3, s20, v0
	v_add_nc_u32_e32 v5, v1, v5
	s_delay_alu instid0(VALU_DEP_1) | instskip(NEXT) | instid1(VALU_DEP_1)
	v_lshrrev_b32_e32 v5, s17, v5
	v_mul_lo_u32 v11, v5, s15
	s_delay_alu instid0(VALU_DEP_1) | instskip(SKIP_1) | instid1(VALU_DEP_2)
	v_sub_nc_u32_e32 v1, v1, v11
	v_mul_hi_u32 v7, s19, v5
	v_mad_u32 v8, v1, s23, v8
	v_mad_u32 v0, v1, s22, v0
	s_delay_alu instid0(VALU_DEP_3) | instskip(NEXT) | instid1(VALU_DEP_1)
	v_add_nc_u32_e32 v7, v5, v7
	v_lshrrev_b32_e32 v7, s36, v7
	s_delay_alu instid0(VALU_DEP_1) | instskip(SKIP_1) | instid1(VALU_DEP_1)
	v_mul_hi_u32 v13, s38, v7
	v_mul_lo_u32 v11, v7, s18
	v_dual_add_nc_u32 v3, v7, v13 :: v_dual_sub_nc_u32 v1, v5, v11
	s_delay_alu instid0(VALU_DEP_1) | instskip(NEXT) | instid1(VALU_DEP_2)
	v_lshrrev_b32_e32 v3, s39, v3
	v_mad_u32 v8, v1, s25, v8
	v_mad_u32 v0, v1, s24, v0
	s_delay_alu instid0(VALU_DEP_3) | instskip(NEXT) | instid1(VALU_DEP_1)
	v_mul_lo_u32 v5, v3, s37
	v_sub_nc_u32_e32 v1, v7, v5
	s_delay_alu instid0(VALU_DEP_1) | instskip(NEXT) | instid1(VALU_DEP_4)
	v_mad_u32 v8, v1, s27, v8
	v_mad_u32 v0, v1, s26, v0
	s_cbranch_scc1 .LBB31_1143
; %bb.1144:
	s_delay_alu instid0(VALU_DEP_2)
	v_mov_b32_e32 v1, v8
	s_and_b32 s6, s1, 3
	s_mov_b32 s1, 0
	s_cmp_eq_u32 s6, 0
	s_cbranch_scc0 .LBB31_1148
	s_branch .LBB31_1151
.LBB31_1145:
	s_mov_b32 s10, -1
                                        ; implicit-def: $vgpr8
                                        ; implicit-def: $vgpr0
	s_branch .LBB31_1151
.LBB31_1146:
	v_dual_mov_b32 v8, 0 :: v_dual_mov_b32 v0, 0
	s_branch .LBB31_1151
.LBB31_1147:
	v_mov_b64_e32 v[0:1], 0
	v_mov_b32_e32 v3, v9
	s_mov_b32 s0, 0
                                        ; implicit-def: $vgpr8
	s_and_b32 s6, s1, 3
	s_mov_b32 s1, 0
	s_cmp_eq_u32 s6, 0
	s_cbranch_scc1 .LBB31_1151
.LBB31_1148:
	s_lshl_b32 s4, s0, 3
	s_mov_b32 s5, s1
	s_mul_u64 s[12:13], s[0:1], 12
	s_add_nc_u64 s[4:5], s[2:3], s[4:5]
	s_delay_alu instid0(SALU_CYCLE_1)
	s_add_nc_u64 s[0:1], s[4:5], 0xc4
	s_add_nc_u64 s[4:5], s[2:3], s[12:13]
.LBB31_1149:                            ; =>This Inner Loop Header: Depth=1
	s_load_b96 s[12:14], s[4:5], 0x4
	s_add_co_i32 s6, s6, -1
	s_wait_xcnt 0x0
	s_add_nc_u64 s[4:5], s[4:5], 12
	s_cmp_lg_u32 s6, 0
	s_wait_kmcnt 0x0
	v_mul_hi_u32 v5, s13, v3
	s_delay_alu instid0(VALU_DEP_1) | instskip(NEXT) | instid1(VALU_DEP_1)
	v_add_nc_u32_e32 v5, v3, v5
	v_lshrrev_b32_e32 v5, s14, v5
	s_load_b64 s[14:15], s[0:1], 0x0
	s_wait_xcnt 0x0
	s_add_nc_u64 s[0:1], s[0:1], 8
	s_delay_alu instid0(VALU_DEP_1) | instskip(NEXT) | instid1(VALU_DEP_1)
	v_mul_lo_u32 v7, v5, s12
	v_sub_nc_u32_e32 v3, v3, v7
	s_wait_kmcnt 0x0
	s_delay_alu instid0(VALU_DEP_1)
	v_mad_u32 v1, v3, s15, v1
	v_mad_u32 v0, v3, s14, v0
	v_mov_b32_e32 v3, v5
	s_cbranch_scc1 .LBB31_1149
; %bb.1150:
	s_delay_alu instid0(VALU_DEP_3)
	v_mov_b32_e32 v8, v1
.LBB31_1151:
	s_and_not1_b32 vcc_lo, exec_lo, s10
	s_cbranch_vccnz .LBB31_1154
; %bb.1152:
	s_clause 0x1
	s_load_b96 s[4:6], s[2:3], 0x4
	s_load_b64 s[0:1], s[2:3], 0xc4
	s_cmp_lt_u32 s28, 2
	s_wait_kmcnt 0x0
	v_mul_hi_u32 v0, s5, v9
	s_delay_alu instid0(VALU_DEP_1) | instskip(NEXT) | instid1(VALU_DEP_1)
	v_add_nc_u32_e32 v0, v9, v0
	v_lshrrev_b32_e32 v1, s6, v0
	s_delay_alu instid0(VALU_DEP_1) | instskip(NEXT) | instid1(VALU_DEP_1)
	v_mul_lo_u32 v0, v1, s4
	v_sub_nc_u32_e32 v0, v9, v0
	s_delay_alu instid0(VALU_DEP_1)
	v_mul_lo_u32 v8, v0, s1
	v_mul_lo_u32 v0, v0, s0
	s_cbranch_scc1 .LBB31_1154
; %bb.1153:
	s_clause 0x1
	s_load_b96 s[4:6], s[2:3], 0x10
	s_load_b64 s[0:1], s[2:3], 0xcc
	s_wait_kmcnt 0x0
	v_mul_hi_u32 v3, s5, v1
	s_delay_alu instid0(VALU_DEP_1) | instskip(NEXT) | instid1(VALU_DEP_1)
	v_add_nc_u32_e32 v3, v1, v3
	v_lshrrev_b32_e32 v3, s6, v3
	s_delay_alu instid0(VALU_DEP_1) | instskip(NEXT) | instid1(VALU_DEP_1)
	v_mul_lo_u32 v3, v3, s4
	v_sub_nc_u32_e32 v1, v1, v3
	s_delay_alu instid0(VALU_DEP_1)
	v_mad_u32 v0, v1, s0, v0
	v_mad_u32 v8, v1, s1, v8
.LBB31_1154:
	v_mov_b32_e32 v15, 0
	s_load_b128 s[4:7], s[2:3], 0x148
	global_load_u8 v1, v15, s[2:3] offset:347
	s_wait_kmcnt 0x0
	v_add_nc_u64_e32 v[14:15], s[6:7], v[14:15]
	s_wait_loadcnt 0x0
	v_and_b32_e32 v3, 0xffff, v1
	v_readfirstlane_b32 s0, v1
	s_delay_alu instid0(VALU_DEP_2)
	v_cmp_gt_i32_e32 vcc_lo, 11, v3
	s_cbranch_vccnz .LBB31_1161
; %bb.1155:
	s_and_b32 s1, 0xffff, s0
	s_mov_b32 s11, 0
	s_cmp_gt_i32 s1, 25
	s_cbranch_scc0 .LBB31_1163
; %bb.1156:
	s_cmp_gt_i32 s1, 28
	s_cbranch_scc0 .LBB31_1164
; %bb.1157:
	;; [unrolled: 3-line block ×4, first 2 shown]
	s_cmp_eq_u32 s1, 46
	s_mov_b32 s13, 0
	s_cbranch_scc0 .LBB31_1169
; %bb.1160:
	global_load_b32 v1, v[14:15], off
	s_mov_b32 s10, 0
	s_mov_b32 s12, -1
	s_branch .LBB31_1171
.LBB31_1161:
	s_mov_b32 s12, 0
	s_mov_b32 s10, s8
                                        ; implicit-def: $vgpr1
	s_cbranch_execnz .LBB31_1234
.LBB31_1162:
	s_and_not1_b32 vcc_lo, exec_lo, s12
	s_cbranch_vccz .LBB31_1279
	s_branch .LBB31_2100
.LBB31_1163:
	s_mov_b32 s12, 0
	s_mov_b32 s10, 0
                                        ; implicit-def: $vgpr1
	s_cbranch_execnz .LBB31_1199
	s_branch .LBB31_1230
.LBB31_1164:
	s_mov_b32 s13, -1
	s_mov_b32 s12, 0
	s_mov_b32 s10, 0
                                        ; implicit-def: $vgpr1
	s_branch .LBB31_1180
.LBB31_1165:
	s_mov_b32 s12, 0
	s_mov_b32 s10, 0
                                        ; implicit-def: $vgpr1
	s_cbranch_execnz .LBB31_1176
	s_branch .LBB31_1179
.LBB31_1166:
	s_mov_b32 s13, -1
	s_mov_b32 s12, 0
	s_mov_b32 s10, 0
	s_branch .LBB31_1170
.LBB31_1167:
	s_and_not1_saveexec_b32 s9, s9
	s_cbranch_execz .LBB31_1003
.LBB31_1168:
	v_add_f32_e64 v4, 0x46000000, |v5|
	s_and_not1_b32 s8, s8, exec_lo
	s_delay_alu instid0(VALU_DEP_1) | instskip(NEXT) | instid1(VALU_DEP_1)
	v_and_b32_e32 v4, 0xff, v4
	v_cmp_ne_u32_e32 vcc_lo, 0, v4
	s_and_b32 s10, vcc_lo, exec_lo
	s_delay_alu instid0(SALU_CYCLE_1)
	s_or_b32 s8, s8, s10
	s_or_b32 exec_lo, exec_lo, s9
	v_mov_b32_e32 v6, 0
	s_and_saveexec_b32 s9, s8
	s_cbranch_execnz .LBB31_1004
	s_branch .LBB31_1005
.LBB31_1169:
	s_mov_b32 s10, -1
	s_mov_b32 s12, 0
.LBB31_1170:
                                        ; implicit-def: $vgpr1
.LBB31_1171:
	s_and_b32 vcc_lo, exec_lo, s13
	s_cbranch_vccz .LBB31_1174
; %bb.1172:
	s_cmp_eq_u32 s1, 44
	s_cbranch_scc0 .LBB31_1175
; %bb.1173:
	s_wait_loadcnt 0x0
	global_load_u8 v1, v[14:15], off
	s_mov_b32 s10, 0
	s_mov_b32 s12, -1
	s_wait_loadcnt 0x0
	v_lshlrev_b32_e32 v3, 23, v1
	v_cmp_ne_u32_e32 vcc_lo, 0xff, v1
	s_delay_alu instid0(VALU_DEP_2) | instskip(SKIP_1) | instid1(VALU_DEP_2)
	v_cndmask_b32_e32 v3, 0x7f800001, v3, vcc_lo
	v_cmp_ne_u32_e32 vcc_lo, 0, v1
	v_cndmask_b32_e32 v1, 0x400000, v3, vcc_lo
	s_delay_alu instid0(VALU_DEP_1) | instskip(SKIP_1) | instid1(VALU_DEP_2)
	v_add_nc_u32_e32 v3, 0x7fff, v1
	v_cmp_o_f32_e32 vcc_lo, v1, v1
	v_lshrrev_b32_e32 v3, 16, v3
	s_delay_alu instid0(VALU_DEP_1)
	v_cndmask_b32_e32 v1, 0x7fc0, v3, vcc_lo
.LBB31_1174:
	s_branch .LBB31_1179
.LBB31_1175:
	s_mov_b32 s10, -1
                                        ; implicit-def: $vgpr1
	s_branch .LBB31_1179
.LBB31_1176:
	s_cmp_eq_u32 s1, 29
	s_cbranch_scc0 .LBB31_1178
; %bb.1177:
	global_load_b64 v[16:17], v[14:15], off
	s_mov_b32 s10, 0
	s_mov_b32 s12, -1
	s_mov_b32 s13, 0
	s_wait_loadcnt 0x0
	v_clz_i32_u32_e32 v1, v17
	s_delay_alu instid0(VALU_DEP_1) | instskip(NEXT) | instid1(VALU_DEP_1)
	v_min_u32_e32 v1, 32, v1
	v_lshlrev_b64_e32 v[16:17], v1, v[16:17]
	v_sub_nc_u32_e32 v1, 32, v1
	s_delay_alu instid0(VALU_DEP_2) | instskip(NEXT) | instid1(VALU_DEP_1)
	v_min_u32_e32 v3, 1, v16
	v_or_b32_e32 v3, v17, v3
	s_delay_alu instid0(VALU_DEP_1) | instskip(NEXT) | instid1(VALU_DEP_1)
	v_cvt_f32_u32_e32 v3, v3
	v_ldexp_f32 v1, v3, v1
	s_delay_alu instid0(VALU_DEP_1) | instskip(NEXT) | instid1(VALU_DEP_1)
	v_bfe_u32 v3, v1, 16, 1
	v_add3_u32 v1, v1, v3, 0x7fff
	s_delay_alu instid0(VALU_DEP_1)
	v_lshrrev_b32_e32 v1, 16, v1
	s_branch .LBB31_1180
.LBB31_1178:
	s_mov_b32 s10, -1
                                        ; implicit-def: $vgpr1
.LBB31_1179:
	s_mov_b32 s13, 0
.LBB31_1180:
	s_delay_alu instid0(SALU_CYCLE_1)
	s_and_b32 vcc_lo, exec_lo, s13
	s_cbranch_vccz .LBB31_1198
; %bb.1181:
	s_cmp_lt_i32 s1, 27
	s_cbranch_scc1 .LBB31_1184
; %bb.1182:
	s_cmp_gt_i32 s1, 27
	s_cbranch_scc0 .LBB31_1185
; %bb.1183:
	s_wait_loadcnt 0x0
	global_load_b32 v1, v[14:15], off
	s_mov_b32 s12, 0
	s_wait_loadcnt 0x0
	v_cvt_f32_u32_e32 v1, v1
	s_delay_alu instid0(VALU_DEP_1) | instskip(NEXT) | instid1(VALU_DEP_1)
	v_bfe_u32 v3, v1, 16, 1
	v_add3_u32 v1, v1, v3, 0x7fff
	s_delay_alu instid0(VALU_DEP_1)
	v_lshrrev_b32_e32 v1, 16, v1
	s_branch .LBB31_1186
.LBB31_1184:
	s_mov_b32 s12, -1
                                        ; implicit-def: $vgpr1
	s_branch .LBB31_1189
.LBB31_1185:
	s_mov_b32 s12, -1
                                        ; implicit-def: $vgpr1
.LBB31_1186:
	s_delay_alu instid0(SALU_CYCLE_1)
	s_and_not1_b32 vcc_lo, exec_lo, s12
	s_cbranch_vccnz .LBB31_1188
; %bb.1187:
	s_wait_loadcnt 0x0
	global_load_u16 v1, v[14:15], off
	s_wait_loadcnt 0x0
	v_cvt_f32_u32_e32 v1, v1
	s_delay_alu instid0(VALU_DEP_1) | instskip(NEXT) | instid1(VALU_DEP_1)
	v_bfe_u32 v3, v1, 16, 1
	v_add3_u32 v1, v1, v3, 0x7fff
	s_delay_alu instid0(VALU_DEP_1)
	v_lshrrev_b32_e32 v1, 16, v1
.LBB31_1188:
	s_mov_b32 s12, 0
.LBB31_1189:
	s_delay_alu instid0(SALU_CYCLE_1)
	s_and_not1_b32 vcc_lo, exec_lo, s12
	s_cbranch_vccnz .LBB31_1197
; %bb.1190:
	s_wait_loadcnt 0x0
	global_load_u8 v1, v[14:15], off
	s_mov_b32 s12, 0
	s_mov_b32 s13, exec_lo
	s_wait_loadcnt 0x0
	v_cmpx_lt_i16_e32 0x7f, v1
	s_xor_b32 s13, exec_lo, s13
	s_cbranch_execz .LBB31_1210
; %bb.1191:
	s_mov_b32 s12, -1
	s_mov_b32 s14, exec_lo
	v_cmpx_eq_u16_e32 0x80, v1
; %bb.1192:
	s_xor_b32 s12, exec_lo, -1
; %bb.1193:
	s_or_b32 exec_lo, exec_lo, s14
	s_delay_alu instid0(SALU_CYCLE_1)
	s_and_b32 s12, s12, exec_lo
	s_or_saveexec_b32 s13, s13
	v_mov_b32_e32 v3, 0x7f800001
	s_xor_b32 exec_lo, exec_lo, s13
	s_cbranch_execnz .LBB31_1211
.LBB31_1194:
	s_or_b32 exec_lo, exec_lo, s13
	s_and_saveexec_b32 s13, s12
	s_cbranch_execz .LBB31_1196
.LBB31_1195:
	v_and_b32_e32 v3, 0xffff, v1
	s_delay_alu instid0(VALU_DEP_1) | instskip(SKIP_1) | instid1(VALU_DEP_2)
	v_dual_lshlrev_b32 v1, 24, v1 :: v_dual_bitop2_b32 v5, 7, v3 bitop3:0x40
	v_bfe_u32 v11, v3, 3, 4
	v_and_b32_e32 v1, 0x80000000, v1
	s_delay_alu instid0(VALU_DEP_3) | instskip(NEXT) | instid1(VALU_DEP_3)
	v_clz_i32_u32_e32 v7, v5
	v_cmp_eq_u32_e32 vcc_lo, 0, v11
	s_delay_alu instid0(VALU_DEP_2) | instskip(NEXT) | instid1(VALU_DEP_1)
	v_min_u32_e32 v7, 32, v7
	v_subrev_nc_u32_e32 v9, 28, v7
	v_sub_nc_u32_e32 v7, 29, v7
	s_delay_alu instid0(VALU_DEP_2) | instskip(NEXT) | instid1(VALU_DEP_2)
	v_lshlrev_b32_e32 v3, v9, v3
	v_cndmask_b32_e32 v7, v11, v7, vcc_lo
	s_delay_alu instid0(VALU_DEP_2) | instskip(NEXT) | instid1(VALU_DEP_1)
	v_and_b32_e32 v3, 7, v3
	v_cndmask_b32_e32 v3, v5, v3, vcc_lo
	s_delay_alu instid0(VALU_DEP_3) | instskip(NEXT) | instid1(VALU_DEP_2)
	v_lshl_add_u32 v5, v7, 23, 0x3b800000
	v_lshlrev_b32_e32 v3, 20, v3
	s_delay_alu instid0(VALU_DEP_1)
	v_or3_b32 v3, v1, v5, v3
.LBB31_1196:
	s_or_b32 exec_lo, exec_lo, s13
	s_delay_alu instid0(VALU_DEP_1) | instskip(SKIP_1) | instid1(VALU_DEP_2)
	v_bfe_u32 v1, v3, 16, 1
	v_cmp_o_f32_e32 vcc_lo, v3, v3
	v_add3_u32 v1, v3, v1, 0x7fff
	s_delay_alu instid0(VALU_DEP_1) | instskip(NEXT) | instid1(VALU_DEP_1)
	v_lshrrev_b32_e32 v1, 16, v1
	v_cndmask_b32_e32 v1, 0x7fc0, v1, vcc_lo
.LBB31_1197:
	s_mov_b32 s12, -1
.LBB31_1198:
	s_branch .LBB31_1230
.LBB31_1199:
	s_cmp_gt_i32 s1, 22
	s_cbranch_scc0 .LBB31_1209
; %bb.1200:
	s_cmp_lt_i32 s1, 24
	s_cbranch_scc1 .LBB31_1212
; %bb.1201:
	s_cmp_gt_i32 s1, 24
	s_cbranch_scc0 .LBB31_1213
; %bb.1202:
	s_wait_loadcnt 0x0
	global_load_u8 v1, v[14:15], off
	s_mov_b32 s12, exec_lo
	s_wait_loadcnt 0x0
	v_cmpx_lt_i16_e32 0x7f, v1
	s_xor_b32 s12, exec_lo, s12
	s_cbranch_execz .LBB31_1224
; %bb.1203:
	s_mov_b32 s11, -1
	s_mov_b32 s13, exec_lo
	v_cmpx_eq_u16_e32 0x80, v1
; %bb.1204:
	s_xor_b32 s11, exec_lo, -1
; %bb.1205:
	s_or_b32 exec_lo, exec_lo, s13
	s_delay_alu instid0(SALU_CYCLE_1)
	s_and_b32 s11, s11, exec_lo
	s_or_saveexec_b32 s12, s12
	v_mov_b32_e32 v3, 0x7f800001
	s_xor_b32 exec_lo, exec_lo, s12
	s_cbranch_execnz .LBB31_1225
.LBB31_1206:
	s_or_b32 exec_lo, exec_lo, s12
	s_and_saveexec_b32 s12, s11
	s_cbranch_execz .LBB31_1208
.LBB31_1207:
	v_and_b32_e32 v3, 0xffff, v1
	s_delay_alu instid0(VALU_DEP_1) | instskip(SKIP_1) | instid1(VALU_DEP_2)
	v_dual_lshlrev_b32 v1, 24, v1 :: v_dual_bitop2_b32 v5, 3, v3 bitop3:0x40
	v_bfe_u32 v11, v3, 2, 5
	v_and_b32_e32 v1, 0x80000000, v1
	s_delay_alu instid0(VALU_DEP_3) | instskip(NEXT) | instid1(VALU_DEP_3)
	v_clz_i32_u32_e32 v7, v5
	v_cmp_eq_u32_e32 vcc_lo, 0, v11
	s_delay_alu instid0(VALU_DEP_2) | instskip(NEXT) | instid1(VALU_DEP_1)
	v_min_u32_e32 v7, 32, v7
	v_subrev_nc_u32_e32 v9, 29, v7
	v_sub_nc_u32_e32 v7, 30, v7
	s_delay_alu instid0(VALU_DEP_2) | instskip(NEXT) | instid1(VALU_DEP_2)
	v_lshlrev_b32_e32 v3, v9, v3
	v_cndmask_b32_e32 v7, v11, v7, vcc_lo
	s_delay_alu instid0(VALU_DEP_2) | instskip(NEXT) | instid1(VALU_DEP_1)
	v_and_b32_e32 v3, 3, v3
	v_cndmask_b32_e32 v3, v5, v3, vcc_lo
	s_delay_alu instid0(VALU_DEP_3) | instskip(NEXT) | instid1(VALU_DEP_2)
	v_lshl_add_u32 v5, v7, 23, 0x37800000
	v_lshlrev_b32_e32 v3, 21, v3
	s_delay_alu instid0(VALU_DEP_1)
	v_or3_b32 v3, v1, v5, v3
.LBB31_1208:
	s_or_b32 exec_lo, exec_lo, s12
	s_delay_alu instid0(VALU_DEP_1) | instskip(SKIP_2) | instid1(VALU_DEP_2)
	v_bfe_u32 v1, v3, 16, 1
	v_cmp_o_f32_e32 vcc_lo, v3, v3
	s_mov_b32 s11, 0
	v_add3_u32 v1, v3, v1, 0x7fff
	s_delay_alu instid0(VALU_DEP_1) | instskip(NEXT) | instid1(VALU_DEP_1)
	v_lshrrev_b32_e32 v1, 16, v1
	v_cndmask_b32_e32 v1, 0x7fc0, v1, vcc_lo
	s_branch .LBB31_1214
.LBB31_1209:
                                        ; implicit-def: $vgpr1
	s_mov_b32 s11, 0
	s_branch .LBB31_1220
.LBB31_1210:
	s_or_saveexec_b32 s13, s13
	v_mov_b32_e32 v3, 0x7f800001
	s_xor_b32 exec_lo, exec_lo, s13
	s_cbranch_execz .LBB31_1194
.LBB31_1211:
	v_cmp_ne_u16_e32 vcc_lo, 0, v1
	v_mov_b32_e32 v3, 0
	s_and_not1_b32 s12, s12, exec_lo
	s_and_b32 s14, vcc_lo, exec_lo
	s_delay_alu instid0(SALU_CYCLE_1)
	s_or_b32 s12, s12, s14
	s_or_b32 exec_lo, exec_lo, s13
	s_and_saveexec_b32 s13, s12
	s_cbranch_execnz .LBB31_1195
	s_branch .LBB31_1196
.LBB31_1212:
	s_mov_b32 s11, -1
                                        ; implicit-def: $vgpr1
	s_branch .LBB31_1217
.LBB31_1213:
	s_mov_b32 s11, -1
                                        ; implicit-def: $vgpr1
.LBB31_1214:
	s_delay_alu instid0(SALU_CYCLE_1)
	s_and_b32 vcc_lo, exec_lo, s11
	s_cbranch_vccz .LBB31_1216
; %bb.1215:
	s_wait_loadcnt 0x0
	global_load_u8 v1, v[14:15], off
	s_wait_loadcnt 0x0
	v_lshlrev_b32_e32 v1, 24, v1
	s_delay_alu instid0(VALU_DEP_1) | instskip(NEXT) | instid1(VALU_DEP_1)
	v_and_b32_e32 v3, 0x7f000000, v1
	v_clz_i32_u32_e32 v5, v3
	v_add_nc_u32_e32 v9, 0x1000000, v3
	v_cmp_ne_u32_e32 vcc_lo, 0, v3
	s_delay_alu instid0(VALU_DEP_3) | instskip(NEXT) | instid1(VALU_DEP_1)
	v_min_u32_e32 v5, 32, v5
	v_sub_nc_u32_e64 v5, v5, 4 clamp
	s_delay_alu instid0(VALU_DEP_1) | instskip(NEXT) | instid1(VALU_DEP_1)
	v_dual_lshlrev_b32 v7, v5, v3 :: v_dual_lshlrev_b32 v5, 23, v5
	v_lshrrev_b32_e32 v7, 4, v7
	s_delay_alu instid0(VALU_DEP_1) | instskip(SKIP_1) | instid1(VALU_DEP_2)
	v_sub_nc_u32_e32 v5, v7, v5
	v_ashrrev_i32_e32 v7, 8, v9
	v_add_nc_u32_e32 v5, 0x3c000000, v5
	s_delay_alu instid0(VALU_DEP_1) | instskip(NEXT) | instid1(VALU_DEP_1)
	v_and_or_b32 v5, 0x7f800000, v7, v5
	v_cndmask_b32_e32 v3, 0, v5, vcc_lo
	s_delay_alu instid0(VALU_DEP_1) | instskip(SKIP_1) | instid1(VALU_DEP_2)
	v_and_or_b32 v1, 0x80000000, v1, v3
	v_bfe_u32 v3, v3, 16, 1
	v_cmp_o_f32_e32 vcc_lo, v1, v1
	s_delay_alu instid0(VALU_DEP_2) | instskip(NEXT) | instid1(VALU_DEP_1)
	v_add3_u32 v3, v1, v3, 0x7fff
	v_lshrrev_b32_e32 v3, 16, v3
	s_delay_alu instid0(VALU_DEP_1)
	v_cndmask_b32_e32 v1, 0x7fc0, v3, vcc_lo
.LBB31_1216:
	s_mov_b32 s11, 0
.LBB31_1217:
	s_delay_alu instid0(SALU_CYCLE_1)
	s_and_not1_b32 vcc_lo, exec_lo, s11
	s_cbranch_vccnz .LBB31_1219
; %bb.1218:
	s_wait_loadcnt 0x0
	global_load_u8 v1, v[14:15], off
	s_wait_loadcnt 0x0
	v_lshlrev_b32_e32 v3, 25, v1
	v_lshlrev_b16 v1, 8, v1
	s_delay_alu instid0(VALU_DEP_1) | instskip(SKIP_1) | instid1(VALU_DEP_2)
	v_and_or_b32 v7, 0x7f00, v1, 0.5
	v_bfe_i32 v1, v1, 0, 16
	v_add_f32_e32 v7, -0.5, v7
	v_lshrrev_b32_e32 v5, 4, v3
	v_cmp_gt_u32_e32 vcc_lo, 0x8000000, v3
	s_delay_alu instid0(VALU_DEP_2) | instskip(NEXT) | instid1(VALU_DEP_1)
	v_or_b32_e32 v5, 0x70000000, v5
	v_mul_f32_e32 v5, 0x7800000, v5
	s_delay_alu instid0(VALU_DEP_1) | instskip(NEXT) | instid1(VALU_DEP_1)
	v_cndmask_b32_e32 v3, v5, v7, vcc_lo
	v_and_or_b32 v1, 0x80000000, v1, v3
	v_bfe_u32 v3, v3, 16, 1
	s_delay_alu instid0(VALU_DEP_2) | instskip(NEXT) | instid1(VALU_DEP_2)
	v_cmp_o_f32_e32 vcc_lo, v1, v1
	v_add3_u32 v3, v1, v3, 0x7fff
	s_delay_alu instid0(VALU_DEP_1) | instskip(NEXT) | instid1(VALU_DEP_1)
	v_lshrrev_b32_e32 v3, 16, v3
	v_cndmask_b32_e32 v1, 0x7fc0, v3, vcc_lo
.LBB31_1219:
	s_mov_b32 s12, -1
	s_mov_b32 s11, 0
	s_cbranch_execnz .LBB31_1230
.LBB31_1220:
	s_cmp_gt_i32 s1, 14
	s_cbranch_scc0 .LBB31_1223
; %bb.1221:
	s_cmp_eq_u32 s1, 15
	s_cbranch_scc0 .LBB31_1226
; %bb.1222:
	s_wait_loadcnt 0x0
	global_load_u16 v1, v[14:15], off
	s_mov_b32 s10, 0
	s_mov_b32 s12, -1
	s_branch .LBB31_1228
.LBB31_1223:
	s_mov_b32 s11, -1
	s_branch .LBB31_1227
.LBB31_1224:
	s_or_saveexec_b32 s12, s12
	v_mov_b32_e32 v3, 0x7f800001
	s_xor_b32 exec_lo, exec_lo, s12
	s_cbranch_execz .LBB31_1206
.LBB31_1225:
	v_cmp_ne_u16_e32 vcc_lo, 0, v1
	v_mov_b32_e32 v3, 0
	s_and_not1_b32 s11, s11, exec_lo
	s_and_b32 s13, vcc_lo, exec_lo
	s_delay_alu instid0(SALU_CYCLE_1)
	s_or_b32 s11, s11, s13
	s_or_b32 exec_lo, exec_lo, s12
	s_and_saveexec_b32 s12, s11
	s_cbranch_execnz .LBB31_1207
	s_branch .LBB31_1208
.LBB31_1226:
	s_mov_b32 s10, -1
.LBB31_1227:
                                        ; implicit-def: $vgpr1
.LBB31_1228:
	s_and_b32 vcc_lo, exec_lo, s11
	s_mov_b32 s11, 0
	s_cbranch_vccz .LBB31_1230
; %bb.1229:
	s_cmp_lg_u32 s1, 11
	s_mov_b32 s11, -1
	s_cselect_b32 s10, -1, 0
.LBB31_1230:
	s_delay_alu instid0(SALU_CYCLE_1)
	s_and_b32 vcc_lo, exec_lo, s10
	s_mov_b32 s10, s8
	s_cbranch_vccnz .LBB31_1291
; %bb.1231:
	s_and_not1_b32 vcc_lo, exec_lo, s11
	s_cbranch_vccnz .LBB31_1233
.LBB31_1232:
	s_wait_loadcnt 0x0
	global_load_u8 v1, v[14:15], off
	s_mov_b32 s12, -1
	s_wait_loadcnt 0x0
	v_cmp_ne_u16_e32 vcc_lo, 0, v1
	v_cndmask_b32_e64 v1, 0, 1.0, vcc_lo
	s_delay_alu instid0(VALU_DEP_1)
	v_lshrrev_b32_e32 v1, 16, v1
.LBB31_1233:
	s_branch .LBB31_1162
.LBB31_1234:
	s_and_b32 s1, 0xffff, s0
	s_delay_alu instid0(SALU_CYCLE_1)
	s_cmp_lt_i32 s1, 5
	s_cbranch_scc1 .LBB31_1239
; %bb.1235:
	s_cmp_lt_i32 s1, 8
	s_cbranch_scc1 .LBB31_1240
; %bb.1236:
	;; [unrolled: 3-line block ×3, first 2 shown]
	s_cmp_gt_i32 s1, 9
	s_cbranch_scc0 .LBB31_1242
; %bb.1238:
	global_load_b64 v[16:17], v[14:15], off
	s_mov_b32 s11, 0
	s_wait_loadcnt 0x0
	v_cvt_f32_f64_e32 v1, v[16:17]
	s_delay_alu instid0(VALU_DEP_1) | instskip(SKIP_1) | instid1(VALU_DEP_2)
	v_bfe_u32 v3, v1, 16, 1
	v_cmp_o_f32_e32 vcc_lo, v1, v1
	v_add3_u32 v3, v1, v3, 0x7fff
	s_delay_alu instid0(VALU_DEP_1) | instskip(NEXT) | instid1(VALU_DEP_1)
	v_lshrrev_b32_e32 v3, 16, v3
	v_cndmask_b32_e32 v1, 0x7fc0, v3, vcc_lo
	s_branch .LBB31_1243
.LBB31_1239:
                                        ; implicit-def: $vgpr1
	s_branch .LBB31_1260
.LBB31_1240:
                                        ; implicit-def: $vgpr1
	s_branch .LBB31_1249
.LBB31_1241:
	s_mov_b32 s11, -1
                                        ; implicit-def: $vgpr1
	s_branch .LBB31_1246
.LBB31_1242:
	s_mov_b32 s11, -1
                                        ; implicit-def: $vgpr1
.LBB31_1243:
	s_delay_alu instid0(SALU_CYCLE_1)
	s_and_not1_b32 vcc_lo, exec_lo, s11
	s_cbranch_vccnz .LBB31_1245
; %bb.1244:
	s_wait_loadcnt 0x0
	global_load_b32 v1, v[14:15], off
	s_wait_loadcnt 0x0
	v_bfe_u32 v3, v1, 16, 1
	v_cmp_o_f32_e32 vcc_lo, v1, v1
	s_delay_alu instid0(VALU_DEP_2) | instskip(NEXT) | instid1(VALU_DEP_1)
	v_add3_u32 v3, v1, v3, 0x7fff
	v_lshrrev_b32_e32 v3, 16, v3
	s_delay_alu instid0(VALU_DEP_1)
	v_cndmask_b32_e32 v1, 0x7fc0, v3, vcc_lo
.LBB31_1245:
	s_mov_b32 s11, 0
.LBB31_1246:
	s_delay_alu instid0(SALU_CYCLE_1)
	s_and_not1_b32 vcc_lo, exec_lo, s11
	s_cbranch_vccnz .LBB31_1248
; %bb.1247:
	s_wait_loadcnt 0x0
	global_load_b32 v1, v[14:15], off
	s_wait_loadcnt 0x0
	v_cvt_f32_f16_e32 v3, v1
	v_cmp_o_f16_e32 vcc_lo, v1, v1
	s_delay_alu instid0(VALU_DEP_2) | instskip(NEXT) | instid1(VALU_DEP_1)
	v_bfe_u32 v5, v3, 16, 1
	v_add3_u32 v3, v3, v5, 0x7fff
	s_delay_alu instid0(VALU_DEP_1) | instskip(NEXT) | instid1(VALU_DEP_1)
	v_lshrrev_b32_e32 v3, 16, v3
	v_cndmask_b32_e32 v1, 0x7fc0, v3, vcc_lo
.LBB31_1248:
	s_cbranch_execnz .LBB31_1259
.LBB31_1249:
	s_cmp_lt_i32 s1, 6
	s_cbranch_scc1 .LBB31_1252
; %bb.1250:
	s_cmp_gt_i32 s1, 6
	s_cbranch_scc0 .LBB31_1253
; %bb.1251:
	global_load_b64 v[16:17], v[14:15], off
	s_mov_b32 s11, 0
	s_wait_loadcnt 0x0
	v_cvt_f32_f64_e32 v1, v[16:17]
	s_delay_alu instid0(VALU_DEP_1) | instskip(SKIP_1) | instid1(VALU_DEP_2)
	v_bfe_u32 v3, v1, 16, 1
	v_cmp_o_f32_e32 vcc_lo, v1, v1
	v_add3_u32 v3, v1, v3, 0x7fff
	s_delay_alu instid0(VALU_DEP_1) | instskip(NEXT) | instid1(VALU_DEP_1)
	v_lshrrev_b32_e32 v3, 16, v3
	v_cndmask_b32_e32 v1, 0x7fc0, v3, vcc_lo
	s_branch .LBB31_1254
.LBB31_1252:
	s_mov_b32 s11, -1
                                        ; implicit-def: $vgpr1
	s_branch .LBB31_1257
.LBB31_1253:
	s_mov_b32 s11, -1
                                        ; implicit-def: $vgpr1
.LBB31_1254:
	s_delay_alu instid0(SALU_CYCLE_1)
	s_and_not1_b32 vcc_lo, exec_lo, s11
	s_cbranch_vccnz .LBB31_1256
; %bb.1255:
	s_wait_loadcnt 0x0
	global_load_b32 v1, v[14:15], off
	s_wait_loadcnt 0x0
	v_bfe_u32 v3, v1, 16, 1
	v_cmp_o_f32_e32 vcc_lo, v1, v1
	s_delay_alu instid0(VALU_DEP_2) | instskip(NEXT) | instid1(VALU_DEP_1)
	v_add3_u32 v3, v1, v3, 0x7fff
	v_lshrrev_b32_e32 v3, 16, v3
	s_delay_alu instid0(VALU_DEP_1)
	v_cndmask_b32_e32 v1, 0x7fc0, v3, vcc_lo
.LBB31_1256:
	s_mov_b32 s11, 0
.LBB31_1257:
	s_delay_alu instid0(SALU_CYCLE_1)
	s_and_not1_b32 vcc_lo, exec_lo, s11
	s_cbranch_vccnz .LBB31_1259
; %bb.1258:
	s_wait_loadcnt 0x0
	global_load_u16 v1, v[14:15], off
	s_wait_loadcnt 0x0
	v_cvt_f32_f16_e32 v3, v1
	v_cmp_o_f16_e32 vcc_lo, v1, v1
	s_delay_alu instid0(VALU_DEP_2) | instskip(NEXT) | instid1(VALU_DEP_1)
	v_bfe_u32 v5, v3, 16, 1
	v_add3_u32 v3, v3, v5, 0x7fff
	s_delay_alu instid0(VALU_DEP_1) | instskip(NEXT) | instid1(VALU_DEP_1)
	v_lshrrev_b32_e32 v3, 16, v3
	v_cndmask_b32_e32 v1, 0x7fc0, v3, vcc_lo
.LBB31_1259:
	s_cbranch_execnz .LBB31_1278
.LBB31_1260:
	s_cmp_lt_i32 s1, 2
	s_cbranch_scc1 .LBB31_1264
; %bb.1261:
	s_cmp_lt_i32 s1, 3
	s_cbranch_scc1 .LBB31_1265
; %bb.1262:
	s_cmp_gt_i32 s1, 3
	s_cbranch_scc0 .LBB31_1266
; %bb.1263:
	global_load_b64 v[16:17], v[14:15], off
	s_mov_b32 s11, 0
	s_wait_loadcnt 0x0
	v_xor_b32_e32 v1, v16, v17
	v_cls_i32_e32 v3, v17
	s_delay_alu instid0(VALU_DEP_2) | instskip(NEXT) | instid1(VALU_DEP_1)
	v_ashrrev_i32_e32 v1, 31, v1
	v_add_nc_u32_e32 v1, 32, v1
	s_delay_alu instid0(VALU_DEP_1) | instskip(NEXT) | instid1(VALU_DEP_1)
	v_add_min_u32_e64 v1, v3, -1, v1
	v_lshlrev_b64_e32 v[16:17], v1, v[16:17]
	v_sub_nc_u32_e32 v1, 32, v1
	s_delay_alu instid0(VALU_DEP_2) | instskip(NEXT) | instid1(VALU_DEP_1)
	v_min_u32_e32 v3, 1, v16
	v_or_b32_e32 v3, v17, v3
	s_delay_alu instid0(VALU_DEP_1) | instskip(NEXT) | instid1(VALU_DEP_1)
	v_cvt_f32_i32_e32 v3, v3
	v_ldexp_f32 v1, v3, v1
	s_delay_alu instid0(VALU_DEP_1) | instskip(NEXT) | instid1(VALU_DEP_1)
	v_bfe_u32 v3, v1, 16, 1
	v_add3_u32 v1, v1, v3, 0x7fff
	s_delay_alu instid0(VALU_DEP_1)
	v_lshrrev_b32_e32 v1, 16, v1
	s_branch .LBB31_1267
.LBB31_1264:
                                        ; implicit-def: $vgpr1
	s_branch .LBB31_1273
.LBB31_1265:
	s_mov_b32 s11, -1
                                        ; implicit-def: $vgpr1
	s_branch .LBB31_1270
.LBB31_1266:
	s_mov_b32 s11, -1
                                        ; implicit-def: $vgpr1
.LBB31_1267:
	s_delay_alu instid0(SALU_CYCLE_1)
	s_and_not1_b32 vcc_lo, exec_lo, s11
	s_cbranch_vccnz .LBB31_1269
; %bb.1268:
	s_wait_loadcnt 0x0
	global_load_b32 v1, v[14:15], off
	s_wait_loadcnt 0x0
	v_cvt_f32_i32_e32 v1, v1
	s_delay_alu instid0(VALU_DEP_1) | instskip(NEXT) | instid1(VALU_DEP_1)
	v_bfe_u32 v3, v1, 16, 1
	v_add3_u32 v1, v1, v3, 0x7fff
	s_delay_alu instid0(VALU_DEP_1)
	v_lshrrev_b32_e32 v1, 16, v1
.LBB31_1269:
	s_mov_b32 s11, 0
.LBB31_1270:
	s_delay_alu instid0(SALU_CYCLE_1)
	s_and_not1_b32 vcc_lo, exec_lo, s11
	s_cbranch_vccnz .LBB31_1272
; %bb.1271:
	s_wait_loadcnt 0x0
	global_load_i16 v1, v[14:15], off
	s_wait_loadcnt 0x0
	v_cvt_f32_i32_e32 v1, v1
	s_delay_alu instid0(VALU_DEP_1) | instskip(NEXT) | instid1(VALU_DEP_1)
	v_bfe_u32 v3, v1, 16, 1
	v_add3_u32 v1, v1, v3, 0x7fff
	s_delay_alu instid0(VALU_DEP_1)
	v_lshrrev_b32_e32 v1, 16, v1
.LBB31_1272:
	s_cbranch_execnz .LBB31_1278
.LBB31_1273:
	s_cmp_gt_i32 s1, 0
	s_mov_b32 s1, 0
	s_cbranch_scc0 .LBB31_1275
; %bb.1274:
	s_wait_loadcnt 0x0
	global_load_i8 v1, v[14:15], off
	s_wait_loadcnt 0x0
	v_cvt_f32_i32_e32 v1, v1
	s_delay_alu instid0(VALU_DEP_1) | instskip(NEXT) | instid1(VALU_DEP_1)
	v_bfe_u32 v3, v1, 16, 1
	v_add3_u32 v1, v1, v3, 0x7fff
	s_delay_alu instid0(VALU_DEP_1)
	v_lshrrev_b32_e32 v1, 16, v1
	s_branch .LBB31_1276
.LBB31_1275:
	s_mov_b32 s1, -1
                                        ; implicit-def: $vgpr1
.LBB31_1276:
	s_delay_alu instid0(SALU_CYCLE_1)
	s_and_not1_b32 vcc_lo, exec_lo, s1
	s_cbranch_vccnz .LBB31_1278
; %bb.1277:
	s_wait_loadcnt 0x0
	global_load_u8 v1, v[14:15], off
	s_wait_loadcnt 0x0
	v_cvt_f32_ubyte0_e32 v1, v1
	s_delay_alu instid0(VALU_DEP_1) | instskip(NEXT) | instid1(VALU_DEP_1)
	v_bfe_u32 v3, v1, 16, 1
	v_add3_u32 v1, v1, v3, 0x7fff
	s_delay_alu instid0(VALU_DEP_1)
	v_lshrrev_b32_e32 v1, 16, v1
.LBB31_1278:
.LBB31_1279:
	v_mov_b32_e32 v13, 0
	s_and_b32 s0, 0xffff, s0
	s_delay_alu instid0(SALU_CYCLE_1) | instskip(NEXT) | instid1(VALU_DEP_1)
	s_cmp_lt_i32 s0, 11
	v_add_nc_u64_e32 v[12:13], s[6:7], v[12:13]
	s_cbranch_scc1 .LBB31_1286
; %bb.1280:
	s_cmp_gt_i32 s0, 25
	s_mov_b32 s11, 0
	s_cbranch_scc0 .LBB31_1288
; %bb.1281:
	s_cmp_gt_i32 s0, 28
	s_cbranch_scc0 .LBB31_1289
; %bb.1282:
	s_cmp_gt_i32 s0, 43
	s_cbranch_scc0 .LBB31_1290
; %bb.1283:
	s_cmp_gt_i32 s0, 45
	s_cbranch_scc0 .LBB31_1292
; %bb.1284:
	s_cmp_eq_u32 s0, 46
	s_mov_b32 s13, 0
	s_cbranch_scc0 .LBB31_1295
; %bb.1285:
	global_load_b32 v3, v[12:13], off
	s_mov_b32 s1, 0
	s_mov_b32 s12, -1
	s_branch .LBB31_1297
.LBB31_1286:
	s_mov_b32 s12, 0
                                        ; implicit-def: $vgpr3
	s_cbranch_execnz .LBB31_1362
.LBB31_1287:
	s_and_not1_b32 vcc_lo, exec_lo, s12
	s_cbranch_vccz .LBB31_1409
	s_branch .LBB31_2100
.LBB31_1288:
	s_mov_b32 s12, 0
	s_mov_b32 s1, 0
                                        ; implicit-def: $vgpr3
	s_cbranch_execnz .LBB31_1326
	s_branch .LBB31_1358
.LBB31_1289:
	s_mov_b32 s13, -1
	s_mov_b32 s12, 0
	s_mov_b32 s1, 0
                                        ; implicit-def: $vgpr3
	s_branch .LBB31_1307
.LBB31_1290:
	s_mov_b32 s13, -1
	s_mov_b32 s12, 0
	s_mov_b32 s1, 0
                                        ; implicit-def: $vgpr3
	s_branch .LBB31_1302
.LBB31_1291:
	s_or_b32 s10, s8, exec_lo
	s_trap 2
	s_cbranch_execz .LBB31_1232
	s_branch .LBB31_1233
.LBB31_1292:
	s_mov_b32 s13, -1
	s_mov_b32 s12, 0
	s_mov_b32 s1, 0
	s_branch .LBB31_1296
.LBB31_1293:
	s_and_not1_saveexec_b32 s10, s10
	s_cbranch_execz .LBB31_1015
.LBB31_1294:
	v_add_f32_e64 v4, 0x42800000, |v5|
	s_and_not1_b32 s9, s9, exec_lo
	s_delay_alu instid0(VALU_DEP_1) | instskip(NEXT) | instid1(VALU_DEP_1)
	v_and_b32_e32 v4, 0xff, v4
	v_cmp_ne_u32_e32 vcc_lo, 0, v4
	s_and_b32 s11, vcc_lo, exec_lo
	s_delay_alu instid0(SALU_CYCLE_1)
	s_or_b32 s9, s9, s11
	s_or_b32 exec_lo, exec_lo, s10
	v_mov_b32_e32 v6, 0
	s_and_saveexec_b32 s10, s9
	s_cbranch_execnz .LBB31_1016
	s_branch .LBB31_1017
.LBB31_1295:
	s_mov_b32 s1, -1
	s_mov_b32 s12, 0
.LBB31_1296:
                                        ; implicit-def: $vgpr3
.LBB31_1297:
	s_and_b32 vcc_lo, exec_lo, s13
	s_cbranch_vccz .LBB31_1301
; %bb.1298:
	s_cmp_eq_u32 s0, 44
	s_cbranch_scc0 .LBB31_1300
; %bb.1299:
	s_wait_loadcnt 0x0
	global_load_u8 v3, v[12:13], off
	s_mov_b32 s1, 0
	s_mov_b32 s12, -1
	s_wait_loadcnt 0x0
	v_lshlrev_b32_e32 v5, 23, v3
	v_cmp_ne_u32_e32 vcc_lo, 0xff, v3
	s_delay_alu instid0(VALU_DEP_2) | instskip(SKIP_1) | instid1(VALU_DEP_2)
	v_cndmask_b32_e32 v5, 0x7f800001, v5, vcc_lo
	v_cmp_ne_u32_e32 vcc_lo, 0, v3
	v_cndmask_b32_e32 v3, 0x400000, v5, vcc_lo
	s_delay_alu instid0(VALU_DEP_1) | instskip(SKIP_1) | instid1(VALU_DEP_2)
	v_add_nc_u32_e32 v5, 0x7fff, v3
	v_cmp_o_f32_e32 vcc_lo, v3, v3
	v_lshrrev_b32_e32 v5, 16, v5
	s_delay_alu instid0(VALU_DEP_1)
	v_cndmask_b32_e32 v3, 0x7fc0, v5, vcc_lo
	s_branch .LBB31_1301
.LBB31_1300:
	s_mov_b32 s1, -1
                                        ; implicit-def: $vgpr3
.LBB31_1301:
	s_mov_b32 s13, 0
.LBB31_1302:
	s_delay_alu instid0(SALU_CYCLE_1)
	s_and_b32 vcc_lo, exec_lo, s13
	s_cbranch_vccz .LBB31_1306
; %bb.1303:
	s_cmp_eq_u32 s0, 29
	s_cbranch_scc0 .LBB31_1305
; %bb.1304:
	global_load_b64 v[14:15], v[12:13], off
	s_mov_b32 s1, 0
	s_mov_b32 s12, -1
	s_mov_b32 s13, 0
	s_wait_loadcnt 0x0
	v_clz_i32_u32_e32 v3, v15
	s_delay_alu instid0(VALU_DEP_1) | instskip(NEXT) | instid1(VALU_DEP_1)
	v_min_u32_e32 v3, 32, v3
	v_lshlrev_b64_e32 v[14:15], v3, v[14:15]
	v_sub_nc_u32_e32 v3, 32, v3
	s_delay_alu instid0(VALU_DEP_2) | instskip(NEXT) | instid1(VALU_DEP_1)
	v_min_u32_e32 v5, 1, v14
	v_or_b32_e32 v5, v15, v5
	s_delay_alu instid0(VALU_DEP_1) | instskip(NEXT) | instid1(VALU_DEP_1)
	v_cvt_f32_u32_e32 v5, v5
	v_ldexp_f32 v3, v5, v3
	s_delay_alu instid0(VALU_DEP_1) | instskip(NEXT) | instid1(VALU_DEP_1)
	v_bfe_u32 v5, v3, 16, 1
	v_add3_u32 v3, v3, v5, 0x7fff
	s_delay_alu instid0(VALU_DEP_1)
	v_lshrrev_b32_e32 v3, 16, v3
	s_branch .LBB31_1307
.LBB31_1305:
	s_mov_b32 s1, -1
                                        ; implicit-def: $vgpr3
.LBB31_1306:
	s_mov_b32 s13, 0
.LBB31_1307:
	s_delay_alu instid0(SALU_CYCLE_1)
	s_and_b32 vcc_lo, exec_lo, s13
	s_cbranch_vccz .LBB31_1325
; %bb.1308:
	s_cmp_lt_i32 s0, 27
	s_cbranch_scc1 .LBB31_1311
; %bb.1309:
	s_cmp_gt_i32 s0, 27
	s_cbranch_scc0 .LBB31_1312
; %bb.1310:
	s_wait_loadcnt 0x0
	global_load_b32 v3, v[12:13], off
	s_mov_b32 s12, 0
	s_wait_loadcnt 0x0
	v_cvt_f32_u32_e32 v3, v3
	s_delay_alu instid0(VALU_DEP_1) | instskip(NEXT) | instid1(VALU_DEP_1)
	v_bfe_u32 v5, v3, 16, 1
	v_add3_u32 v3, v3, v5, 0x7fff
	s_delay_alu instid0(VALU_DEP_1)
	v_lshrrev_b32_e32 v3, 16, v3
	s_branch .LBB31_1313
.LBB31_1311:
	s_mov_b32 s12, -1
                                        ; implicit-def: $vgpr3
	s_branch .LBB31_1316
.LBB31_1312:
	s_mov_b32 s12, -1
                                        ; implicit-def: $vgpr3
.LBB31_1313:
	s_delay_alu instid0(SALU_CYCLE_1)
	s_and_not1_b32 vcc_lo, exec_lo, s12
	s_cbranch_vccnz .LBB31_1315
; %bb.1314:
	s_wait_loadcnt 0x0
	global_load_u16 v3, v[12:13], off
	s_wait_loadcnt 0x0
	v_cvt_f32_u32_e32 v3, v3
	s_delay_alu instid0(VALU_DEP_1) | instskip(NEXT) | instid1(VALU_DEP_1)
	v_bfe_u32 v5, v3, 16, 1
	v_add3_u32 v3, v3, v5, 0x7fff
	s_delay_alu instid0(VALU_DEP_1)
	v_lshrrev_b32_e32 v3, 16, v3
.LBB31_1315:
	s_mov_b32 s12, 0
.LBB31_1316:
	s_delay_alu instid0(SALU_CYCLE_1)
	s_and_not1_b32 vcc_lo, exec_lo, s12
	s_cbranch_vccnz .LBB31_1324
; %bb.1317:
	s_wait_loadcnt 0x0
	global_load_u8 v3, v[12:13], off
	s_mov_b32 s12, 0
	s_mov_b32 s13, exec_lo
	s_wait_loadcnt 0x0
	v_cmpx_lt_i16_e32 0x7f, v3
	s_xor_b32 s13, exec_lo, s13
	s_cbranch_execz .LBB31_1337
; %bb.1318:
	s_mov_b32 s12, -1
	s_mov_b32 s14, exec_lo
	v_cmpx_eq_u16_e32 0x80, v3
; %bb.1319:
	s_xor_b32 s12, exec_lo, -1
; %bb.1320:
	s_or_b32 exec_lo, exec_lo, s14
	s_delay_alu instid0(SALU_CYCLE_1)
	s_and_b32 s12, s12, exec_lo
	s_or_saveexec_b32 s13, s13
	v_mov_b32_e32 v5, 0x7f800001
	s_xor_b32 exec_lo, exec_lo, s13
	s_cbranch_execnz .LBB31_1338
.LBB31_1321:
	s_or_b32 exec_lo, exec_lo, s13
	s_and_saveexec_b32 s13, s12
	s_cbranch_execz .LBB31_1323
.LBB31_1322:
	v_and_b32_e32 v5, 0xffff, v3
	s_delay_alu instid0(VALU_DEP_1) | instskip(SKIP_1) | instid1(VALU_DEP_2)
	v_dual_lshlrev_b32 v3, 24, v3 :: v_dual_bitop2_b32 v7, 7, v5 bitop3:0x40
	v_bfe_u32 v14, v5, 3, 4
	v_and_b32_e32 v3, 0x80000000, v3
	s_delay_alu instid0(VALU_DEP_3) | instskip(NEXT) | instid1(VALU_DEP_3)
	v_clz_i32_u32_e32 v9, v7
	v_cmp_eq_u32_e32 vcc_lo, 0, v14
	s_delay_alu instid0(VALU_DEP_2) | instskip(NEXT) | instid1(VALU_DEP_1)
	v_min_u32_e32 v9, 32, v9
	v_subrev_nc_u32_e32 v11, 28, v9
	v_sub_nc_u32_e32 v9, 29, v9
	s_delay_alu instid0(VALU_DEP_2) | instskip(NEXT) | instid1(VALU_DEP_2)
	v_lshlrev_b32_e32 v5, v11, v5
	v_cndmask_b32_e32 v9, v14, v9, vcc_lo
	s_delay_alu instid0(VALU_DEP_2) | instskip(NEXT) | instid1(VALU_DEP_1)
	v_and_b32_e32 v5, 7, v5
	v_cndmask_b32_e32 v5, v7, v5, vcc_lo
	s_delay_alu instid0(VALU_DEP_3) | instskip(NEXT) | instid1(VALU_DEP_2)
	v_lshl_add_u32 v7, v9, 23, 0x3b800000
	v_lshlrev_b32_e32 v5, 20, v5
	s_delay_alu instid0(VALU_DEP_1)
	v_or3_b32 v5, v3, v7, v5
.LBB31_1323:
	s_or_b32 exec_lo, exec_lo, s13
	s_delay_alu instid0(VALU_DEP_1) | instskip(SKIP_1) | instid1(VALU_DEP_2)
	v_bfe_u32 v3, v5, 16, 1
	v_cmp_o_f32_e32 vcc_lo, v5, v5
	v_add3_u32 v3, v5, v3, 0x7fff
	s_delay_alu instid0(VALU_DEP_1) | instskip(NEXT) | instid1(VALU_DEP_1)
	v_lshrrev_b32_e32 v3, 16, v3
	v_cndmask_b32_e32 v3, 0x7fc0, v3, vcc_lo
.LBB31_1324:
	s_mov_b32 s12, -1
.LBB31_1325:
	s_branch .LBB31_1358
.LBB31_1326:
	s_cmp_gt_i32 s0, 22
	s_cbranch_scc0 .LBB31_1336
; %bb.1327:
	s_cmp_lt_i32 s0, 24
	s_cbranch_scc1 .LBB31_1339
; %bb.1328:
	s_cmp_gt_i32 s0, 24
	s_cbranch_scc0 .LBB31_1340
; %bb.1329:
	s_wait_loadcnt 0x0
	global_load_u8 v3, v[12:13], off
	s_mov_b32 s12, exec_lo
	s_wait_loadcnt 0x0
	v_cmpx_lt_i16_e32 0x7f, v3
	s_xor_b32 s12, exec_lo, s12
	s_cbranch_execz .LBB31_1352
; %bb.1330:
	s_mov_b32 s11, -1
	s_mov_b32 s13, exec_lo
	v_cmpx_eq_u16_e32 0x80, v3
; %bb.1331:
	s_xor_b32 s11, exec_lo, -1
; %bb.1332:
	s_or_b32 exec_lo, exec_lo, s13
	s_delay_alu instid0(SALU_CYCLE_1)
	s_and_b32 s11, s11, exec_lo
	s_or_saveexec_b32 s12, s12
	v_mov_b32_e32 v5, 0x7f800001
	s_xor_b32 exec_lo, exec_lo, s12
	s_cbranch_execnz .LBB31_1353
.LBB31_1333:
	s_or_b32 exec_lo, exec_lo, s12
	s_and_saveexec_b32 s12, s11
	s_cbranch_execz .LBB31_1335
.LBB31_1334:
	v_and_b32_e32 v5, 0xffff, v3
	s_delay_alu instid0(VALU_DEP_1) | instskip(SKIP_1) | instid1(VALU_DEP_2)
	v_dual_lshlrev_b32 v3, 24, v3 :: v_dual_bitop2_b32 v7, 3, v5 bitop3:0x40
	v_bfe_u32 v14, v5, 2, 5
	v_and_b32_e32 v3, 0x80000000, v3
	s_delay_alu instid0(VALU_DEP_3) | instskip(NEXT) | instid1(VALU_DEP_3)
	v_clz_i32_u32_e32 v9, v7
	v_cmp_eq_u32_e32 vcc_lo, 0, v14
	s_delay_alu instid0(VALU_DEP_2) | instskip(NEXT) | instid1(VALU_DEP_1)
	v_min_u32_e32 v9, 32, v9
	v_subrev_nc_u32_e32 v11, 29, v9
	v_sub_nc_u32_e32 v9, 30, v9
	s_delay_alu instid0(VALU_DEP_2) | instskip(NEXT) | instid1(VALU_DEP_2)
	v_lshlrev_b32_e32 v5, v11, v5
	v_cndmask_b32_e32 v9, v14, v9, vcc_lo
	s_delay_alu instid0(VALU_DEP_2) | instskip(NEXT) | instid1(VALU_DEP_1)
	v_and_b32_e32 v5, 3, v5
	v_cndmask_b32_e32 v5, v7, v5, vcc_lo
	s_delay_alu instid0(VALU_DEP_3) | instskip(NEXT) | instid1(VALU_DEP_2)
	v_lshl_add_u32 v7, v9, 23, 0x37800000
	v_lshlrev_b32_e32 v5, 21, v5
	s_delay_alu instid0(VALU_DEP_1)
	v_or3_b32 v5, v3, v7, v5
.LBB31_1335:
	s_or_b32 exec_lo, exec_lo, s12
	s_delay_alu instid0(VALU_DEP_1) | instskip(SKIP_2) | instid1(VALU_DEP_2)
	v_bfe_u32 v3, v5, 16, 1
	v_cmp_o_f32_e32 vcc_lo, v5, v5
	s_mov_b32 s11, 0
	v_add3_u32 v3, v5, v3, 0x7fff
	s_delay_alu instid0(VALU_DEP_1) | instskip(NEXT) | instid1(VALU_DEP_1)
	v_lshrrev_b32_e32 v3, 16, v3
	v_cndmask_b32_e32 v3, 0x7fc0, v3, vcc_lo
	s_branch .LBB31_1341
.LBB31_1336:
	s_mov_b32 s11, -1
                                        ; implicit-def: $vgpr3
	s_branch .LBB31_1347
.LBB31_1337:
	s_or_saveexec_b32 s13, s13
	v_mov_b32_e32 v5, 0x7f800001
	s_xor_b32 exec_lo, exec_lo, s13
	s_cbranch_execz .LBB31_1321
.LBB31_1338:
	v_cmp_ne_u16_e32 vcc_lo, 0, v3
	v_mov_b32_e32 v5, 0
	s_and_not1_b32 s12, s12, exec_lo
	s_and_b32 s14, vcc_lo, exec_lo
	s_delay_alu instid0(SALU_CYCLE_1)
	s_or_b32 s12, s12, s14
	s_or_b32 exec_lo, exec_lo, s13
	s_and_saveexec_b32 s13, s12
	s_cbranch_execnz .LBB31_1322
	s_branch .LBB31_1323
.LBB31_1339:
	s_mov_b32 s11, -1
                                        ; implicit-def: $vgpr3
	s_branch .LBB31_1344
.LBB31_1340:
	s_mov_b32 s11, -1
                                        ; implicit-def: $vgpr3
.LBB31_1341:
	s_delay_alu instid0(SALU_CYCLE_1)
	s_and_b32 vcc_lo, exec_lo, s11
	s_cbranch_vccz .LBB31_1343
; %bb.1342:
	s_wait_loadcnt 0x0
	global_load_u8 v3, v[12:13], off
	s_wait_loadcnt 0x0
	v_lshlrev_b32_e32 v3, 24, v3
	s_delay_alu instid0(VALU_DEP_1) | instskip(NEXT) | instid1(VALU_DEP_1)
	v_and_b32_e32 v5, 0x7f000000, v3
	v_clz_i32_u32_e32 v7, v5
	v_add_nc_u32_e32 v11, 0x1000000, v5
	v_cmp_ne_u32_e32 vcc_lo, 0, v5
	s_delay_alu instid0(VALU_DEP_3) | instskip(NEXT) | instid1(VALU_DEP_1)
	v_min_u32_e32 v7, 32, v7
	v_sub_nc_u32_e64 v7, v7, 4 clamp
	s_delay_alu instid0(VALU_DEP_1) | instskip(NEXT) | instid1(VALU_DEP_1)
	v_dual_lshlrev_b32 v9, v7, v5 :: v_dual_lshlrev_b32 v7, 23, v7
	v_lshrrev_b32_e32 v9, 4, v9
	s_delay_alu instid0(VALU_DEP_1) | instskip(SKIP_1) | instid1(VALU_DEP_2)
	v_sub_nc_u32_e32 v7, v9, v7
	v_ashrrev_i32_e32 v9, 8, v11
	v_add_nc_u32_e32 v7, 0x3c000000, v7
	s_delay_alu instid0(VALU_DEP_1) | instskip(NEXT) | instid1(VALU_DEP_1)
	v_and_or_b32 v7, 0x7f800000, v9, v7
	v_cndmask_b32_e32 v5, 0, v7, vcc_lo
	s_delay_alu instid0(VALU_DEP_1) | instskip(SKIP_1) | instid1(VALU_DEP_2)
	v_and_or_b32 v3, 0x80000000, v3, v5
	v_bfe_u32 v5, v5, 16, 1
	v_cmp_o_f32_e32 vcc_lo, v3, v3
	s_delay_alu instid0(VALU_DEP_2) | instskip(NEXT) | instid1(VALU_DEP_1)
	v_add3_u32 v5, v3, v5, 0x7fff
	v_lshrrev_b32_e32 v5, 16, v5
	s_delay_alu instid0(VALU_DEP_1)
	v_cndmask_b32_e32 v3, 0x7fc0, v5, vcc_lo
.LBB31_1343:
	s_mov_b32 s11, 0
.LBB31_1344:
	s_delay_alu instid0(SALU_CYCLE_1)
	s_and_not1_b32 vcc_lo, exec_lo, s11
	s_cbranch_vccnz .LBB31_1346
; %bb.1345:
	s_wait_loadcnt 0x0
	global_load_u8 v3, v[12:13], off
	s_wait_loadcnt 0x0
	v_lshlrev_b32_e32 v5, 25, v3
	v_lshlrev_b16 v3, 8, v3
	s_delay_alu instid0(VALU_DEP_1) | instskip(SKIP_1) | instid1(VALU_DEP_2)
	v_and_or_b32 v9, 0x7f00, v3, 0.5
	v_bfe_i32 v3, v3, 0, 16
	v_add_f32_e32 v9, -0.5, v9
	v_lshrrev_b32_e32 v7, 4, v5
	v_cmp_gt_u32_e32 vcc_lo, 0x8000000, v5
	s_delay_alu instid0(VALU_DEP_2) | instskip(NEXT) | instid1(VALU_DEP_1)
	v_or_b32_e32 v7, 0x70000000, v7
	v_mul_f32_e32 v7, 0x7800000, v7
	s_delay_alu instid0(VALU_DEP_1) | instskip(NEXT) | instid1(VALU_DEP_1)
	v_cndmask_b32_e32 v5, v7, v9, vcc_lo
	v_and_or_b32 v3, 0x80000000, v3, v5
	v_bfe_u32 v5, v5, 16, 1
	s_delay_alu instid0(VALU_DEP_2) | instskip(NEXT) | instid1(VALU_DEP_2)
	v_cmp_o_f32_e32 vcc_lo, v3, v3
	v_add3_u32 v5, v3, v5, 0x7fff
	s_delay_alu instid0(VALU_DEP_1) | instskip(NEXT) | instid1(VALU_DEP_1)
	v_lshrrev_b32_e32 v5, 16, v5
	v_cndmask_b32_e32 v3, 0x7fc0, v5, vcc_lo
.LBB31_1346:
	s_mov_b32 s11, 0
	s_mov_b32 s12, -1
.LBB31_1347:
	s_and_not1_b32 vcc_lo, exec_lo, s11
	s_mov_b32 s11, 0
	s_cbranch_vccnz .LBB31_1358
; %bb.1348:
	s_cmp_gt_i32 s0, 14
	s_cbranch_scc0 .LBB31_1351
; %bb.1349:
	s_cmp_eq_u32 s0, 15
	s_cbranch_scc0 .LBB31_1354
; %bb.1350:
	s_wait_loadcnt 0x0
	global_load_u16 v3, v[12:13], off
	s_mov_b32 s1, 0
	s_mov_b32 s12, -1
	s_branch .LBB31_1356
.LBB31_1351:
	s_mov_b32 s11, -1
	s_branch .LBB31_1355
.LBB31_1352:
	s_or_saveexec_b32 s12, s12
	v_mov_b32_e32 v5, 0x7f800001
	s_xor_b32 exec_lo, exec_lo, s12
	s_cbranch_execz .LBB31_1333
.LBB31_1353:
	v_cmp_ne_u16_e32 vcc_lo, 0, v3
	v_mov_b32_e32 v5, 0
	s_and_not1_b32 s11, s11, exec_lo
	s_and_b32 s13, vcc_lo, exec_lo
	s_delay_alu instid0(SALU_CYCLE_1)
	s_or_b32 s11, s11, s13
	s_or_b32 exec_lo, exec_lo, s12
	s_and_saveexec_b32 s12, s11
	s_cbranch_execnz .LBB31_1334
	s_branch .LBB31_1335
.LBB31_1354:
	s_mov_b32 s1, -1
.LBB31_1355:
                                        ; implicit-def: $vgpr3
.LBB31_1356:
	s_and_b32 vcc_lo, exec_lo, s11
	s_mov_b32 s11, 0
	s_cbranch_vccz .LBB31_1358
; %bb.1357:
	s_cmp_lg_u32 s0, 11
	s_mov_b32 s11, -1
	s_cselect_b32 s1, -1, 0
.LBB31_1358:
	s_delay_alu instid0(SALU_CYCLE_1)
	s_and_b32 vcc_lo, exec_lo, s1
	s_cbranch_vccnz .LBB31_1421
; %bb.1359:
	s_and_not1_b32 vcc_lo, exec_lo, s11
	s_cbranch_vccnz .LBB31_1361
.LBB31_1360:
	s_wait_loadcnt 0x0
	global_load_u8 v3, v[12:13], off
	s_mov_b32 s12, -1
	s_wait_loadcnt 0x0
	v_cmp_ne_u16_e32 vcc_lo, 0, v3
	v_cndmask_b32_e64 v3, 0, 1.0, vcc_lo
	s_delay_alu instid0(VALU_DEP_1)
	v_lshrrev_b32_e32 v3, 16, v3
.LBB31_1361:
	s_branch .LBB31_1287
.LBB31_1362:
	s_cmp_lt_i32 s0, 5
	s_cbranch_scc1 .LBB31_1367
; %bb.1363:
	s_cmp_lt_i32 s0, 8
	s_cbranch_scc1 .LBB31_1368
; %bb.1364:
	s_cmp_lt_i32 s0, 9
	s_cbranch_scc1 .LBB31_1369
; %bb.1365:
	s_cmp_gt_i32 s0, 9
	s_cbranch_scc0 .LBB31_1370
; %bb.1366:
	global_load_b64 v[14:15], v[12:13], off
	s_mov_b32 s1, 0
	s_wait_loadcnt 0x0
	v_cvt_f32_f64_e32 v3, v[14:15]
	s_delay_alu instid0(VALU_DEP_1) | instskip(SKIP_1) | instid1(VALU_DEP_2)
	v_bfe_u32 v5, v3, 16, 1
	v_cmp_o_f32_e32 vcc_lo, v3, v3
	v_add3_u32 v5, v3, v5, 0x7fff
	s_delay_alu instid0(VALU_DEP_1) | instskip(NEXT) | instid1(VALU_DEP_1)
	v_lshrrev_b32_e32 v5, 16, v5
	v_cndmask_b32_e32 v3, 0x7fc0, v5, vcc_lo
	s_branch .LBB31_1371
.LBB31_1367:
                                        ; implicit-def: $vgpr3
	s_branch .LBB31_1389
.LBB31_1368:
	s_mov_b32 s1, -1
                                        ; implicit-def: $vgpr3
	s_branch .LBB31_1377
.LBB31_1369:
	s_mov_b32 s1, -1
                                        ; implicit-def: $vgpr3
	s_branch .LBB31_1374
.LBB31_1370:
	s_mov_b32 s1, -1
                                        ; implicit-def: $vgpr3
.LBB31_1371:
	s_delay_alu instid0(SALU_CYCLE_1)
	s_and_not1_b32 vcc_lo, exec_lo, s1
	s_cbranch_vccnz .LBB31_1373
; %bb.1372:
	s_wait_loadcnt 0x0
	global_load_b32 v3, v[12:13], off
	s_wait_loadcnt 0x0
	v_bfe_u32 v5, v3, 16, 1
	v_cmp_o_f32_e32 vcc_lo, v3, v3
	s_delay_alu instid0(VALU_DEP_2) | instskip(NEXT) | instid1(VALU_DEP_1)
	v_add3_u32 v5, v3, v5, 0x7fff
	v_lshrrev_b32_e32 v5, 16, v5
	s_delay_alu instid0(VALU_DEP_1)
	v_cndmask_b32_e32 v3, 0x7fc0, v5, vcc_lo
.LBB31_1373:
	s_mov_b32 s1, 0
.LBB31_1374:
	s_delay_alu instid0(SALU_CYCLE_1)
	s_and_not1_b32 vcc_lo, exec_lo, s1
	s_cbranch_vccnz .LBB31_1376
; %bb.1375:
	s_wait_loadcnt 0x0
	global_load_b32 v3, v[12:13], off
	s_wait_loadcnt 0x0
	v_cvt_f32_f16_e32 v5, v3
	v_cmp_o_f16_e32 vcc_lo, v3, v3
	s_delay_alu instid0(VALU_DEP_2) | instskip(NEXT) | instid1(VALU_DEP_1)
	v_bfe_u32 v7, v5, 16, 1
	v_add3_u32 v5, v5, v7, 0x7fff
	s_delay_alu instid0(VALU_DEP_1) | instskip(NEXT) | instid1(VALU_DEP_1)
	v_lshrrev_b32_e32 v5, 16, v5
	v_cndmask_b32_e32 v3, 0x7fc0, v5, vcc_lo
.LBB31_1376:
	s_mov_b32 s1, 0
.LBB31_1377:
	s_delay_alu instid0(SALU_CYCLE_1)
	s_and_not1_b32 vcc_lo, exec_lo, s1
	s_cbranch_vccnz .LBB31_1388
; %bb.1378:
	s_cmp_lt_i32 s0, 6
	s_cbranch_scc1 .LBB31_1381
; %bb.1379:
	s_cmp_gt_i32 s0, 6
	s_cbranch_scc0 .LBB31_1382
; %bb.1380:
	global_load_b64 v[14:15], v[12:13], off
	s_mov_b32 s1, 0
	s_wait_loadcnt 0x0
	v_cvt_f32_f64_e32 v3, v[14:15]
	s_delay_alu instid0(VALU_DEP_1) | instskip(SKIP_1) | instid1(VALU_DEP_2)
	v_bfe_u32 v5, v3, 16, 1
	v_cmp_o_f32_e32 vcc_lo, v3, v3
	v_add3_u32 v5, v3, v5, 0x7fff
	s_delay_alu instid0(VALU_DEP_1) | instskip(NEXT) | instid1(VALU_DEP_1)
	v_lshrrev_b32_e32 v5, 16, v5
	v_cndmask_b32_e32 v3, 0x7fc0, v5, vcc_lo
	s_branch .LBB31_1383
.LBB31_1381:
	s_mov_b32 s1, -1
                                        ; implicit-def: $vgpr3
	s_branch .LBB31_1386
.LBB31_1382:
	s_mov_b32 s1, -1
                                        ; implicit-def: $vgpr3
.LBB31_1383:
	s_delay_alu instid0(SALU_CYCLE_1)
	s_and_not1_b32 vcc_lo, exec_lo, s1
	s_cbranch_vccnz .LBB31_1385
; %bb.1384:
	s_wait_loadcnt 0x0
	global_load_b32 v3, v[12:13], off
	s_wait_loadcnt 0x0
	v_bfe_u32 v5, v3, 16, 1
	v_cmp_o_f32_e32 vcc_lo, v3, v3
	s_delay_alu instid0(VALU_DEP_2) | instskip(NEXT) | instid1(VALU_DEP_1)
	v_add3_u32 v5, v3, v5, 0x7fff
	v_lshrrev_b32_e32 v5, 16, v5
	s_delay_alu instid0(VALU_DEP_1)
	v_cndmask_b32_e32 v3, 0x7fc0, v5, vcc_lo
.LBB31_1385:
	s_mov_b32 s1, 0
.LBB31_1386:
	s_delay_alu instid0(SALU_CYCLE_1)
	s_and_not1_b32 vcc_lo, exec_lo, s1
	s_cbranch_vccnz .LBB31_1388
; %bb.1387:
	s_wait_loadcnt 0x0
	global_load_u16 v3, v[12:13], off
	s_wait_loadcnt 0x0
	v_cvt_f32_f16_e32 v5, v3
	v_cmp_o_f16_e32 vcc_lo, v3, v3
	s_delay_alu instid0(VALU_DEP_2) | instskip(NEXT) | instid1(VALU_DEP_1)
	v_bfe_u32 v7, v5, 16, 1
	v_add3_u32 v5, v5, v7, 0x7fff
	s_delay_alu instid0(VALU_DEP_1) | instskip(NEXT) | instid1(VALU_DEP_1)
	v_lshrrev_b32_e32 v5, 16, v5
	v_cndmask_b32_e32 v3, 0x7fc0, v5, vcc_lo
.LBB31_1388:
	s_cbranch_execnz .LBB31_1408
.LBB31_1389:
	s_cmp_lt_i32 s0, 2
	s_cbranch_scc1 .LBB31_1393
; %bb.1390:
	s_cmp_lt_i32 s0, 3
	s_cbranch_scc1 .LBB31_1394
; %bb.1391:
	s_cmp_gt_i32 s0, 3
	s_cbranch_scc0 .LBB31_1395
; %bb.1392:
	global_load_b64 v[14:15], v[12:13], off
	s_mov_b32 s1, 0
	s_wait_loadcnt 0x0
	v_xor_b32_e32 v3, v14, v15
	v_cls_i32_e32 v5, v15
	s_delay_alu instid0(VALU_DEP_2) | instskip(NEXT) | instid1(VALU_DEP_1)
	v_ashrrev_i32_e32 v3, 31, v3
	v_add_nc_u32_e32 v3, 32, v3
	s_delay_alu instid0(VALU_DEP_1) | instskip(NEXT) | instid1(VALU_DEP_1)
	v_add_min_u32_e64 v3, v5, -1, v3
	v_lshlrev_b64_e32 v[14:15], v3, v[14:15]
	v_sub_nc_u32_e32 v3, 32, v3
	s_delay_alu instid0(VALU_DEP_2) | instskip(NEXT) | instid1(VALU_DEP_1)
	v_min_u32_e32 v5, 1, v14
	v_or_b32_e32 v5, v15, v5
	s_delay_alu instid0(VALU_DEP_1) | instskip(NEXT) | instid1(VALU_DEP_1)
	v_cvt_f32_i32_e32 v5, v5
	v_ldexp_f32 v3, v5, v3
	s_delay_alu instid0(VALU_DEP_1) | instskip(NEXT) | instid1(VALU_DEP_1)
	v_bfe_u32 v5, v3, 16, 1
	v_add3_u32 v3, v3, v5, 0x7fff
	s_delay_alu instid0(VALU_DEP_1)
	v_lshrrev_b32_e32 v3, 16, v3
	s_branch .LBB31_1396
.LBB31_1393:
	s_mov_b32 s1, -1
                                        ; implicit-def: $vgpr3
	s_branch .LBB31_1402
.LBB31_1394:
	s_mov_b32 s1, -1
                                        ; implicit-def: $vgpr3
	s_branch .LBB31_1399
.LBB31_1395:
	s_mov_b32 s1, -1
                                        ; implicit-def: $vgpr3
.LBB31_1396:
	s_delay_alu instid0(SALU_CYCLE_1)
	s_and_not1_b32 vcc_lo, exec_lo, s1
	s_cbranch_vccnz .LBB31_1398
; %bb.1397:
	s_wait_loadcnt 0x0
	global_load_b32 v3, v[12:13], off
	s_wait_loadcnt 0x0
	v_cvt_f32_i32_e32 v3, v3
	s_delay_alu instid0(VALU_DEP_1) | instskip(NEXT) | instid1(VALU_DEP_1)
	v_bfe_u32 v5, v3, 16, 1
	v_add3_u32 v3, v3, v5, 0x7fff
	s_delay_alu instid0(VALU_DEP_1)
	v_lshrrev_b32_e32 v3, 16, v3
.LBB31_1398:
	s_mov_b32 s1, 0
.LBB31_1399:
	s_delay_alu instid0(SALU_CYCLE_1)
	s_and_not1_b32 vcc_lo, exec_lo, s1
	s_cbranch_vccnz .LBB31_1401
; %bb.1400:
	s_wait_loadcnt 0x0
	global_load_i16 v3, v[12:13], off
	s_wait_loadcnt 0x0
	v_cvt_f32_i32_e32 v3, v3
	s_delay_alu instid0(VALU_DEP_1) | instskip(NEXT) | instid1(VALU_DEP_1)
	v_bfe_u32 v5, v3, 16, 1
	v_add3_u32 v3, v3, v5, 0x7fff
	s_delay_alu instid0(VALU_DEP_1)
	v_lshrrev_b32_e32 v3, 16, v3
.LBB31_1401:
	s_mov_b32 s1, 0
.LBB31_1402:
	s_delay_alu instid0(SALU_CYCLE_1)
	s_and_not1_b32 vcc_lo, exec_lo, s1
	s_cbranch_vccnz .LBB31_1408
; %bb.1403:
	s_cmp_gt_i32 s0, 0
	s_mov_b32 s1, 0
	s_cbranch_scc0 .LBB31_1405
; %bb.1404:
	s_wait_loadcnt 0x0
	global_load_i8 v3, v[12:13], off
	s_wait_loadcnt 0x0
	v_cvt_f32_i32_e32 v3, v3
	s_delay_alu instid0(VALU_DEP_1) | instskip(NEXT) | instid1(VALU_DEP_1)
	v_bfe_u32 v5, v3, 16, 1
	v_add3_u32 v3, v3, v5, 0x7fff
	s_delay_alu instid0(VALU_DEP_1)
	v_lshrrev_b32_e32 v3, 16, v3
	s_branch .LBB31_1406
.LBB31_1405:
	s_mov_b32 s1, -1
                                        ; implicit-def: $vgpr3
.LBB31_1406:
	s_delay_alu instid0(SALU_CYCLE_1)
	s_and_not1_b32 vcc_lo, exec_lo, s1
	s_cbranch_vccnz .LBB31_1408
; %bb.1407:
	s_wait_loadcnt 0x0
	global_load_u8 v3, v[12:13], off
	s_wait_loadcnt 0x0
	v_cvt_f32_ubyte0_e32 v3, v3
	s_delay_alu instid0(VALU_DEP_1) | instskip(NEXT) | instid1(VALU_DEP_1)
	v_bfe_u32 v5, v3, 16, 1
	v_add3_u32 v3, v3, v5, 0x7fff
	s_delay_alu instid0(VALU_DEP_1)
	v_lshrrev_b32_e32 v3, 16, v3
.LBB31_1408:
.LBB31_1409:
	v_mov_b32_e32 v11, 0
	s_cmp_lt_i32 s0, 11
	s_delay_alu instid0(VALU_DEP_1)
	v_add_nc_u64_e32 v[10:11], s[6:7], v[10:11]
	s_cbranch_scc1 .LBB31_1416
; %bb.1410:
	s_cmp_gt_i32 s0, 25
	s_mov_b32 s11, 0
	s_cbranch_scc0 .LBB31_1418
; %bb.1411:
	s_cmp_gt_i32 s0, 28
	s_cbranch_scc0 .LBB31_1419
; %bb.1412:
	s_cmp_gt_i32 s0, 43
	;; [unrolled: 3-line block ×3, first 2 shown]
	s_cbranch_scc0 .LBB31_1422
; %bb.1414:
	s_cmp_eq_u32 s0, 46
	s_mov_b32 s13, 0
	s_cbranch_scc0 .LBB31_1423
; %bb.1415:
	global_load_b32 v12, v[10:11], off
	s_mov_b32 s1, 0
	s_mov_b32 s12, -1
	s_branch .LBB31_1425
.LBB31_1416:
	s_mov_b32 s12, 0
                                        ; implicit-def: $vgpr12
	s_cbranch_execnz .LBB31_1491
.LBB31_1417:
	s_and_not1_b32 vcc_lo, exec_lo, s12
	s_cbranch_vccz .LBB31_1539
	s_branch .LBB31_2100
.LBB31_1418:
	s_mov_b32 s13, -1
	s_mov_b32 s12, 0
	s_mov_b32 s1, 0
                                        ; implicit-def: $vgpr12
	s_branch .LBB31_1454
.LBB31_1419:
	s_mov_b32 s13, -1
	s_mov_b32 s12, 0
	s_mov_b32 s1, 0
                                        ; implicit-def: $vgpr12
	s_branch .LBB31_1435
.LBB31_1420:
	s_mov_b32 s13, -1
	s_mov_b32 s12, 0
	s_mov_b32 s1, 0
                                        ; implicit-def: $vgpr12
	s_branch .LBB31_1430
.LBB31_1421:
	s_or_b32 s10, s10, exec_lo
	s_trap 2
	s_cbranch_execz .LBB31_1360
	s_branch .LBB31_1361
.LBB31_1422:
	s_mov_b32 s13, -1
	s_mov_b32 s12, 0
	s_mov_b32 s1, 0
	s_branch .LBB31_1424
.LBB31_1423:
	s_mov_b32 s1, -1
	s_mov_b32 s12, 0
.LBB31_1424:
                                        ; implicit-def: $vgpr12
.LBB31_1425:
	s_and_b32 vcc_lo, exec_lo, s13
	s_cbranch_vccz .LBB31_1429
; %bb.1426:
	s_cmp_eq_u32 s0, 44
	s_cbranch_scc0 .LBB31_1428
; %bb.1427:
	global_load_u8 v5, v[10:11], off
	s_mov_b32 s1, 0
	s_mov_b32 s12, -1
	s_wait_loadcnt 0x0
	v_lshlrev_b32_e32 v7, 23, v5
	v_cmp_ne_u32_e32 vcc_lo, 0xff, v5
	s_delay_alu instid0(VALU_DEP_2) | instskip(SKIP_1) | instid1(VALU_DEP_2)
	v_cndmask_b32_e32 v7, 0x7f800001, v7, vcc_lo
	v_cmp_ne_u32_e32 vcc_lo, 0, v5
	v_cndmask_b32_e32 v5, 0x400000, v7, vcc_lo
	s_delay_alu instid0(VALU_DEP_1) | instskip(SKIP_1) | instid1(VALU_DEP_2)
	v_add_nc_u32_e32 v7, 0x7fff, v5
	v_cmp_o_f32_e32 vcc_lo, v5, v5
	v_lshrrev_b32_e32 v7, 16, v7
	s_wait_xcnt 0x1
	s_delay_alu instid0(VALU_DEP_1)
	v_cndmask_b32_e32 v12, 0x7fc0, v7, vcc_lo
	s_branch .LBB31_1429
.LBB31_1428:
	s_mov_b32 s1, -1
                                        ; implicit-def: $vgpr12
.LBB31_1429:
	s_mov_b32 s13, 0
.LBB31_1430:
	s_delay_alu instid0(SALU_CYCLE_1)
	s_and_b32 vcc_lo, exec_lo, s13
	s_cbranch_vccz .LBB31_1434
; %bb.1431:
	s_cmp_eq_u32 s0, 29
	s_cbranch_scc0 .LBB31_1433
; %bb.1432:
	s_wait_loadcnt 0x0
	global_load_b64 v[12:13], v[10:11], off
	s_mov_b32 s1, 0
	s_mov_b32 s12, -1
	s_mov_b32 s13, 0
	s_wait_loadcnt 0x0
	v_clz_i32_u32_e32 v5, v13
	s_delay_alu instid0(VALU_DEP_1) | instskip(NEXT) | instid1(VALU_DEP_1)
	v_min_u32_e32 v5, 32, v5
	v_lshlrev_b64_e32 v[12:13], v5, v[12:13]
	v_sub_nc_u32_e32 v5, 32, v5
	s_delay_alu instid0(VALU_DEP_2) | instskip(NEXT) | instid1(VALU_DEP_1)
	v_min_u32_e32 v7, 1, v12
	v_or_b32_e32 v7, v13, v7
	s_delay_alu instid0(VALU_DEP_1) | instskip(NEXT) | instid1(VALU_DEP_1)
	v_cvt_f32_u32_e32 v7, v7
	v_ldexp_f32 v5, v7, v5
	s_delay_alu instid0(VALU_DEP_1) | instskip(NEXT) | instid1(VALU_DEP_1)
	v_bfe_u32 v7, v5, 16, 1
	v_add3_u32 v5, v5, v7, 0x7fff
	s_delay_alu instid0(VALU_DEP_1)
	v_lshrrev_b32_e32 v12, 16, v5
	s_branch .LBB31_1435
.LBB31_1433:
	s_mov_b32 s1, -1
                                        ; implicit-def: $vgpr12
.LBB31_1434:
	s_mov_b32 s13, 0
.LBB31_1435:
	s_delay_alu instid0(SALU_CYCLE_1)
	s_and_b32 vcc_lo, exec_lo, s13
	s_cbranch_vccz .LBB31_1453
; %bb.1436:
	s_cmp_lt_i32 s0, 27
	s_cbranch_scc1 .LBB31_1439
; %bb.1437:
	s_cmp_gt_i32 s0, 27
	s_cbranch_scc0 .LBB31_1440
; %bb.1438:
	global_load_b32 v5, v[10:11], off
	s_mov_b32 s12, 0
	s_wait_loadcnt 0x0
	v_cvt_f32_u32_e32 v5, v5
	s_delay_alu instid0(VALU_DEP_1) | instskip(NEXT) | instid1(VALU_DEP_1)
	v_bfe_u32 v7, v5, 16, 1
	v_add3_u32 v5, v5, v7, 0x7fff
	s_wait_xcnt 0x1
	s_delay_alu instid0(VALU_DEP_1)
	v_lshrrev_b32_e32 v12, 16, v5
	s_branch .LBB31_1441
.LBB31_1439:
	s_mov_b32 s12, -1
                                        ; implicit-def: $vgpr12
	s_branch .LBB31_1444
.LBB31_1440:
	s_mov_b32 s12, -1
                                        ; implicit-def: $vgpr12
.LBB31_1441:
	s_delay_alu instid0(SALU_CYCLE_1)
	s_and_not1_b32 vcc_lo, exec_lo, s12
	s_cbranch_vccnz .LBB31_1443
; %bb.1442:
	global_load_u16 v5, v[10:11], off
	s_wait_loadcnt 0x0
	v_cvt_f32_u32_e32 v5, v5
	s_delay_alu instid0(VALU_DEP_1) | instskip(NEXT) | instid1(VALU_DEP_1)
	v_bfe_u32 v7, v5, 16, 1
	v_add3_u32 v5, v5, v7, 0x7fff
	s_wait_xcnt 0x1
	s_delay_alu instid0(VALU_DEP_1)
	v_lshrrev_b32_e32 v12, 16, v5
.LBB31_1443:
	s_mov_b32 s12, 0
.LBB31_1444:
	s_delay_alu instid0(SALU_CYCLE_1)
	s_and_not1_b32 vcc_lo, exec_lo, s12
	s_cbranch_vccnz .LBB31_1452
; %bb.1445:
	global_load_u8 v5, v[10:11], off
	s_mov_b32 s12, 0
	s_mov_b32 s13, exec_lo
	s_wait_loadcnt 0x0
	v_cmpx_lt_i16_e32 0x7f, v5
	s_xor_b32 s13, exec_lo, s13
	s_cbranch_execz .LBB31_1466
; %bb.1446:
	s_mov_b32 s12, -1
	s_mov_b32 s14, exec_lo
	v_cmpx_eq_u16_e32 0x80, v5
; %bb.1447:
	s_xor_b32 s12, exec_lo, -1
; %bb.1448:
	s_or_b32 exec_lo, exec_lo, s14
	s_delay_alu instid0(SALU_CYCLE_1)
	s_and_b32 s12, s12, exec_lo
	s_or_saveexec_b32 s13, s13
	v_mov_b32_e32 v7, 0x7f800001
	s_xor_b32 exec_lo, exec_lo, s13
	s_cbranch_execnz .LBB31_1467
.LBB31_1449:
	s_or_b32 exec_lo, exec_lo, s13
	s_and_saveexec_b32 s13, s12
	s_cbranch_execz .LBB31_1451
.LBB31_1450:
	v_and_b32_e32 v7, 0xffff, v5
	s_delay_alu instid0(VALU_DEP_1) | instskip(SKIP_1) | instid1(VALU_DEP_2)
	v_and_b32_e32 v9, 7, v7
	v_bfe_u32 v14, v7, 3, 4
	v_clz_i32_u32_e32 v12, v9
	s_delay_alu instid0(VALU_DEP_2) | instskip(NEXT) | instid1(VALU_DEP_2)
	v_cmp_eq_u32_e32 vcc_lo, 0, v14
	v_min_u32_e32 v12, 32, v12
	s_delay_alu instid0(VALU_DEP_1) | instskip(NEXT) | instid1(VALU_DEP_1)
	v_subrev_nc_u32_e32 v13, 28, v12
	v_dual_lshlrev_b32 v7, v13, v7 :: v_dual_sub_nc_u32 v12, 29, v12
	s_delay_alu instid0(VALU_DEP_1) | instskip(NEXT) | instid1(VALU_DEP_1)
	v_dual_lshlrev_b32 v5, 24, v5 :: v_dual_bitop2_b32 v7, 7, v7 bitop3:0x40
	v_dual_cndmask_b32 v12, v14, v12 :: v_dual_cndmask_b32 v7, v9, v7
	s_delay_alu instid0(VALU_DEP_2) | instskip(NEXT) | instid1(VALU_DEP_2)
	v_and_b32_e32 v5, 0x80000000, v5
	v_lshl_add_u32 v9, v12, 23, 0x3b800000
	s_delay_alu instid0(VALU_DEP_3) | instskip(NEXT) | instid1(VALU_DEP_1)
	v_lshlrev_b32_e32 v7, 20, v7
	v_or3_b32 v7, v5, v9, v7
.LBB31_1451:
	s_or_b32 exec_lo, exec_lo, s13
	s_delay_alu instid0(VALU_DEP_1) | instskip(SKIP_1) | instid1(VALU_DEP_2)
	v_bfe_u32 v5, v7, 16, 1
	v_cmp_o_f32_e32 vcc_lo, v7, v7
	v_add3_u32 v5, v7, v5, 0x7fff
	s_delay_alu instid0(VALU_DEP_1) | instskip(NEXT) | instid1(VALU_DEP_1)
	v_lshrrev_b32_e32 v5, 16, v5
	v_cndmask_b32_e32 v12, 0x7fc0, v5, vcc_lo
.LBB31_1452:
	s_mov_b32 s12, -1
.LBB31_1453:
	s_mov_b32 s13, 0
.LBB31_1454:
	s_delay_alu instid0(SALU_CYCLE_1)
	s_and_b32 vcc_lo, exec_lo, s13
	s_cbranch_vccz .LBB31_1487
; %bb.1455:
	s_cmp_gt_i32 s0, 22
	s_cbranch_scc0 .LBB31_1465
; %bb.1456:
	s_cmp_lt_i32 s0, 24
	s_cbranch_scc1 .LBB31_1468
; %bb.1457:
	s_cmp_gt_i32 s0, 24
	s_cbranch_scc0 .LBB31_1469
; %bb.1458:
	global_load_u8 v5, v[10:11], off
	s_mov_b32 s12, exec_lo
	s_wait_loadcnt 0x0
	v_cmpx_lt_i16_e32 0x7f, v5
	s_xor_b32 s12, exec_lo, s12
	s_cbranch_execz .LBB31_1481
; %bb.1459:
	s_mov_b32 s11, -1
	s_mov_b32 s13, exec_lo
	v_cmpx_eq_u16_e32 0x80, v5
; %bb.1460:
	s_xor_b32 s11, exec_lo, -1
; %bb.1461:
	s_or_b32 exec_lo, exec_lo, s13
	s_delay_alu instid0(SALU_CYCLE_1)
	s_and_b32 s11, s11, exec_lo
	s_or_saveexec_b32 s12, s12
	v_mov_b32_e32 v7, 0x7f800001
	s_xor_b32 exec_lo, exec_lo, s12
	s_cbranch_execnz .LBB31_1482
.LBB31_1462:
	s_or_b32 exec_lo, exec_lo, s12
	s_and_saveexec_b32 s12, s11
	s_cbranch_execz .LBB31_1464
.LBB31_1463:
	v_and_b32_e32 v7, 0xffff, v5
	s_delay_alu instid0(VALU_DEP_1) | instskip(SKIP_1) | instid1(VALU_DEP_2)
	v_and_b32_e32 v9, 3, v7
	v_bfe_u32 v14, v7, 2, 5
	v_clz_i32_u32_e32 v12, v9
	s_delay_alu instid0(VALU_DEP_2) | instskip(NEXT) | instid1(VALU_DEP_2)
	v_cmp_eq_u32_e32 vcc_lo, 0, v14
	v_min_u32_e32 v12, 32, v12
	s_delay_alu instid0(VALU_DEP_1) | instskip(NEXT) | instid1(VALU_DEP_1)
	v_subrev_nc_u32_e32 v13, 29, v12
	v_dual_lshlrev_b32 v7, v13, v7 :: v_dual_sub_nc_u32 v12, 30, v12
	s_delay_alu instid0(VALU_DEP_1) | instskip(NEXT) | instid1(VALU_DEP_1)
	v_dual_lshlrev_b32 v5, 24, v5 :: v_dual_bitop2_b32 v7, 3, v7 bitop3:0x40
	v_dual_cndmask_b32 v12, v14, v12 :: v_dual_cndmask_b32 v7, v9, v7
	s_delay_alu instid0(VALU_DEP_2) | instskip(NEXT) | instid1(VALU_DEP_2)
	v_and_b32_e32 v5, 0x80000000, v5
	v_lshl_add_u32 v9, v12, 23, 0x37800000
	s_delay_alu instid0(VALU_DEP_3) | instskip(NEXT) | instid1(VALU_DEP_1)
	v_lshlrev_b32_e32 v7, 21, v7
	v_or3_b32 v7, v5, v9, v7
.LBB31_1464:
	s_or_b32 exec_lo, exec_lo, s12
	s_delay_alu instid0(VALU_DEP_1) | instskip(SKIP_2) | instid1(VALU_DEP_2)
	v_bfe_u32 v5, v7, 16, 1
	v_cmp_o_f32_e32 vcc_lo, v7, v7
	s_mov_b32 s11, 0
	v_add3_u32 v5, v7, v5, 0x7fff
	s_delay_alu instid0(VALU_DEP_1) | instskip(NEXT) | instid1(VALU_DEP_1)
	v_lshrrev_b32_e32 v5, 16, v5
	v_cndmask_b32_e32 v12, 0x7fc0, v5, vcc_lo
	s_branch .LBB31_1470
.LBB31_1465:
	s_mov_b32 s11, -1
                                        ; implicit-def: $vgpr12
	s_branch .LBB31_1476
.LBB31_1466:
	s_or_saveexec_b32 s13, s13
	v_mov_b32_e32 v7, 0x7f800001
	s_xor_b32 exec_lo, exec_lo, s13
	s_cbranch_execz .LBB31_1449
.LBB31_1467:
	v_cmp_ne_u16_e32 vcc_lo, 0, v5
	v_mov_b32_e32 v7, 0
	s_and_not1_b32 s12, s12, exec_lo
	s_and_b32 s14, vcc_lo, exec_lo
	s_delay_alu instid0(SALU_CYCLE_1)
	s_or_b32 s12, s12, s14
	s_or_b32 exec_lo, exec_lo, s13
	s_and_saveexec_b32 s13, s12
	s_cbranch_execnz .LBB31_1450
	s_branch .LBB31_1451
.LBB31_1468:
	s_mov_b32 s11, -1
                                        ; implicit-def: $vgpr12
	s_branch .LBB31_1473
.LBB31_1469:
	s_mov_b32 s11, -1
                                        ; implicit-def: $vgpr12
.LBB31_1470:
	s_delay_alu instid0(SALU_CYCLE_1)
	s_and_b32 vcc_lo, exec_lo, s11
	s_cbranch_vccz .LBB31_1472
; %bb.1471:
	global_load_u8 v5, v[10:11], off
	s_wait_loadcnt 0x0
	v_lshlrev_b32_e32 v5, 24, v5
	s_delay_alu instid0(VALU_DEP_1) | instskip(NEXT) | instid1(VALU_DEP_1)
	v_and_b32_e32 v7, 0x7f000000, v5
	v_clz_i32_u32_e32 v9, v7
	s_wait_xcnt 0x1
	v_add_nc_u32_e32 v13, 0x1000000, v7
	v_cmp_ne_u32_e32 vcc_lo, 0, v7
	s_delay_alu instid0(VALU_DEP_3) | instskip(NEXT) | instid1(VALU_DEP_1)
	v_min_u32_e32 v9, 32, v9
	v_sub_nc_u32_e64 v9, v9, 4 clamp
	s_delay_alu instid0(VALU_DEP_1) | instskip(NEXT) | instid1(VALU_DEP_1)
	v_dual_lshlrev_b32 v12, v9, v7 :: v_dual_lshlrev_b32 v9, 23, v9
	v_lshrrev_b32_e32 v12, 4, v12
	s_delay_alu instid0(VALU_DEP_1) | instskip(SKIP_1) | instid1(VALU_DEP_2)
	v_sub_nc_u32_e32 v9, v12, v9
	v_ashrrev_i32_e32 v12, 8, v13
	v_add_nc_u32_e32 v9, 0x3c000000, v9
	s_delay_alu instid0(VALU_DEP_1) | instskip(NEXT) | instid1(VALU_DEP_1)
	v_and_or_b32 v9, 0x7f800000, v12, v9
	v_cndmask_b32_e32 v7, 0, v9, vcc_lo
	s_delay_alu instid0(VALU_DEP_1) | instskip(SKIP_1) | instid1(VALU_DEP_2)
	v_and_or_b32 v5, 0x80000000, v5, v7
	v_bfe_u32 v7, v7, 16, 1
	v_cmp_o_f32_e32 vcc_lo, v5, v5
	s_delay_alu instid0(VALU_DEP_2) | instskip(NEXT) | instid1(VALU_DEP_1)
	v_add3_u32 v7, v5, v7, 0x7fff
	v_lshrrev_b32_e32 v7, 16, v7
	s_delay_alu instid0(VALU_DEP_1)
	v_cndmask_b32_e32 v12, 0x7fc0, v7, vcc_lo
.LBB31_1472:
	s_mov_b32 s11, 0
.LBB31_1473:
	s_delay_alu instid0(SALU_CYCLE_1)
	s_and_not1_b32 vcc_lo, exec_lo, s11
	s_cbranch_vccnz .LBB31_1475
; %bb.1474:
	global_load_u8 v5, v[10:11], off
	s_wait_loadcnt 0x0
	v_lshlrev_b32_e32 v7, 25, v5
	v_lshlrev_b16 v5, 8, v5
	s_wait_xcnt 0x1
	s_delay_alu instid0(VALU_DEP_1) | instskip(SKIP_1) | instid1(VALU_DEP_2)
	v_and_or_b32 v12, 0x7f00, v5, 0.5
	v_bfe_i32 v5, v5, 0, 16
	v_dual_add_f32 v12, -0.5, v12 :: v_dual_lshrrev_b32 v9, 4, v7
	v_cmp_gt_u32_e32 vcc_lo, 0x8000000, v7
	s_delay_alu instid0(VALU_DEP_2) | instskip(NEXT) | instid1(VALU_DEP_1)
	v_or_b32_e32 v9, 0x70000000, v9
	v_mul_f32_e32 v9, 0x7800000, v9
	s_delay_alu instid0(VALU_DEP_1) | instskip(NEXT) | instid1(VALU_DEP_1)
	v_cndmask_b32_e32 v7, v9, v12, vcc_lo
	v_and_or_b32 v5, 0x80000000, v5, v7
	v_bfe_u32 v7, v7, 16, 1
	s_delay_alu instid0(VALU_DEP_2) | instskip(NEXT) | instid1(VALU_DEP_2)
	v_cmp_o_f32_e32 vcc_lo, v5, v5
	v_add3_u32 v7, v5, v7, 0x7fff
	s_delay_alu instid0(VALU_DEP_1) | instskip(NEXT) | instid1(VALU_DEP_1)
	v_lshrrev_b32_e32 v7, 16, v7
	v_cndmask_b32_e32 v12, 0x7fc0, v7, vcc_lo
.LBB31_1475:
	s_mov_b32 s11, 0
	s_mov_b32 s12, -1
.LBB31_1476:
	s_and_not1_b32 vcc_lo, exec_lo, s11
	s_mov_b32 s11, 0
	s_cbranch_vccnz .LBB31_1487
; %bb.1477:
	s_cmp_gt_i32 s0, 14
	s_cbranch_scc0 .LBB31_1480
; %bb.1478:
	s_cmp_eq_u32 s0, 15
	s_cbranch_scc0 .LBB31_1483
; %bb.1479:
	s_wait_loadcnt 0x0
	global_load_u16 v12, v[10:11], off
	s_mov_b32 s1, 0
	s_mov_b32 s12, -1
	s_branch .LBB31_1485
.LBB31_1480:
	s_mov_b32 s11, -1
	s_branch .LBB31_1484
.LBB31_1481:
	s_or_saveexec_b32 s12, s12
	v_mov_b32_e32 v7, 0x7f800001
	s_xor_b32 exec_lo, exec_lo, s12
	s_cbranch_execz .LBB31_1462
.LBB31_1482:
	v_cmp_ne_u16_e32 vcc_lo, 0, v5
	v_mov_b32_e32 v7, 0
	s_and_not1_b32 s11, s11, exec_lo
	s_and_b32 s13, vcc_lo, exec_lo
	s_delay_alu instid0(SALU_CYCLE_1)
	s_or_b32 s11, s11, s13
	s_or_b32 exec_lo, exec_lo, s12
	s_and_saveexec_b32 s12, s11
	s_cbranch_execnz .LBB31_1463
	s_branch .LBB31_1464
.LBB31_1483:
	s_mov_b32 s1, -1
.LBB31_1484:
                                        ; implicit-def: $vgpr12
.LBB31_1485:
	s_and_b32 vcc_lo, exec_lo, s11
	s_mov_b32 s11, 0
	s_cbranch_vccz .LBB31_1487
; %bb.1486:
	s_cmp_lg_u32 s0, 11
	s_mov_b32 s11, -1
	s_cselect_b32 s1, -1, 0
.LBB31_1487:
	s_delay_alu instid0(SALU_CYCLE_1)
	s_and_b32 vcc_lo, exec_lo, s1
	s_cbranch_vccnz .LBB31_1550
; %bb.1488:
	s_and_not1_b32 vcc_lo, exec_lo, s11
	s_cbranch_vccnz .LBB31_1490
.LBB31_1489:
	global_load_u8 v5, v[10:11], off
	s_mov_b32 s12, -1
	s_wait_loadcnt 0x0
	v_cmp_ne_u16_e32 vcc_lo, 0, v5
	v_cndmask_b32_e64 v5, 0, 1.0, vcc_lo
	s_wait_xcnt 0x1
	s_delay_alu instid0(VALU_DEP_1)
	v_lshrrev_b32_e32 v12, 16, v5
.LBB31_1490:
	s_branch .LBB31_1417
.LBB31_1491:
	s_cmp_lt_i32 s0, 5
	s_cbranch_scc1 .LBB31_1496
; %bb.1492:
	s_cmp_lt_i32 s0, 8
	s_cbranch_scc1 .LBB31_1497
; %bb.1493:
	;; [unrolled: 3-line block ×3, first 2 shown]
	s_cmp_gt_i32 s0, 9
	s_cbranch_scc0 .LBB31_1499
; %bb.1495:
	s_wait_loadcnt 0x0
	global_load_b64 v[12:13], v[10:11], off
	s_mov_b32 s1, 0
	s_wait_loadcnt 0x0
	v_cvt_f32_f64_e32 v5, v[12:13]
	s_delay_alu instid0(VALU_DEP_1) | instskip(SKIP_1) | instid1(VALU_DEP_2)
	v_bfe_u32 v7, v5, 16, 1
	v_cmp_o_f32_e32 vcc_lo, v5, v5
	v_add3_u32 v7, v5, v7, 0x7fff
	s_delay_alu instid0(VALU_DEP_1) | instskip(NEXT) | instid1(VALU_DEP_1)
	v_lshrrev_b32_e32 v7, 16, v7
	v_cndmask_b32_e32 v12, 0x7fc0, v7, vcc_lo
	s_branch .LBB31_1500
.LBB31_1496:
	s_mov_b32 s1, -1
                                        ; implicit-def: $vgpr12
	s_branch .LBB31_1518
.LBB31_1497:
	s_mov_b32 s1, -1
                                        ; implicit-def: $vgpr12
	s_branch .LBB31_1506
.LBB31_1498:
	s_mov_b32 s1, -1
                                        ; implicit-def: $vgpr12
	s_branch .LBB31_1503
.LBB31_1499:
	s_mov_b32 s1, -1
                                        ; implicit-def: $vgpr12
.LBB31_1500:
	s_delay_alu instid0(SALU_CYCLE_1)
	s_and_not1_b32 vcc_lo, exec_lo, s1
	s_cbranch_vccnz .LBB31_1502
; %bb.1501:
	global_load_b32 v5, v[10:11], off
	s_wait_loadcnt 0x0
	v_bfe_u32 v7, v5, 16, 1
	v_cmp_o_f32_e32 vcc_lo, v5, v5
	s_delay_alu instid0(VALU_DEP_2) | instskip(NEXT) | instid1(VALU_DEP_1)
	v_add3_u32 v7, v5, v7, 0x7fff
	v_lshrrev_b32_e32 v7, 16, v7
	s_wait_xcnt 0x1
	s_delay_alu instid0(VALU_DEP_1)
	v_cndmask_b32_e32 v12, 0x7fc0, v7, vcc_lo
.LBB31_1502:
	s_mov_b32 s1, 0
.LBB31_1503:
	s_delay_alu instid0(SALU_CYCLE_1)
	s_and_not1_b32 vcc_lo, exec_lo, s1
	s_cbranch_vccnz .LBB31_1505
; %bb.1504:
	global_load_b32 v5, v[10:11], off
	s_wait_loadcnt 0x0
	v_cvt_f32_f16_e32 v7, v5
	v_cmp_o_f16_e32 vcc_lo, v5, v5
	s_delay_alu instid0(VALU_DEP_2) | instskip(NEXT) | instid1(VALU_DEP_1)
	v_bfe_u32 v9, v7, 16, 1
	v_add3_u32 v7, v7, v9, 0x7fff
	s_delay_alu instid0(VALU_DEP_1) | instskip(SKIP_1) | instid1(VALU_DEP_1)
	v_lshrrev_b32_e32 v7, 16, v7
	s_wait_xcnt 0x1
	v_cndmask_b32_e32 v12, 0x7fc0, v7, vcc_lo
.LBB31_1505:
	s_mov_b32 s1, 0
.LBB31_1506:
	s_delay_alu instid0(SALU_CYCLE_1)
	s_and_not1_b32 vcc_lo, exec_lo, s1
	s_cbranch_vccnz .LBB31_1517
; %bb.1507:
	s_cmp_lt_i32 s0, 6
	s_cbranch_scc1 .LBB31_1510
; %bb.1508:
	s_cmp_gt_i32 s0, 6
	s_cbranch_scc0 .LBB31_1511
; %bb.1509:
	s_wait_loadcnt 0x0
	global_load_b64 v[12:13], v[10:11], off
	s_mov_b32 s1, 0
	s_wait_loadcnt 0x0
	v_cvt_f32_f64_e32 v5, v[12:13]
	s_delay_alu instid0(VALU_DEP_1) | instskip(SKIP_1) | instid1(VALU_DEP_2)
	v_bfe_u32 v7, v5, 16, 1
	v_cmp_o_f32_e32 vcc_lo, v5, v5
	v_add3_u32 v7, v5, v7, 0x7fff
	s_delay_alu instid0(VALU_DEP_1) | instskip(NEXT) | instid1(VALU_DEP_1)
	v_lshrrev_b32_e32 v7, 16, v7
	v_cndmask_b32_e32 v12, 0x7fc0, v7, vcc_lo
	s_branch .LBB31_1512
.LBB31_1510:
	s_mov_b32 s1, -1
                                        ; implicit-def: $vgpr12
	s_branch .LBB31_1515
.LBB31_1511:
	s_mov_b32 s1, -1
                                        ; implicit-def: $vgpr12
.LBB31_1512:
	s_delay_alu instid0(SALU_CYCLE_1)
	s_and_not1_b32 vcc_lo, exec_lo, s1
	s_cbranch_vccnz .LBB31_1514
; %bb.1513:
	global_load_b32 v5, v[10:11], off
	s_wait_loadcnt 0x0
	v_bfe_u32 v7, v5, 16, 1
	v_cmp_o_f32_e32 vcc_lo, v5, v5
	s_delay_alu instid0(VALU_DEP_2) | instskip(NEXT) | instid1(VALU_DEP_1)
	v_add3_u32 v7, v5, v7, 0x7fff
	v_lshrrev_b32_e32 v7, 16, v7
	s_wait_xcnt 0x1
	s_delay_alu instid0(VALU_DEP_1)
	v_cndmask_b32_e32 v12, 0x7fc0, v7, vcc_lo
.LBB31_1514:
	s_mov_b32 s1, 0
.LBB31_1515:
	s_delay_alu instid0(SALU_CYCLE_1)
	s_and_not1_b32 vcc_lo, exec_lo, s1
	s_cbranch_vccnz .LBB31_1517
; %bb.1516:
	global_load_u16 v5, v[10:11], off
	s_wait_loadcnt 0x0
	v_cvt_f32_f16_e32 v7, v5
	v_cmp_o_f16_e32 vcc_lo, v5, v5
	s_delay_alu instid0(VALU_DEP_2) | instskip(NEXT) | instid1(VALU_DEP_1)
	v_bfe_u32 v9, v7, 16, 1
	v_add3_u32 v7, v7, v9, 0x7fff
	s_delay_alu instid0(VALU_DEP_1) | instskip(SKIP_1) | instid1(VALU_DEP_1)
	v_lshrrev_b32_e32 v7, 16, v7
	s_wait_xcnt 0x1
	v_cndmask_b32_e32 v12, 0x7fc0, v7, vcc_lo
.LBB31_1517:
	s_mov_b32 s1, 0
.LBB31_1518:
	s_delay_alu instid0(SALU_CYCLE_1)
	s_and_not1_b32 vcc_lo, exec_lo, s1
	s_cbranch_vccnz .LBB31_1538
; %bb.1519:
	s_cmp_lt_i32 s0, 2
	s_cbranch_scc1 .LBB31_1523
; %bb.1520:
	s_cmp_lt_i32 s0, 3
	s_cbranch_scc1 .LBB31_1524
; %bb.1521:
	s_cmp_gt_i32 s0, 3
	s_cbranch_scc0 .LBB31_1525
; %bb.1522:
	s_wait_loadcnt 0x0
	global_load_b64 v[12:13], v[10:11], off
	s_mov_b32 s1, 0
	s_wait_loadcnt 0x0
	v_xor_b32_e32 v5, v12, v13
	v_cls_i32_e32 v7, v13
	s_delay_alu instid0(VALU_DEP_2) | instskip(NEXT) | instid1(VALU_DEP_1)
	v_ashrrev_i32_e32 v5, 31, v5
	v_add_nc_u32_e32 v5, 32, v5
	s_delay_alu instid0(VALU_DEP_1) | instskip(NEXT) | instid1(VALU_DEP_1)
	v_add_min_u32_e64 v5, v7, -1, v5
	v_lshlrev_b64_e32 v[12:13], v5, v[12:13]
	v_sub_nc_u32_e32 v5, 32, v5
	s_delay_alu instid0(VALU_DEP_2) | instskip(NEXT) | instid1(VALU_DEP_1)
	v_min_u32_e32 v7, 1, v12
	v_or_b32_e32 v7, v13, v7
	s_delay_alu instid0(VALU_DEP_1) | instskip(NEXT) | instid1(VALU_DEP_1)
	v_cvt_f32_i32_e32 v7, v7
	v_ldexp_f32 v5, v7, v5
	s_delay_alu instid0(VALU_DEP_1) | instskip(NEXT) | instid1(VALU_DEP_1)
	v_bfe_u32 v7, v5, 16, 1
	v_add3_u32 v5, v5, v7, 0x7fff
	s_delay_alu instid0(VALU_DEP_1)
	v_lshrrev_b32_e32 v12, 16, v5
	s_branch .LBB31_1526
.LBB31_1523:
	s_mov_b32 s1, -1
                                        ; implicit-def: $vgpr12
	s_branch .LBB31_1532
.LBB31_1524:
	s_mov_b32 s1, -1
                                        ; implicit-def: $vgpr12
	s_branch .LBB31_1529
.LBB31_1525:
	s_mov_b32 s1, -1
                                        ; implicit-def: $vgpr12
.LBB31_1526:
	s_delay_alu instid0(SALU_CYCLE_1)
	s_and_not1_b32 vcc_lo, exec_lo, s1
	s_cbranch_vccnz .LBB31_1528
; %bb.1527:
	global_load_b32 v5, v[10:11], off
	s_wait_loadcnt 0x0
	v_cvt_f32_i32_e32 v5, v5
	s_delay_alu instid0(VALU_DEP_1) | instskip(NEXT) | instid1(VALU_DEP_1)
	v_bfe_u32 v7, v5, 16, 1
	v_add3_u32 v5, v5, v7, 0x7fff
	s_wait_xcnt 0x1
	s_delay_alu instid0(VALU_DEP_1)
	v_lshrrev_b32_e32 v12, 16, v5
.LBB31_1528:
	s_mov_b32 s1, 0
.LBB31_1529:
	s_delay_alu instid0(SALU_CYCLE_1)
	s_and_not1_b32 vcc_lo, exec_lo, s1
	s_cbranch_vccnz .LBB31_1531
; %bb.1530:
	global_load_i16 v5, v[10:11], off
	s_wait_loadcnt 0x0
	v_cvt_f32_i32_e32 v5, v5
	s_delay_alu instid0(VALU_DEP_1) | instskip(NEXT) | instid1(VALU_DEP_1)
	v_bfe_u32 v7, v5, 16, 1
	v_add3_u32 v5, v5, v7, 0x7fff
	s_wait_xcnt 0x1
	s_delay_alu instid0(VALU_DEP_1)
	v_lshrrev_b32_e32 v12, 16, v5
.LBB31_1531:
	s_mov_b32 s1, 0
.LBB31_1532:
	s_delay_alu instid0(SALU_CYCLE_1)
	s_and_not1_b32 vcc_lo, exec_lo, s1
	s_cbranch_vccnz .LBB31_1538
; %bb.1533:
	s_cmp_gt_i32 s0, 0
	s_mov_b32 s1, 0
	s_cbranch_scc0 .LBB31_1535
; %bb.1534:
	global_load_i8 v5, v[10:11], off
	s_wait_loadcnt 0x0
	v_cvt_f32_i32_e32 v5, v5
	s_delay_alu instid0(VALU_DEP_1) | instskip(NEXT) | instid1(VALU_DEP_1)
	v_bfe_u32 v7, v5, 16, 1
	v_add3_u32 v5, v5, v7, 0x7fff
	s_wait_xcnt 0x1
	s_delay_alu instid0(VALU_DEP_1)
	v_lshrrev_b32_e32 v12, 16, v5
	s_branch .LBB31_1536
.LBB31_1535:
	s_mov_b32 s1, -1
                                        ; implicit-def: $vgpr12
.LBB31_1536:
	s_delay_alu instid0(SALU_CYCLE_1)
	s_and_not1_b32 vcc_lo, exec_lo, s1
	s_cbranch_vccnz .LBB31_1538
; %bb.1537:
	global_load_u8 v5, v[10:11], off
	s_wait_loadcnt 0x0
	v_cvt_f32_ubyte0_e32 v5, v5
	s_delay_alu instid0(VALU_DEP_1) | instskip(NEXT) | instid1(VALU_DEP_1)
	v_bfe_u32 v7, v5, 16, 1
	v_add3_u32 v5, v5, v7, 0x7fff
	s_wait_xcnt 0x1
	s_delay_alu instid0(VALU_DEP_1)
	v_lshrrev_b32_e32 v12, 16, v5
.LBB31_1538:
.LBB31_1539:
	v_mov_b32_e32 v9, 0
	s_cmp_lt_i32 s0, 11
	s_delay_alu instid0(VALU_DEP_1)
	v_add_nc_u64_e32 v[8:9], s[6:7], v[8:9]
	s_cbranch_scc1 .LBB31_1546
; %bb.1540:
	s_cmp_gt_i32 s0, 25
	s_mov_b32 s6, 0
	s_cbranch_scc0 .LBB31_1547
; %bb.1541:
	s_cmp_gt_i32 s0, 28
	s_cbranch_scc0 .LBB31_1548
; %bb.1542:
	s_cmp_gt_i32 s0, 43
	s_cbranch_scc0 .LBB31_1549
; %bb.1543:
	s_cmp_gt_i32 s0, 45
	s_cbranch_scc0 .LBB31_1551
; %bb.1544:
	s_cmp_eq_u32 s0, 46
	s_mov_b32 s11, 0
	s_cbranch_scc0 .LBB31_1552
; %bb.1545:
	global_load_b32 v10, v[8:9], off
	s_mov_b32 s1, 0
	s_mov_b32 s7, -1
	s_branch .LBB31_1554
.LBB31_1546:
	s_mov_b32 s1, -1
	s_mov_b32 s7, 0
                                        ; implicit-def: $vgpr10
	s_branch .LBB31_1620
.LBB31_1547:
	s_mov_b32 s11, -1
	s_mov_b32 s7, 0
	s_mov_b32 s1, 0
                                        ; implicit-def: $vgpr10
	s_branch .LBB31_1583
.LBB31_1548:
	s_mov_b32 s11, -1
	s_mov_b32 s7, 0
	s_mov_b32 s1, 0
                                        ; implicit-def: $vgpr10
	s_branch .LBB31_1564
.LBB31_1549:
	s_mov_b32 s11, -1
	s_mov_b32 s7, 0
	s_mov_b32 s1, 0
                                        ; implicit-def: $vgpr10
	s_branch .LBB31_1559
.LBB31_1550:
	s_or_b32 s10, s10, exec_lo
	s_trap 2
	s_cbranch_execz .LBB31_1489
	s_branch .LBB31_1490
.LBB31_1551:
	s_mov_b32 s11, -1
	s_mov_b32 s7, 0
	s_mov_b32 s1, 0
	s_branch .LBB31_1553
.LBB31_1552:
	s_mov_b32 s1, -1
	s_mov_b32 s7, 0
.LBB31_1553:
                                        ; implicit-def: $vgpr10
.LBB31_1554:
	s_and_b32 vcc_lo, exec_lo, s11
	s_cbranch_vccz .LBB31_1558
; %bb.1555:
	s_cmp_eq_u32 s0, 44
	s_cbranch_scc0 .LBB31_1557
; %bb.1556:
	global_load_u8 v5, v[8:9], off
	s_mov_b32 s1, 0
	s_mov_b32 s7, -1
	s_wait_loadcnt 0x0
	v_lshlrev_b32_e32 v7, 23, v5
	v_cmp_ne_u32_e32 vcc_lo, 0xff, v5
	s_delay_alu instid0(VALU_DEP_2) | instskip(SKIP_1) | instid1(VALU_DEP_2)
	v_cndmask_b32_e32 v7, 0x7f800001, v7, vcc_lo
	v_cmp_ne_u32_e32 vcc_lo, 0, v5
	v_cndmask_b32_e32 v5, 0x400000, v7, vcc_lo
	s_delay_alu instid0(VALU_DEP_1) | instskip(SKIP_1) | instid1(VALU_DEP_2)
	v_add_nc_u32_e32 v7, 0x7fff, v5
	v_cmp_o_f32_e32 vcc_lo, v5, v5
	v_lshrrev_b32_e32 v7, 16, v7
	s_wait_xcnt 0x1
	s_delay_alu instid0(VALU_DEP_1)
	v_cndmask_b32_e32 v10, 0x7fc0, v7, vcc_lo
	s_branch .LBB31_1558
.LBB31_1557:
	s_mov_b32 s1, -1
                                        ; implicit-def: $vgpr10
.LBB31_1558:
	s_mov_b32 s11, 0
.LBB31_1559:
	s_delay_alu instid0(SALU_CYCLE_1)
	s_and_b32 vcc_lo, exec_lo, s11
	s_cbranch_vccz .LBB31_1563
; %bb.1560:
	s_cmp_eq_u32 s0, 29
	s_cbranch_scc0 .LBB31_1562
; %bb.1561:
	s_wait_loadcnt 0x0
	global_load_b64 v[10:11], v[8:9], off
	s_mov_b32 s1, 0
	s_mov_b32 s7, -1
	s_mov_b32 s11, 0
	s_wait_loadcnt 0x0
	v_clz_i32_u32_e32 v5, v11
	s_delay_alu instid0(VALU_DEP_1) | instskip(NEXT) | instid1(VALU_DEP_1)
	v_min_u32_e32 v5, 32, v5
	v_lshlrev_b64_e32 v[10:11], v5, v[10:11]
	v_sub_nc_u32_e32 v5, 32, v5
	s_delay_alu instid0(VALU_DEP_2) | instskip(NEXT) | instid1(VALU_DEP_1)
	v_min_u32_e32 v7, 1, v10
	v_or_b32_e32 v7, v11, v7
	s_delay_alu instid0(VALU_DEP_1) | instskip(NEXT) | instid1(VALU_DEP_1)
	v_cvt_f32_u32_e32 v7, v7
	v_ldexp_f32 v5, v7, v5
	s_delay_alu instid0(VALU_DEP_1) | instskip(NEXT) | instid1(VALU_DEP_1)
	v_bfe_u32 v7, v5, 16, 1
	v_add3_u32 v5, v5, v7, 0x7fff
	s_delay_alu instid0(VALU_DEP_1)
	v_lshrrev_b32_e32 v10, 16, v5
	s_branch .LBB31_1564
.LBB31_1562:
	s_mov_b32 s1, -1
                                        ; implicit-def: $vgpr10
.LBB31_1563:
	s_mov_b32 s11, 0
.LBB31_1564:
	s_delay_alu instid0(SALU_CYCLE_1)
	s_and_b32 vcc_lo, exec_lo, s11
	s_cbranch_vccz .LBB31_1582
; %bb.1565:
	s_cmp_lt_i32 s0, 27
	s_cbranch_scc1 .LBB31_1568
; %bb.1566:
	s_cmp_gt_i32 s0, 27
	s_cbranch_scc0 .LBB31_1569
; %bb.1567:
	global_load_b32 v5, v[8:9], off
	s_mov_b32 s7, 0
	s_wait_loadcnt 0x0
	v_cvt_f32_u32_e32 v5, v5
	s_delay_alu instid0(VALU_DEP_1) | instskip(NEXT) | instid1(VALU_DEP_1)
	v_bfe_u32 v7, v5, 16, 1
	v_add3_u32 v5, v5, v7, 0x7fff
	s_wait_xcnt 0x1
	s_delay_alu instid0(VALU_DEP_1)
	v_lshrrev_b32_e32 v10, 16, v5
	s_branch .LBB31_1570
.LBB31_1568:
	s_mov_b32 s7, -1
                                        ; implicit-def: $vgpr10
	s_branch .LBB31_1573
.LBB31_1569:
	s_mov_b32 s7, -1
                                        ; implicit-def: $vgpr10
.LBB31_1570:
	s_delay_alu instid0(SALU_CYCLE_1)
	s_and_not1_b32 vcc_lo, exec_lo, s7
	s_cbranch_vccnz .LBB31_1572
; %bb.1571:
	global_load_u16 v5, v[8:9], off
	s_wait_loadcnt 0x0
	v_cvt_f32_u32_e32 v5, v5
	s_delay_alu instid0(VALU_DEP_1) | instskip(NEXT) | instid1(VALU_DEP_1)
	v_bfe_u32 v7, v5, 16, 1
	v_add3_u32 v5, v5, v7, 0x7fff
	s_wait_xcnt 0x1
	s_delay_alu instid0(VALU_DEP_1)
	v_lshrrev_b32_e32 v10, 16, v5
.LBB31_1572:
	s_mov_b32 s7, 0
.LBB31_1573:
	s_delay_alu instid0(SALU_CYCLE_1)
	s_and_not1_b32 vcc_lo, exec_lo, s7
	s_cbranch_vccnz .LBB31_1581
; %bb.1574:
	global_load_u8 v5, v[8:9], off
	s_mov_b32 s7, 0
	s_mov_b32 s11, exec_lo
	s_wait_loadcnt 0x0
	v_cmpx_lt_i16_e32 0x7f, v5
	s_xor_b32 s11, exec_lo, s11
	s_cbranch_execz .LBB31_1595
; %bb.1575:
	s_mov_b32 s7, -1
	s_mov_b32 s12, exec_lo
	v_cmpx_eq_u16_e32 0x80, v5
; %bb.1576:
	s_xor_b32 s7, exec_lo, -1
; %bb.1577:
	s_or_b32 exec_lo, exec_lo, s12
	s_delay_alu instid0(SALU_CYCLE_1)
	s_and_b32 s7, s7, exec_lo
	s_or_saveexec_b32 s11, s11
	v_mov_b32_e32 v7, 0x7f800001
	s_xor_b32 exec_lo, exec_lo, s11
	s_cbranch_execnz .LBB31_1596
.LBB31_1578:
	s_or_b32 exec_lo, exec_lo, s11
	s_and_saveexec_b32 s11, s7
	s_cbranch_execz .LBB31_1580
.LBB31_1579:
	v_and_b32_e32 v7, 0xffff, v5
	s_delay_alu instid0(VALU_DEP_1) | instskip(SKIP_1) | instid1(VALU_DEP_2)
	v_dual_lshlrev_b32 v5, 24, v5 :: v_dual_bitop2_b32 v10, 7, v7 bitop3:0x40
	v_bfe_u32 v14, v7, 3, 4
	v_and_b32_e32 v5, 0x80000000, v5
	s_delay_alu instid0(VALU_DEP_3) | instskip(NEXT) | instid1(VALU_DEP_3)
	v_clz_i32_u32_e32 v11, v10
	v_cmp_eq_u32_e32 vcc_lo, 0, v14
	s_delay_alu instid0(VALU_DEP_2) | instskip(NEXT) | instid1(VALU_DEP_1)
	v_min_u32_e32 v11, 32, v11
	v_subrev_nc_u32_e32 v13, 28, v11
	v_sub_nc_u32_e32 v11, 29, v11
	s_delay_alu instid0(VALU_DEP_2) | instskip(NEXT) | instid1(VALU_DEP_2)
	v_lshlrev_b32_e32 v7, v13, v7
	v_cndmask_b32_e32 v11, v14, v11, vcc_lo
	s_delay_alu instid0(VALU_DEP_2) | instskip(NEXT) | instid1(VALU_DEP_1)
	v_and_b32_e32 v7, 7, v7
	v_cndmask_b32_e32 v7, v10, v7, vcc_lo
	s_delay_alu instid0(VALU_DEP_3) | instskip(NEXT) | instid1(VALU_DEP_2)
	v_lshl_add_u32 v10, v11, 23, 0x3b800000
	v_lshlrev_b32_e32 v7, 20, v7
	s_delay_alu instid0(VALU_DEP_1)
	v_or3_b32 v7, v5, v10, v7
.LBB31_1580:
	s_or_b32 exec_lo, exec_lo, s11
	s_delay_alu instid0(VALU_DEP_1) | instskip(SKIP_1) | instid1(VALU_DEP_2)
	v_bfe_u32 v5, v7, 16, 1
	v_cmp_o_f32_e32 vcc_lo, v7, v7
	v_add3_u32 v5, v7, v5, 0x7fff
	s_delay_alu instid0(VALU_DEP_1) | instskip(NEXT) | instid1(VALU_DEP_1)
	v_lshrrev_b32_e32 v5, 16, v5
	v_cndmask_b32_e32 v10, 0x7fc0, v5, vcc_lo
.LBB31_1581:
	s_mov_b32 s7, -1
.LBB31_1582:
	s_mov_b32 s11, 0
.LBB31_1583:
	s_delay_alu instid0(SALU_CYCLE_1)
	s_and_b32 vcc_lo, exec_lo, s11
	s_cbranch_vccz .LBB31_1616
; %bb.1584:
	s_cmp_gt_i32 s0, 22
	s_cbranch_scc0 .LBB31_1594
; %bb.1585:
	s_cmp_lt_i32 s0, 24
	s_cbranch_scc1 .LBB31_1597
; %bb.1586:
	s_cmp_gt_i32 s0, 24
	s_cbranch_scc0 .LBB31_1598
; %bb.1587:
	global_load_u8 v5, v[8:9], off
	s_mov_b32 s7, exec_lo
	s_wait_loadcnt 0x0
	v_cmpx_lt_i16_e32 0x7f, v5
	s_xor_b32 s7, exec_lo, s7
	s_cbranch_execz .LBB31_1610
; %bb.1588:
	s_mov_b32 s6, -1
	s_mov_b32 s11, exec_lo
	v_cmpx_eq_u16_e32 0x80, v5
; %bb.1589:
	s_xor_b32 s6, exec_lo, -1
; %bb.1590:
	s_or_b32 exec_lo, exec_lo, s11
	s_delay_alu instid0(SALU_CYCLE_1)
	s_and_b32 s6, s6, exec_lo
	s_or_saveexec_b32 s7, s7
	v_mov_b32_e32 v7, 0x7f800001
	s_xor_b32 exec_lo, exec_lo, s7
	s_cbranch_execnz .LBB31_1611
.LBB31_1591:
	s_or_b32 exec_lo, exec_lo, s7
	s_and_saveexec_b32 s7, s6
	s_cbranch_execz .LBB31_1593
.LBB31_1592:
	v_and_b32_e32 v7, 0xffff, v5
	s_delay_alu instid0(VALU_DEP_1) | instskip(SKIP_1) | instid1(VALU_DEP_2)
	v_dual_lshlrev_b32 v5, 24, v5 :: v_dual_bitop2_b32 v10, 3, v7 bitop3:0x40
	v_bfe_u32 v14, v7, 2, 5
	v_and_b32_e32 v5, 0x80000000, v5
	s_delay_alu instid0(VALU_DEP_3) | instskip(NEXT) | instid1(VALU_DEP_3)
	v_clz_i32_u32_e32 v11, v10
	v_cmp_eq_u32_e32 vcc_lo, 0, v14
	s_delay_alu instid0(VALU_DEP_2) | instskip(NEXT) | instid1(VALU_DEP_1)
	v_min_u32_e32 v11, 32, v11
	v_subrev_nc_u32_e32 v13, 29, v11
	v_sub_nc_u32_e32 v11, 30, v11
	s_delay_alu instid0(VALU_DEP_2) | instskip(NEXT) | instid1(VALU_DEP_2)
	v_lshlrev_b32_e32 v7, v13, v7
	v_cndmask_b32_e32 v11, v14, v11, vcc_lo
	s_delay_alu instid0(VALU_DEP_2) | instskip(NEXT) | instid1(VALU_DEP_1)
	v_and_b32_e32 v7, 3, v7
	v_cndmask_b32_e32 v7, v10, v7, vcc_lo
	s_delay_alu instid0(VALU_DEP_3) | instskip(NEXT) | instid1(VALU_DEP_2)
	v_lshl_add_u32 v10, v11, 23, 0x37800000
	v_lshlrev_b32_e32 v7, 21, v7
	s_delay_alu instid0(VALU_DEP_1)
	v_or3_b32 v7, v5, v10, v7
.LBB31_1593:
	s_or_b32 exec_lo, exec_lo, s7
	s_delay_alu instid0(VALU_DEP_1) | instskip(SKIP_2) | instid1(VALU_DEP_2)
	v_bfe_u32 v5, v7, 16, 1
	v_cmp_o_f32_e32 vcc_lo, v7, v7
	s_mov_b32 s6, 0
	v_add3_u32 v5, v7, v5, 0x7fff
	s_delay_alu instid0(VALU_DEP_1) | instskip(NEXT) | instid1(VALU_DEP_1)
	v_lshrrev_b32_e32 v5, 16, v5
	v_cndmask_b32_e32 v10, 0x7fc0, v5, vcc_lo
	s_branch .LBB31_1599
.LBB31_1594:
	s_mov_b32 s6, -1
                                        ; implicit-def: $vgpr10
	s_branch .LBB31_1605
.LBB31_1595:
	s_or_saveexec_b32 s11, s11
	v_mov_b32_e32 v7, 0x7f800001
	s_xor_b32 exec_lo, exec_lo, s11
	s_cbranch_execz .LBB31_1578
.LBB31_1596:
	v_cmp_ne_u16_e32 vcc_lo, 0, v5
	v_mov_b32_e32 v7, 0
	s_and_not1_b32 s7, s7, exec_lo
	s_and_b32 s12, vcc_lo, exec_lo
	s_delay_alu instid0(SALU_CYCLE_1)
	s_or_b32 s7, s7, s12
	s_or_b32 exec_lo, exec_lo, s11
	s_and_saveexec_b32 s11, s7
	s_cbranch_execnz .LBB31_1579
	s_branch .LBB31_1580
.LBB31_1597:
	s_mov_b32 s6, -1
                                        ; implicit-def: $vgpr10
	s_branch .LBB31_1602
.LBB31_1598:
	s_mov_b32 s6, -1
                                        ; implicit-def: $vgpr10
.LBB31_1599:
	s_delay_alu instid0(SALU_CYCLE_1)
	s_and_b32 vcc_lo, exec_lo, s6
	s_cbranch_vccz .LBB31_1601
; %bb.1600:
	global_load_u8 v5, v[8:9], off
	s_wait_loadcnt 0x0
	v_lshlrev_b32_e32 v5, 24, v5
	s_delay_alu instid0(VALU_DEP_1) | instskip(SKIP_1) | instid1(VALU_DEP_1)
	v_and_b32_e32 v7, 0x7f000000, v5
	s_wait_xcnt 0x1
	v_clz_i32_u32_e32 v10, v7
	v_add_nc_u32_e32 v13, 0x1000000, v7
	v_cmp_ne_u32_e32 vcc_lo, 0, v7
	s_delay_alu instid0(VALU_DEP_3) | instskip(NEXT) | instid1(VALU_DEP_1)
	v_min_u32_e32 v10, 32, v10
	v_sub_nc_u32_e64 v10, v10, 4 clamp
	s_delay_alu instid0(VALU_DEP_1) | instskip(NEXT) | instid1(VALU_DEP_1)
	v_dual_lshlrev_b32 v11, v10, v7 :: v_dual_lshlrev_b32 v10, 23, v10
	v_lshrrev_b32_e32 v11, 4, v11
	s_delay_alu instid0(VALU_DEP_1) | instskip(NEXT) | instid1(VALU_DEP_1)
	v_dual_sub_nc_u32 v10, v11, v10 :: v_dual_ashrrev_i32 v11, 8, v13
	v_add_nc_u32_e32 v10, 0x3c000000, v10
	s_delay_alu instid0(VALU_DEP_1) | instskip(NEXT) | instid1(VALU_DEP_1)
	v_and_or_b32 v10, 0x7f800000, v11, v10
	v_cndmask_b32_e32 v7, 0, v10, vcc_lo
	s_delay_alu instid0(VALU_DEP_1) | instskip(SKIP_1) | instid1(VALU_DEP_2)
	v_and_or_b32 v5, 0x80000000, v5, v7
	v_bfe_u32 v7, v7, 16, 1
	v_cmp_o_f32_e32 vcc_lo, v5, v5
	s_delay_alu instid0(VALU_DEP_2) | instskip(NEXT) | instid1(VALU_DEP_1)
	v_add3_u32 v7, v5, v7, 0x7fff
	v_lshrrev_b32_e32 v7, 16, v7
	s_delay_alu instid0(VALU_DEP_1)
	v_cndmask_b32_e32 v10, 0x7fc0, v7, vcc_lo
.LBB31_1601:
	s_mov_b32 s6, 0
.LBB31_1602:
	s_delay_alu instid0(SALU_CYCLE_1)
	s_and_not1_b32 vcc_lo, exec_lo, s6
	s_cbranch_vccnz .LBB31_1604
; %bb.1603:
	global_load_u8 v5, v[8:9], off
	s_wait_loadcnt 0x0
	v_lshlrev_b32_e32 v7, 25, v5
	v_lshlrev_b16 v5, 8, v5
	s_wait_xcnt 0x1
	s_delay_alu instid0(VALU_DEP_1) | instskip(SKIP_1) | instid1(VALU_DEP_2)
	v_and_or_b32 v11, 0x7f00, v5, 0.5
	v_bfe_i32 v5, v5, 0, 16
	v_add_f32_e32 v11, -0.5, v11
	v_lshrrev_b32_e32 v10, 4, v7
	v_cmp_gt_u32_e32 vcc_lo, 0x8000000, v7
	s_delay_alu instid0(VALU_DEP_2) | instskip(NEXT) | instid1(VALU_DEP_1)
	v_or_b32_e32 v10, 0x70000000, v10
	v_mul_f32_e32 v10, 0x7800000, v10
	s_delay_alu instid0(VALU_DEP_1) | instskip(NEXT) | instid1(VALU_DEP_1)
	v_cndmask_b32_e32 v7, v10, v11, vcc_lo
	v_and_or_b32 v5, 0x80000000, v5, v7
	v_bfe_u32 v7, v7, 16, 1
	s_delay_alu instid0(VALU_DEP_2) | instskip(NEXT) | instid1(VALU_DEP_2)
	v_cmp_o_f32_e32 vcc_lo, v5, v5
	v_add3_u32 v7, v5, v7, 0x7fff
	s_delay_alu instid0(VALU_DEP_1) | instskip(NEXT) | instid1(VALU_DEP_1)
	v_lshrrev_b32_e32 v7, 16, v7
	v_cndmask_b32_e32 v10, 0x7fc0, v7, vcc_lo
.LBB31_1604:
	s_mov_b32 s6, 0
	s_mov_b32 s7, -1
.LBB31_1605:
	s_and_not1_b32 vcc_lo, exec_lo, s6
	s_mov_b32 s6, 0
	s_cbranch_vccnz .LBB31_1616
; %bb.1606:
	s_cmp_gt_i32 s0, 14
	s_cbranch_scc0 .LBB31_1609
; %bb.1607:
	s_cmp_eq_u32 s0, 15
	s_cbranch_scc0 .LBB31_1612
; %bb.1608:
	s_wait_loadcnt 0x0
	global_load_u16 v10, v[8:9], off
	s_mov_b32 s1, 0
	s_mov_b32 s7, -1
	s_branch .LBB31_1614
.LBB31_1609:
	s_mov_b32 s6, -1
	s_branch .LBB31_1613
.LBB31_1610:
	s_or_saveexec_b32 s7, s7
	v_mov_b32_e32 v7, 0x7f800001
	s_xor_b32 exec_lo, exec_lo, s7
	s_cbranch_execz .LBB31_1591
.LBB31_1611:
	v_cmp_ne_u16_e32 vcc_lo, 0, v5
	v_mov_b32_e32 v7, 0
	s_and_not1_b32 s6, s6, exec_lo
	s_and_b32 s11, vcc_lo, exec_lo
	s_delay_alu instid0(SALU_CYCLE_1)
	s_or_b32 s6, s6, s11
	s_or_b32 exec_lo, exec_lo, s7
	s_and_saveexec_b32 s7, s6
	s_cbranch_execnz .LBB31_1592
	s_branch .LBB31_1593
.LBB31_1612:
	s_mov_b32 s1, -1
.LBB31_1613:
                                        ; implicit-def: $vgpr10
.LBB31_1614:
	s_and_b32 vcc_lo, exec_lo, s6
	s_mov_b32 s6, 0
	s_cbranch_vccz .LBB31_1616
; %bb.1615:
	s_cmp_lg_u32 s0, 11
	s_mov_b32 s6, -1
	s_cselect_b32 s1, -1, 0
.LBB31_1616:
	s_delay_alu instid0(SALU_CYCLE_1)
	s_and_b32 vcc_lo, exec_lo, s1
	s_cbranch_vccnz .LBB31_2145
; %bb.1617:
	s_and_not1_b32 vcc_lo, exec_lo, s6
	s_cbranch_vccnz .LBB31_1619
.LBB31_1618:
	global_load_u8 v5, v[8:9], off
	s_mov_b32 s7, -1
	s_wait_loadcnt 0x0
	v_cmp_ne_u16_e32 vcc_lo, 0, v5
	v_cndmask_b32_e64 v5, 0, 1.0, vcc_lo
	s_wait_xcnt 0x1
	s_delay_alu instid0(VALU_DEP_1)
	v_lshrrev_b32_e32 v10, 16, v5
.LBB31_1619:
	s_mov_b32 s1, 0
.LBB31_1620:
	s_delay_alu instid0(SALU_CYCLE_1)
	s_and_b32 vcc_lo, exec_lo, s1
	s_cbranch_vccz .LBB31_1669
; %bb.1621:
	s_cmp_lt_i32 s0, 5
	s_cbranch_scc1 .LBB31_1626
; %bb.1622:
	s_cmp_lt_i32 s0, 8
	s_cbranch_scc1 .LBB31_1627
	;; [unrolled: 3-line block ×3, first 2 shown]
; %bb.1624:
	s_cmp_gt_i32 s0, 9
	s_cbranch_scc0 .LBB31_1629
; %bb.1625:
	s_wait_loadcnt 0x0
	global_load_b64 v[10:11], v[8:9], off
	s_mov_b32 s1, 0
	s_wait_loadcnt 0x0
	v_cvt_f32_f64_e32 v5, v[10:11]
	s_delay_alu instid0(VALU_DEP_1) | instskip(SKIP_1) | instid1(VALU_DEP_2)
	v_bfe_u32 v7, v5, 16, 1
	v_cmp_o_f32_e32 vcc_lo, v5, v5
	v_add3_u32 v7, v5, v7, 0x7fff
	s_delay_alu instid0(VALU_DEP_1) | instskip(NEXT) | instid1(VALU_DEP_1)
	v_lshrrev_b32_e32 v7, 16, v7
	v_cndmask_b32_e32 v10, 0x7fc0, v7, vcc_lo
	s_branch .LBB31_1630
.LBB31_1626:
	s_mov_b32 s1, -1
                                        ; implicit-def: $vgpr10
	s_branch .LBB31_1648
.LBB31_1627:
	s_mov_b32 s1, -1
                                        ; implicit-def: $vgpr10
	s_branch .LBB31_1636
.LBB31_1628:
	s_mov_b32 s1, -1
                                        ; implicit-def: $vgpr10
	s_branch .LBB31_1633
.LBB31_1629:
	s_mov_b32 s1, -1
                                        ; implicit-def: $vgpr10
.LBB31_1630:
	s_delay_alu instid0(SALU_CYCLE_1)
	s_and_not1_b32 vcc_lo, exec_lo, s1
	s_cbranch_vccnz .LBB31_1632
; %bb.1631:
	global_load_b32 v5, v[8:9], off
	s_wait_loadcnt 0x0
	v_bfe_u32 v7, v5, 16, 1
	v_cmp_o_f32_e32 vcc_lo, v5, v5
	s_delay_alu instid0(VALU_DEP_2) | instskip(NEXT) | instid1(VALU_DEP_1)
	v_add3_u32 v7, v5, v7, 0x7fff
	v_lshrrev_b32_e32 v7, 16, v7
	s_wait_xcnt 0x1
	s_delay_alu instid0(VALU_DEP_1)
	v_cndmask_b32_e32 v10, 0x7fc0, v7, vcc_lo
.LBB31_1632:
	s_mov_b32 s1, 0
.LBB31_1633:
	s_delay_alu instid0(SALU_CYCLE_1)
	s_and_not1_b32 vcc_lo, exec_lo, s1
	s_cbranch_vccnz .LBB31_1635
; %bb.1634:
	global_load_b32 v5, v[8:9], off
	s_wait_loadcnt 0x0
	v_cvt_f32_f16_e32 v7, v5
	v_cmp_o_f16_e32 vcc_lo, v5, v5
	s_wait_xcnt 0x1
	s_delay_alu instid0(VALU_DEP_2) | instskip(NEXT) | instid1(VALU_DEP_1)
	v_bfe_u32 v10, v7, 16, 1
	v_add3_u32 v7, v7, v10, 0x7fff
	s_delay_alu instid0(VALU_DEP_1) | instskip(NEXT) | instid1(VALU_DEP_1)
	v_lshrrev_b32_e32 v7, 16, v7
	v_cndmask_b32_e32 v10, 0x7fc0, v7, vcc_lo
.LBB31_1635:
	s_mov_b32 s1, 0
.LBB31_1636:
	s_delay_alu instid0(SALU_CYCLE_1)
	s_and_not1_b32 vcc_lo, exec_lo, s1
	s_cbranch_vccnz .LBB31_1647
; %bb.1637:
	s_cmp_lt_i32 s0, 6
	s_cbranch_scc1 .LBB31_1640
; %bb.1638:
	s_cmp_gt_i32 s0, 6
	s_cbranch_scc0 .LBB31_1641
; %bb.1639:
	s_wait_loadcnt 0x0
	global_load_b64 v[10:11], v[8:9], off
	s_mov_b32 s1, 0
	s_wait_loadcnt 0x0
	v_cvt_f32_f64_e32 v5, v[10:11]
	s_delay_alu instid0(VALU_DEP_1) | instskip(SKIP_1) | instid1(VALU_DEP_2)
	v_bfe_u32 v7, v5, 16, 1
	v_cmp_o_f32_e32 vcc_lo, v5, v5
	v_add3_u32 v7, v5, v7, 0x7fff
	s_delay_alu instid0(VALU_DEP_1) | instskip(NEXT) | instid1(VALU_DEP_1)
	v_lshrrev_b32_e32 v7, 16, v7
	v_cndmask_b32_e32 v10, 0x7fc0, v7, vcc_lo
	s_branch .LBB31_1642
.LBB31_1640:
	s_mov_b32 s1, -1
                                        ; implicit-def: $vgpr10
	s_branch .LBB31_1645
.LBB31_1641:
	s_mov_b32 s1, -1
                                        ; implicit-def: $vgpr10
.LBB31_1642:
	s_delay_alu instid0(SALU_CYCLE_1)
	s_and_not1_b32 vcc_lo, exec_lo, s1
	s_cbranch_vccnz .LBB31_1644
; %bb.1643:
	global_load_b32 v5, v[8:9], off
	s_wait_loadcnt 0x0
	v_bfe_u32 v7, v5, 16, 1
	v_cmp_o_f32_e32 vcc_lo, v5, v5
	s_delay_alu instid0(VALU_DEP_2) | instskip(NEXT) | instid1(VALU_DEP_1)
	v_add3_u32 v7, v5, v7, 0x7fff
	v_lshrrev_b32_e32 v7, 16, v7
	s_wait_xcnt 0x1
	s_delay_alu instid0(VALU_DEP_1)
	v_cndmask_b32_e32 v10, 0x7fc0, v7, vcc_lo
.LBB31_1644:
	s_mov_b32 s1, 0
.LBB31_1645:
	s_delay_alu instid0(SALU_CYCLE_1)
	s_and_not1_b32 vcc_lo, exec_lo, s1
	s_cbranch_vccnz .LBB31_1647
; %bb.1646:
	global_load_u16 v5, v[8:9], off
	s_wait_loadcnt 0x0
	v_cvt_f32_f16_e32 v7, v5
	v_cmp_o_f16_e32 vcc_lo, v5, v5
	s_wait_xcnt 0x1
	s_delay_alu instid0(VALU_DEP_2) | instskip(NEXT) | instid1(VALU_DEP_1)
	v_bfe_u32 v10, v7, 16, 1
	v_add3_u32 v7, v7, v10, 0x7fff
	s_delay_alu instid0(VALU_DEP_1) | instskip(NEXT) | instid1(VALU_DEP_1)
	v_lshrrev_b32_e32 v7, 16, v7
	v_cndmask_b32_e32 v10, 0x7fc0, v7, vcc_lo
.LBB31_1647:
	s_mov_b32 s1, 0
.LBB31_1648:
	s_delay_alu instid0(SALU_CYCLE_1)
	s_and_not1_b32 vcc_lo, exec_lo, s1
	s_cbranch_vccnz .LBB31_1668
; %bb.1649:
	s_cmp_lt_i32 s0, 2
	s_cbranch_scc1 .LBB31_1653
; %bb.1650:
	s_cmp_lt_i32 s0, 3
	s_cbranch_scc1 .LBB31_1654
; %bb.1651:
	s_cmp_gt_i32 s0, 3
	s_cbranch_scc0 .LBB31_1655
; %bb.1652:
	s_wait_loadcnt 0x0
	global_load_b64 v[10:11], v[8:9], off
	s_mov_b32 s1, 0
	s_wait_loadcnt 0x0
	v_xor_b32_e32 v5, v10, v11
	v_cls_i32_e32 v7, v11
	s_delay_alu instid0(VALU_DEP_2) | instskip(NEXT) | instid1(VALU_DEP_1)
	v_ashrrev_i32_e32 v5, 31, v5
	v_add_nc_u32_e32 v5, 32, v5
	s_delay_alu instid0(VALU_DEP_1) | instskip(NEXT) | instid1(VALU_DEP_1)
	v_add_min_u32_e64 v5, v7, -1, v5
	v_lshlrev_b64_e32 v[10:11], v5, v[10:11]
	v_sub_nc_u32_e32 v5, 32, v5
	s_delay_alu instid0(VALU_DEP_2) | instskip(NEXT) | instid1(VALU_DEP_1)
	v_min_u32_e32 v7, 1, v10
	v_or_b32_e32 v7, v11, v7
	s_delay_alu instid0(VALU_DEP_1) | instskip(NEXT) | instid1(VALU_DEP_1)
	v_cvt_f32_i32_e32 v7, v7
	v_ldexp_f32 v5, v7, v5
	s_delay_alu instid0(VALU_DEP_1) | instskip(NEXT) | instid1(VALU_DEP_1)
	v_bfe_u32 v7, v5, 16, 1
	v_add3_u32 v5, v5, v7, 0x7fff
	s_delay_alu instid0(VALU_DEP_1)
	v_lshrrev_b32_e32 v10, 16, v5
	s_branch .LBB31_1656
.LBB31_1653:
	s_mov_b32 s1, -1
                                        ; implicit-def: $vgpr10
	s_branch .LBB31_1662
.LBB31_1654:
	s_mov_b32 s1, -1
                                        ; implicit-def: $vgpr10
	s_branch .LBB31_1659
.LBB31_1655:
	s_mov_b32 s1, -1
                                        ; implicit-def: $vgpr10
.LBB31_1656:
	s_delay_alu instid0(SALU_CYCLE_1)
	s_and_not1_b32 vcc_lo, exec_lo, s1
	s_cbranch_vccnz .LBB31_1658
; %bb.1657:
	global_load_b32 v5, v[8:9], off
	s_wait_loadcnt 0x0
	v_cvt_f32_i32_e32 v5, v5
	s_delay_alu instid0(VALU_DEP_1) | instskip(NEXT) | instid1(VALU_DEP_1)
	v_bfe_u32 v7, v5, 16, 1
	v_add3_u32 v5, v5, v7, 0x7fff
	s_wait_xcnt 0x1
	s_delay_alu instid0(VALU_DEP_1)
	v_lshrrev_b32_e32 v10, 16, v5
.LBB31_1658:
	s_mov_b32 s1, 0
.LBB31_1659:
	s_delay_alu instid0(SALU_CYCLE_1)
	s_and_not1_b32 vcc_lo, exec_lo, s1
	s_cbranch_vccnz .LBB31_1661
; %bb.1660:
	global_load_i16 v5, v[8:9], off
	s_wait_loadcnt 0x0
	v_cvt_f32_i32_e32 v5, v5
	s_delay_alu instid0(VALU_DEP_1) | instskip(NEXT) | instid1(VALU_DEP_1)
	v_bfe_u32 v7, v5, 16, 1
	v_add3_u32 v5, v5, v7, 0x7fff
	s_wait_xcnt 0x1
	s_delay_alu instid0(VALU_DEP_1)
	v_lshrrev_b32_e32 v10, 16, v5
.LBB31_1661:
	s_mov_b32 s1, 0
.LBB31_1662:
	s_delay_alu instid0(SALU_CYCLE_1)
	s_and_not1_b32 vcc_lo, exec_lo, s1
	s_cbranch_vccnz .LBB31_1668
; %bb.1663:
	s_cmp_gt_i32 s0, 0
	s_mov_b32 s0, 0
	s_cbranch_scc0 .LBB31_1665
; %bb.1664:
	global_load_i8 v5, v[8:9], off
	s_wait_loadcnt 0x0
	v_cvt_f32_i32_e32 v5, v5
	s_delay_alu instid0(VALU_DEP_1) | instskip(NEXT) | instid1(VALU_DEP_1)
	v_bfe_u32 v7, v5, 16, 1
	v_add3_u32 v5, v5, v7, 0x7fff
	s_wait_xcnt 0x1
	s_delay_alu instid0(VALU_DEP_1)
	v_lshrrev_b32_e32 v10, 16, v5
	s_branch .LBB31_1666
.LBB31_1665:
	s_mov_b32 s0, -1
                                        ; implicit-def: $vgpr10
.LBB31_1666:
	s_delay_alu instid0(SALU_CYCLE_1)
	s_and_not1_b32 vcc_lo, exec_lo, s0
	s_cbranch_vccnz .LBB31_1668
; %bb.1667:
	global_load_u8 v5, v[8:9], off
	s_wait_loadcnt 0x0
	v_cvt_f32_ubyte0_e32 v5, v5
	s_delay_alu instid0(VALU_DEP_1) | instskip(NEXT) | instid1(VALU_DEP_1)
	v_bfe_u32 v7, v5, 16, 1
	v_add3_u32 v5, v5, v7, 0x7fff
	s_wait_xcnt 0x1
	s_delay_alu instid0(VALU_DEP_1)
	v_lshrrev_b32_e32 v10, 16, v5
.LBB31_1668:
	s_mov_b32 s7, -1
.LBB31_1669:
	s_delay_alu instid0(SALU_CYCLE_1)
	s_and_not1_b32 vcc_lo, exec_lo, s7
	s_cbranch_vccnz .LBB31_2100
; %bb.1670:
	s_wait_loadcnt 0x0
	v_dual_mov_b32 v7, 0 :: v_dual_lshlrev_b32 v8, 16, v1
	s_mov_b32 s11, 0
	s_load_b32 s0, s[2:3], 0x158
	global_load_u8 v5, v7, s[2:3] offset:346
	s_wait_xcnt 0x0
	v_add_nc_u64_e32 v[6:7], s[4:5], v[6:7]
	s_wait_kmcnt 0x0
	s_lshl_b32 s2, s0, 16
	s_delay_alu instid0(SALU_CYCLE_1) | instskip(NEXT) | instid1(SALU_CYCLE_1)
	s_xor_b32 s0, s2, 0x80000000
	s_bfe_u32 s1, s0, 0x10010
	s_delay_alu instid0(SALU_CYCLE_1) | instskip(NEXT) | instid1(SALU_CYCLE_1)
	s_add_co_i32 s0, s0, s1
	s_addk_co_i32 s0, 0x7fff
	s_delay_alu instid0(SALU_CYCLE_1)
	s_and_b32 s0, s0, 0xffff0000
	s_cmp_o_f32 s2, s2
	s_cselect_b32 s3, s0, 0x7fc00000
	v_cmp_nge_f32_e64 s0, s2, v8
	v_cmp_nle_f32_e32 vcc_lo, s3, v8
	s_or_b32 vcc_lo, s0, vcc_lo
	s_mov_b32 s0, -1
	v_cndmask_b32_e32 v1, 0, v1, vcc_lo
	s_wait_loadcnt 0x0
	v_and_b32_e32 v9, 0xffff, v5
	v_readfirstlane_b32 s6, v5
	s_delay_alu instid0(VALU_DEP_2)
	v_cmp_gt_i32_e64 s1, 11, v9
	s_and_b32 vcc_lo, exec_lo, s1
	s_cbranch_vccnz .LBB31_1749
; %bb.1671:
	s_and_b32 s1, 0xffff, s6
	s_mov_b32 s12, -1
	s_mov_b32 s7, 0
	s_cmp_gt_i32 s1, 25
	s_mov_b32 s0, 0
	s_cbranch_scc0 .LBB31_1704
; %bb.1672:
	s_cmp_gt_i32 s1, 28
	s_cbranch_scc0 .LBB31_1687
; %bb.1673:
	s_cmp_gt_i32 s1, 43
	;; [unrolled: 3-line block ×3, first 2 shown]
	s_cbranch_scc0 .LBB31_1677
; %bb.1675:
	s_mov_b32 s0, -1
	s_mov_b32 s12, 0
	s_cmp_eq_u32 s1, 46
	s_cbranch_scc0 .LBB31_1677
; %bb.1676:
	v_and_b32_e32 v5, 0xffff, v1
	s_mov_b32 s0, 0
	s_mov_b32 s11, -1
	global_store_b32 v[6:7], v5, off
.LBB31_1677:
	s_and_b32 vcc_lo, exec_lo, s12
	s_cbranch_vccz .LBB31_1682
; %bb.1678:
	s_cmp_eq_u32 s1, 44
	s_mov_b32 s0, -1
	s_cbranch_scc0 .LBB31_1682
; %bb.1679:
	s_wait_xcnt 0x0
	v_and_b32_e32 v5, 0xffff, v1
	v_mov_b32_e32 v8, 0xff
	s_mov_b32 s11, exec_lo
	s_delay_alu instid0(VALU_DEP_2) | instskip(NEXT) | instid1(VALU_DEP_1)
	v_bfe_u32 v9, v5, 7, 8
	v_cmpx_ne_u32_e32 0xff, v9
	s_cbranch_execz .LBB31_1681
; %bb.1680:
	v_dual_lshlrev_b32 v8, 16, v5 :: v_dual_bitop2_b32 v11, 64, v5 bitop3:0x40
	v_lshrrev_b32_e32 v5, 7, v5
	s_delay_alu instid0(VALU_DEP_2) | instskip(NEXT) | instid1(VALU_DEP_3)
	v_and_or_b32 v8, 0x3f0000, v8, v9
	v_cmp_ne_u32_e32 vcc_lo, 0, v11
	s_delay_alu instid0(VALU_DEP_2) | instskip(SKIP_1) | instid1(SALU_CYCLE_1)
	v_cmp_ne_u32_e64 s0, 0, v8
	s_and_b32 s0, vcc_lo, s0
	v_cndmask_b32_e64 v8, 0, 1, s0
	s_delay_alu instid0(VALU_DEP_1)
	v_add_nc_u32_e32 v8, v5, v8
.LBB31_1681:
	s_or_b32 exec_lo, exec_lo, s11
	s_mov_b32 s0, 0
	s_mov_b32 s11, -1
	global_store_b8 v[6:7], v8, off
.LBB31_1682:
	s_mov_b32 s12, 0
.LBB31_1683:
	s_delay_alu instid0(SALU_CYCLE_1)
	s_and_b32 vcc_lo, exec_lo, s12
	s_cbranch_vccz .LBB31_1686
; %bb.1684:
	s_cmp_eq_u32 s1, 29
	s_mov_b32 s0, -1
	s_cbranch_scc0 .LBB31_1686
; %bb.1685:
	s_wait_xcnt 0x0
	v_lshlrev_b32_e32 v5, 16, v1
	s_mov_b32 s0, 0
	s_mov_b32 s11, -1
	s_delay_alu instid0(VALU_DEP_1) | instskip(NEXT) | instid1(VALU_DEP_1)
	v_trunc_f32_e32 v5, v5
	v_mul_f32_e32 v8, 0x2f800000, v5
	s_delay_alu instid0(VALU_DEP_1) | instskip(NEXT) | instid1(VALU_DEP_1)
	v_floor_f32_e32 v8, v8
	v_fmamk_f32 v5, v8, 0xcf800000, v5
	v_cvt_u32_f32_e32 v9, v8
	s_delay_alu instid0(VALU_DEP_2)
	v_cvt_u32_f32_e32 v8, v5
	global_store_b64 v[6:7], v[8:9], off
.LBB31_1686:
	s_mov_b32 s12, 0
.LBB31_1687:
	s_delay_alu instid0(SALU_CYCLE_1)
	s_and_b32 vcc_lo, exec_lo, s12
	s_cbranch_vccz .LBB31_1703
; %bb.1688:
	s_cmp_lt_i32 s1, 27
	s_mov_b32 s11, -1
	s_cbranch_scc1 .LBB31_1694
; %bb.1689:
	s_cmp_gt_i32 s1, 27
	s_cbranch_scc0 .LBB31_1691
; %bb.1690:
	s_wait_xcnt 0x0
	v_lshlrev_b32_e32 v5, 16, v1
	s_mov_b32 s11, 0
	s_delay_alu instid0(VALU_DEP_1)
	v_cvt_u32_f32_e32 v5, v5
	global_store_b32 v[6:7], v5, off
.LBB31_1691:
	s_and_not1_b32 vcc_lo, exec_lo, s11
	s_cbranch_vccnz .LBB31_1693
; %bb.1692:
	s_wait_xcnt 0x0
	v_lshlrev_b32_e32 v5, 16, v1
	s_delay_alu instid0(VALU_DEP_1)
	v_cvt_u32_f32_e32 v5, v5
	global_store_b16 v[6:7], v5, off
.LBB31_1693:
	s_mov_b32 s11, 0
.LBB31_1694:
	s_delay_alu instid0(SALU_CYCLE_1)
	s_and_not1_b32 vcc_lo, exec_lo, s11
	s_cbranch_vccnz .LBB31_1702
; %bb.1695:
	s_wait_xcnt 0x0
	v_lshlrev_b32_e32 v9, 16, v1
	v_mov_b32_e32 v11, 0x80
	s_mov_b32 s11, exec_lo
	s_delay_alu instid0(VALU_DEP_2) | instskip(NEXT) | instid1(VALU_DEP_1)
	v_and_b32_e32 v8, 0x7fffffff, v9
	v_cmpx_gt_u32_e32 0x43800000, v8
	s_cbranch_execz .LBB31_1701
; %bb.1696:
	v_and_b32_e32 v5, 0xffff, v1
	v_cmp_lt_u32_e32 vcc_lo, 0x3bffffff, v8
	s_mov_b32 s12, 0
                                        ; implicit-def: $vgpr8
	s_and_saveexec_b32 s13, vcc_lo
	s_delay_alu instid0(SALU_CYCLE_1)
	s_xor_b32 s13, exec_lo, s13
	s_cbranch_execz .LBB31_2146
; %bb.1697:
	v_bfe_u32 v8, v5, 4, 1
	s_mov_b32 s12, exec_lo
	s_delay_alu instid0(VALU_DEP_1) | instskip(NEXT) | instid1(VALU_DEP_1)
	v_add3_u32 v8, v9, v8, 0x487ffff
                                        ; implicit-def: $vgpr9
	v_lshrrev_b32_e32 v8, 20, v8
	s_and_not1_saveexec_b32 s13, s13
	s_cbranch_execnz .LBB31_2147
.LBB31_1698:
	s_or_b32 exec_lo, exec_lo, s13
	v_mov_b32_e32 v11, 0
	s_and_saveexec_b32 s13, s12
.LBB31_1699:
	v_lshrrev_b32_e32 v5, 8, v5
	s_delay_alu instid0(VALU_DEP_1)
	v_and_or_b32 v11, 0x80, v5, v8
.LBB31_1700:
	s_or_b32 exec_lo, exec_lo, s13
.LBB31_1701:
	s_delay_alu instid0(SALU_CYCLE_1)
	s_or_b32 exec_lo, exec_lo, s11
	global_store_b8 v[6:7], v11, off
.LBB31_1702:
	s_mov_b32 s11, -1
.LBB31_1703:
	s_mov_b32 s12, 0
.LBB31_1704:
	s_delay_alu instid0(SALU_CYCLE_1)
	s_and_b32 vcc_lo, exec_lo, s12
	s_cbranch_vccz .LBB31_1744
; %bb.1705:
	s_cmp_gt_i32 s1, 22
	s_mov_b32 s7, -1
	s_cbranch_scc0 .LBB31_1737
; %bb.1706:
	s_cmp_lt_i32 s1, 24
	s_cbranch_scc1 .LBB31_1726
; %bb.1707:
	s_cmp_gt_i32 s1, 24
	s_cbranch_scc0 .LBB31_1715
; %bb.1708:
	s_wait_xcnt 0x0
	v_lshlrev_b32_e32 v9, 16, v1
	v_mov_b32_e32 v11, 0x80
	s_mov_b32 s7, exec_lo
	s_delay_alu instid0(VALU_DEP_2) | instskip(NEXT) | instid1(VALU_DEP_1)
	v_and_b32_e32 v8, 0x7fffffff, v9
	v_cmpx_gt_u32_e32 0x47800000, v8
	s_cbranch_execz .LBB31_1714
; %bb.1709:
	v_and_b32_e32 v5, 0xffff, v1
	v_cmp_lt_u32_e32 vcc_lo, 0x37ffffff, v8
	s_mov_b32 s11, 0
                                        ; implicit-def: $vgpr8
	s_and_saveexec_b32 s12, vcc_lo
	s_delay_alu instid0(SALU_CYCLE_1)
	s_xor_b32 s12, exec_lo, s12
	s_cbranch_execz .LBB31_2149
; %bb.1710:
	v_bfe_u32 v8, v5, 5, 1
	s_mov_b32 s11, exec_lo
	s_delay_alu instid0(VALU_DEP_1) | instskip(NEXT) | instid1(VALU_DEP_1)
	v_add3_u32 v8, v9, v8, 0x88fffff
                                        ; implicit-def: $vgpr9
	v_lshrrev_b32_e32 v8, 21, v8
	s_and_not1_saveexec_b32 s12, s12
	s_cbranch_execnz .LBB31_2150
.LBB31_1711:
	s_or_b32 exec_lo, exec_lo, s12
	v_mov_b32_e32 v11, 0
	s_and_saveexec_b32 s12, s11
.LBB31_1712:
	v_lshrrev_b32_e32 v5, 8, v5
	s_delay_alu instid0(VALU_DEP_1)
	v_and_or_b32 v11, 0x80, v5, v8
.LBB31_1713:
	s_or_b32 exec_lo, exec_lo, s12
.LBB31_1714:
	s_delay_alu instid0(SALU_CYCLE_1)
	s_or_b32 exec_lo, exec_lo, s7
	s_mov_b32 s7, 0
	global_store_b8 v[6:7], v11, off
.LBB31_1715:
	s_and_b32 vcc_lo, exec_lo, s7
	s_cbranch_vccz .LBB31_1725
; %bb.1716:
	s_wait_xcnt 0x0
	v_lshlrev_b32_e32 v9, 16, v1
	v_and_b32_e32 v5, 0xffff, v1
	s_mov_b32 s7, exec_lo
                                        ; implicit-def: $vgpr8
	s_delay_alu instid0(VALU_DEP_2) | instskip(NEXT) | instid1(VALU_DEP_1)
	v_and_b32_e32 v11, 0x7fffffff, v9
	v_cmpx_gt_u32_e32 0x43f00000, v11
	s_xor_b32 s7, exec_lo, s7
	s_cbranch_execz .LBB31_1722
; %bb.1717:
	s_mov_b32 s11, exec_lo
                                        ; implicit-def: $vgpr8
	v_cmpx_lt_u32_e32 0x3c7fffff, v11
	s_xor_b32 s11, exec_lo, s11
; %bb.1718:
	v_bfe_u32 v8, v5, 4, 1
	s_delay_alu instid0(VALU_DEP_1) | instskip(NEXT) | instid1(VALU_DEP_1)
	v_add3_u32 v8, v9, v8, 0x407ffff
	v_and_b32_e32 v9, 0xff00000, v8
	v_lshrrev_b32_e32 v8, 20, v8
	s_delay_alu instid0(VALU_DEP_2) | instskip(NEXT) | instid1(VALU_DEP_2)
	v_cmp_ne_u32_e32 vcc_lo, 0x7f00000, v9
                                        ; implicit-def: $vgpr9
	v_cndmask_b32_e32 v8, 0x7e, v8, vcc_lo
; %bb.1719:
	s_and_not1_saveexec_b32 s11, s11
; %bb.1720:
	v_add_f32_e64 v8, 0x46800000, |v9|
; %bb.1721:
	s_or_b32 exec_lo, exec_lo, s11
                                        ; implicit-def: $vgpr11
.LBB31_1722:
	s_and_not1_saveexec_b32 s7, s7
; %bb.1723:
	v_mov_b32_e32 v8, 0x7f
	v_cmp_lt_u32_e32 vcc_lo, 0x7f800000, v11
	s_delay_alu instid0(VALU_DEP_2)
	v_cndmask_b32_e32 v8, 0x7e, v8, vcc_lo
; %bb.1724:
	s_or_b32 exec_lo, exec_lo, s7
	v_lshrrev_b32_e32 v5, 8, v5
	s_delay_alu instid0(VALU_DEP_1)
	v_and_or_b32 v5, 0x80, v5, v8
	global_store_b8 v[6:7], v5, off
.LBB31_1725:
	s_mov_b32 s7, 0
.LBB31_1726:
	s_delay_alu instid0(SALU_CYCLE_1)
	s_and_not1_b32 vcc_lo, exec_lo, s7
	s_cbranch_vccnz .LBB31_1736
; %bb.1727:
	s_wait_xcnt 0x0
	v_lshlrev_b32_e32 v9, 16, v1
	v_and_b32_e32 v5, 0xffff, v1
	s_mov_b32 s7, exec_lo
                                        ; implicit-def: $vgpr8
	s_delay_alu instid0(VALU_DEP_2) | instskip(NEXT) | instid1(VALU_DEP_1)
	v_and_b32_e32 v11, 0x7fffffff, v9
	v_cmpx_gt_u32_e32 0x47800000, v11
	s_xor_b32 s7, exec_lo, s7
	s_cbranch_execz .LBB31_1733
; %bb.1728:
	s_mov_b32 s11, exec_lo
                                        ; implicit-def: $vgpr8
	v_cmpx_lt_u32_e32 0x387fffff, v11
	s_xor_b32 s11, exec_lo, s11
; %bb.1729:
	v_bfe_u32 v8, v5, 5, 1
	s_delay_alu instid0(VALU_DEP_1) | instskip(NEXT) | instid1(VALU_DEP_1)
	v_add3_u32 v8, v9, v8, 0x80fffff
                                        ; implicit-def: $vgpr9
	v_lshrrev_b32_e32 v8, 21, v8
; %bb.1730:
	s_and_not1_saveexec_b32 s11, s11
; %bb.1731:
	v_add_f32_e64 v8, 0x43000000, |v9|
; %bb.1732:
	s_or_b32 exec_lo, exec_lo, s11
                                        ; implicit-def: $vgpr11
.LBB31_1733:
	s_and_not1_saveexec_b32 s7, s7
; %bb.1734:
	v_mov_b32_e32 v8, 0x7f
	v_cmp_lt_u32_e32 vcc_lo, 0x7f800000, v11
	s_delay_alu instid0(VALU_DEP_2)
	v_cndmask_b32_e32 v8, 0x7c, v8, vcc_lo
; %bb.1735:
	s_or_b32 exec_lo, exec_lo, s7
	v_lshrrev_b32_e32 v5, 8, v5
	s_delay_alu instid0(VALU_DEP_1)
	v_and_or_b32 v5, 0x80, v5, v8
	global_store_b8 v[6:7], v5, off
.LBB31_1736:
	s_mov_b32 s7, 0
	s_mov_b32 s11, -1
.LBB31_1737:
	s_and_not1_b32 vcc_lo, exec_lo, s7
	s_mov_b32 s7, 0
	s_cbranch_vccnz .LBB31_1744
; %bb.1738:
	s_cmp_gt_i32 s1, 14
	s_mov_b32 s7, -1
	s_cbranch_scc0 .LBB31_1742
; %bb.1739:
	s_cmp_eq_u32 s1, 15
	s_mov_b32 s0, -1
	s_cbranch_scc0 .LBB31_1741
; %bb.1740:
	s_mov_b32 s0, 0
	s_mov_b32 s11, -1
	global_store_b16 v[6:7], v1, off
.LBB31_1741:
	s_mov_b32 s7, 0
.LBB31_1742:
	s_delay_alu instid0(SALU_CYCLE_1)
	s_and_b32 vcc_lo, exec_lo, s7
	s_mov_b32 s7, 0
	s_cbranch_vccz .LBB31_1744
; %bb.1743:
	s_cmp_lg_u32 s1, 11
	s_mov_b32 s7, -1
	s_cselect_b32 s0, -1, 0
.LBB31_1744:
	s_delay_alu instid0(SALU_CYCLE_1)
	s_and_b32 vcc_lo, exec_lo, s0
	s_cbranch_vccnz .LBB31_2148
; %bb.1745:
	s_and_not1_b32 vcc_lo, exec_lo, s7
	s_cbranch_vccnz .LBB31_1747
.LBB31_1746:
	s_wait_xcnt 0x0
	v_and_b32_e32 v5, 0x7fff, v1
	s_mov_b32 s11, -1
	s_delay_alu instid0(VALU_DEP_1)
	v_cmp_ne_u16_e32 vcc_lo, 0, v5
	v_cndmask_b32_e64 v5, 0, 1, vcc_lo
	global_store_b8 v[6:7], v5, off
.LBB31_1747:
.LBB31_1748:
	s_and_not1_b32 vcc_lo, exec_lo, s11
	s_cbranch_vccz .LBB31_1788
	s_branch .LBB31_2100
.LBB31_1749:
	s_and_b32 vcc_lo, exec_lo, s0
	s_cbranch_vccz .LBB31_1748
; %bb.1750:
	s_and_b32 s0, 0xffff, s6
	s_mov_b32 s1, -1
	s_cmp_lt_i32 s0, 5
	s_cbranch_scc1 .LBB31_1771
; %bb.1751:
	s_cmp_lt_i32 s0, 8
	s_cbranch_scc1 .LBB31_1761
; %bb.1752:
	;; [unrolled: 3-line block ×3, first 2 shown]
	s_cmp_gt_i32 s0, 9
	s_cbranch_scc0 .LBB31_1755
; %bb.1754:
	s_wait_xcnt 0x0
	v_dual_mov_b32 v16, 0 :: v_dual_lshlrev_b32 v5, 16, v1
	s_mov_b32 s1, 0
	s_delay_alu instid0(VALU_DEP_1) | instskip(NEXT) | instid1(VALU_DEP_2)
	v_cvt_f64_f32_e32 v[14:15], v5
	v_mov_b32_e32 v17, v16
	global_store_b128 v[6:7], v[14:17], off
.LBB31_1755:
	s_and_not1_b32 vcc_lo, exec_lo, s1
	s_cbranch_vccnz .LBB31_1757
; %bb.1756:
	s_wait_xcnt 0x0
	v_dual_mov_b32 v9, 0 :: v_dual_lshlrev_b32 v8, 16, v1
	global_store_b64 v[6:7], v[8:9], off
.LBB31_1757:
	s_mov_b32 s1, 0
.LBB31_1758:
	s_delay_alu instid0(SALU_CYCLE_1)
	s_and_not1_b32 vcc_lo, exec_lo, s1
	s_cbranch_vccnz .LBB31_1760
; %bb.1759:
	s_wait_xcnt 0x0
	v_lshlrev_b32_e32 v5, 16, v1
	s_delay_alu instid0(VALU_DEP_1) | instskip(NEXT) | instid1(VALU_DEP_1)
	v_cvt_f16_f32_e32 v5, v5
	v_and_b32_e32 v5, 0xffff, v5
	global_store_b32 v[6:7], v5, off
.LBB31_1760:
	s_mov_b32 s1, 0
.LBB31_1761:
	s_delay_alu instid0(SALU_CYCLE_1)
	s_and_not1_b32 vcc_lo, exec_lo, s1
	s_cbranch_vccnz .LBB31_1770
; %bb.1762:
	s_cmp_lt_i32 s0, 6
	s_mov_b32 s1, -1
	s_cbranch_scc1 .LBB31_1768
; %bb.1763:
	s_cmp_gt_i32 s0, 6
	s_cbranch_scc0 .LBB31_1765
; %bb.1764:
	s_wait_xcnt 0x0
	v_lshlrev_b32_e32 v5, 16, v1
	s_mov_b32 s1, 0
	s_delay_alu instid0(VALU_DEP_1)
	v_cvt_f64_f32_e32 v[8:9], v5
	global_store_b64 v[6:7], v[8:9], off
.LBB31_1765:
	s_and_not1_b32 vcc_lo, exec_lo, s1
	s_cbranch_vccnz .LBB31_1767
; %bb.1766:
	s_wait_xcnt 0x0
	v_lshlrev_b32_e32 v5, 16, v1
	global_store_b32 v[6:7], v5, off
.LBB31_1767:
	s_mov_b32 s1, 0
.LBB31_1768:
	s_delay_alu instid0(SALU_CYCLE_1)
	s_and_not1_b32 vcc_lo, exec_lo, s1
	s_cbranch_vccnz .LBB31_1770
; %bb.1769:
	s_wait_xcnt 0x0
	v_lshlrev_b32_e32 v5, 16, v1
	s_delay_alu instid0(VALU_DEP_1)
	v_cvt_f16_f32_e32 v5, v5
	global_store_b16 v[6:7], v5, off
.LBB31_1770:
	s_mov_b32 s1, 0
.LBB31_1771:
	s_delay_alu instid0(SALU_CYCLE_1)
	s_and_not1_b32 vcc_lo, exec_lo, s1
	s_cbranch_vccnz .LBB31_1787
; %bb.1772:
	s_cmp_lt_i32 s0, 2
	s_mov_b32 s1, -1
	s_cbranch_scc1 .LBB31_1782
; %bb.1773:
	s_cmp_lt_i32 s0, 3
	s_cbranch_scc1 .LBB31_1779
; %bb.1774:
	s_cmp_gt_i32 s0, 3
	s_cbranch_scc0 .LBB31_1776
; %bb.1775:
	s_wait_xcnt 0x0
	v_lshlrev_b32_e32 v5, 16, v1
	s_mov_b32 s1, 0
	s_delay_alu instid0(VALU_DEP_1) | instskip(NEXT) | instid1(VALU_DEP_1)
	v_trunc_f32_e32 v5, v5
	v_mul_f32_e64 v8, 0x2f800000, |v5|
	s_delay_alu instid0(VALU_DEP_1) | instskip(SKIP_1) | instid1(VALU_DEP_2)
	v_floor_f32_e32 v9, v8
	v_ashrrev_i32_e32 v8, 31, v5
	v_fma_f32 v11, 0xcf800000, v9, |v5|
	v_cvt_u32_f32_e32 v5, v9
	s_delay_alu instid0(VALU_DEP_3) | instskip(NEXT) | instid1(VALU_DEP_3)
	v_mov_b32_e32 v9, v8
	v_cvt_u32_f32_e32 v11, v11
	s_delay_alu instid0(VALU_DEP_3) | instskip(NEXT) | instid1(VALU_DEP_2)
	v_xor_b32_e32 v15, v5, v8
	v_xor_b32_e32 v14, v11, v8
	s_delay_alu instid0(VALU_DEP_1)
	v_sub_nc_u64_e32 v[8:9], v[14:15], v[8:9]
	global_store_b64 v[6:7], v[8:9], off
.LBB31_1776:
	s_and_not1_b32 vcc_lo, exec_lo, s1
	s_cbranch_vccnz .LBB31_1778
; %bb.1777:
	s_wait_xcnt 0x0
	v_lshlrev_b32_e32 v5, 16, v1
	s_delay_alu instid0(VALU_DEP_1)
	v_cvt_i32_f32_e32 v5, v5
	global_store_b32 v[6:7], v5, off
.LBB31_1778:
	s_mov_b32 s1, 0
.LBB31_1779:
	s_delay_alu instid0(SALU_CYCLE_1)
	s_and_not1_b32 vcc_lo, exec_lo, s1
	s_cbranch_vccnz .LBB31_1781
; %bb.1780:
	s_wait_xcnt 0x0
	v_lshlrev_b32_e32 v5, 16, v1
	s_delay_alu instid0(VALU_DEP_1)
	v_cvt_i32_f32_e32 v5, v5
	global_store_b16 v[6:7], v5, off
.LBB31_1781:
	s_mov_b32 s1, 0
.LBB31_1782:
	s_delay_alu instid0(SALU_CYCLE_1)
	s_and_not1_b32 vcc_lo, exec_lo, s1
	s_cbranch_vccnz .LBB31_1787
; %bb.1783:
	s_wait_xcnt 0x0
	v_lshlrev_b32_e32 v1, 16, v1
	s_cmp_gt_i32 s0, 0
	s_mov_b32 s0, -1
	s_cbranch_scc0 .LBB31_1785
; %bb.1784:
	s_delay_alu instid0(VALU_DEP_1)
	v_cvt_i32_f32_e32 v5, v1
	s_mov_b32 s0, 0
	global_store_b8 v[6:7], v5, off
.LBB31_1785:
	s_and_not1_b32 vcc_lo, exec_lo, s0
	s_cbranch_vccnz .LBB31_1787
; %bb.1786:
	v_trunc_f32_e32 v1, v1
	s_wait_xcnt 0x0
	s_delay_alu instid0(VALU_DEP_1) | instskip(NEXT) | instid1(VALU_DEP_1)
	v_mul_f32_e64 v5, 0x2f800000, |v1|
	v_floor_f32_e32 v5, v5
	s_delay_alu instid0(VALU_DEP_1) | instskip(SKIP_1) | instid1(VALU_DEP_2)
	v_fma_f32 v5, 0xcf800000, v5, |v1|
	v_ashrrev_i32_e32 v1, 31, v1
	v_cvt_u32_f32_e32 v5, v5
	s_delay_alu instid0(VALU_DEP_1) | instskip(NEXT) | instid1(VALU_DEP_1)
	v_xor_b32_e32 v5, v5, v1
	v_sub_nc_u32_e32 v1, v5, v1
	global_store_b8 v[6:7], v1, off
.LBB31_1787:
.LBB31_1788:
	s_wait_xcnt 0x0
	v_dual_lshlrev_b32 v1, 16, v3 :: v_dual_mov_b32 v5, 0
	s_and_b32 s1, 0xffff, s6
	s_mov_b32 s11, 0
	s_delay_alu instid0(VALU_DEP_1)
	v_cmp_nle_f32_e32 vcc_lo, s3, v1
	v_cmp_nge_f32_e64 s0, s2, v1
	v_add_nc_u64_e32 v[4:5], s[4:5], v[4:5]
	s_or_b32 vcc_lo, s0, vcc_lo
	s_cmp_lt_i32 s1, 11
	v_cndmask_b32_e32 v1, 0, v3, vcc_lo
	s_mov_b32 s0, -1
	s_cbranch_scc1 .LBB31_1867
; %bb.1789:
	s_mov_b32 s12, -1
	s_mov_b32 s7, 0
	s_cmp_gt_i32 s1, 25
	s_mov_b32 s0, 0
	s_cbranch_scc0 .LBB31_1822
; %bb.1790:
	s_cmp_gt_i32 s1, 28
	s_cbranch_scc0 .LBB31_1805
; %bb.1791:
	s_cmp_gt_i32 s1, 43
	;; [unrolled: 3-line block ×3, first 2 shown]
	s_cbranch_scc0 .LBB31_1795
; %bb.1793:
	s_mov_b32 s0, -1
	s_mov_b32 s12, 0
	s_cmp_eq_u32 s1, 46
	s_cbranch_scc0 .LBB31_1795
; %bb.1794:
	v_and_b32_e32 v3, 0xffff, v1
	s_mov_b32 s0, 0
	s_mov_b32 s11, -1
	global_store_b32 v[4:5], v3, off
.LBB31_1795:
	s_and_b32 vcc_lo, exec_lo, s12
	s_cbranch_vccz .LBB31_1800
; %bb.1796:
	s_cmp_eq_u32 s1, 44
	s_mov_b32 s0, -1
	s_cbranch_scc0 .LBB31_1800
; %bb.1797:
	s_wait_xcnt 0x0
	v_and_b32_e32 v3, 0xffff, v1
	v_mov_b32_e32 v6, 0xff
	s_mov_b32 s11, exec_lo
	s_delay_alu instid0(VALU_DEP_2) | instskip(NEXT) | instid1(VALU_DEP_1)
	v_bfe_u32 v7, v3, 7, 8
	v_cmpx_ne_u32_e32 0xff, v7
	s_cbranch_execz .LBB31_1799
; %bb.1798:
	v_dual_lshlrev_b32 v6, 16, v3 :: v_dual_bitop2_b32 v8, 64, v3 bitop3:0x40
	v_lshrrev_b32_e32 v3, 7, v3
	s_delay_alu instid0(VALU_DEP_2) | instskip(NEXT) | instid1(VALU_DEP_3)
	v_and_or_b32 v6, 0x3f0000, v6, v7
	v_cmp_ne_u32_e32 vcc_lo, 0, v8
	s_delay_alu instid0(VALU_DEP_2) | instskip(SKIP_1) | instid1(SALU_CYCLE_1)
	v_cmp_ne_u32_e64 s0, 0, v6
	s_and_b32 s0, vcc_lo, s0
	v_cndmask_b32_e64 v6, 0, 1, s0
	s_delay_alu instid0(VALU_DEP_1)
	v_add_nc_u32_e32 v6, v3, v6
.LBB31_1799:
	s_or_b32 exec_lo, exec_lo, s11
	s_mov_b32 s0, 0
	s_mov_b32 s11, -1
	global_store_b8 v[4:5], v6, off
.LBB31_1800:
	s_mov_b32 s12, 0
.LBB31_1801:
	s_delay_alu instid0(SALU_CYCLE_1)
	s_and_b32 vcc_lo, exec_lo, s12
	s_cbranch_vccz .LBB31_1804
; %bb.1802:
	s_cmp_eq_u32 s1, 29
	s_mov_b32 s0, -1
	s_cbranch_scc0 .LBB31_1804
; %bb.1803:
	s_wait_xcnt 0x0
	v_lshlrev_b32_e32 v3, 16, v1
	s_mov_b32 s0, 0
	s_mov_b32 s11, -1
	s_delay_alu instid0(VALU_DEP_1) | instskip(NEXT) | instid1(VALU_DEP_1)
	v_trunc_f32_e32 v3, v3
	v_mul_f32_e32 v6, 0x2f800000, v3
	s_delay_alu instid0(VALU_DEP_1) | instskip(NEXT) | instid1(VALU_DEP_1)
	v_floor_f32_e32 v6, v6
	v_fmamk_f32 v3, v6, 0xcf800000, v3
	v_cvt_u32_f32_e32 v7, v6
	s_delay_alu instid0(VALU_DEP_2)
	v_cvt_u32_f32_e32 v6, v3
	global_store_b64 v[4:5], v[6:7], off
.LBB31_1804:
	s_mov_b32 s12, 0
.LBB31_1805:
	s_delay_alu instid0(SALU_CYCLE_1)
	s_and_b32 vcc_lo, exec_lo, s12
	s_cbranch_vccz .LBB31_1821
; %bb.1806:
	s_cmp_lt_i32 s1, 27
	s_mov_b32 s11, -1
	s_cbranch_scc1 .LBB31_1812
; %bb.1807:
	s_cmp_gt_i32 s1, 27
	s_cbranch_scc0 .LBB31_1809
; %bb.1808:
	s_wait_xcnt 0x0
	v_lshlrev_b32_e32 v3, 16, v1
	s_mov_b32 s11, 0
	s_delay_alu instid0(VALU_DEP_1)
	v_cvt_u32_f32_e32 v3, v3
	global_store_b32 v[4:5], v3, off
.LBB31_1809:
	s_and_not1_b32 vcc_lo, exec_lo, s11
	s_cbranch_vccnz .LBB31_1811
; %bb.1810:
	s_wait_xcnt 0x0
	v_lshlrev_b32_e32 v3, 16, v1
	s_delay_alu instid0(VALU_DEP_1)
	v_cvt_u32_f32_e32 v3, v3
	global_store_b16 v[4:5], v3, off
.LBB31_1811:
	s_mov_b32 s11, 0
.LBB31_1812:
	s_delay_alu instid0(SALU_CYCLE_1)
	s_and_not1_b32 vcc_lo, exec_lo, s11
	s_cbranch_vccnz .LBB31_1820
; %bb.1813:
	s_wait_xcnt 0x0
	v_dual_mov_b32 v8, 0x80 :: v_dual_lshlrev_b32 v7, 16, v1
	s_mov_b32 s11, exec_lo
	s_delay_alu instid0(VALU_DEP_1) | instskip(NEXT) | instid1(VALU_DEP_1)
	v_and_b32_e32 v6, 0x7fffffff, v7
	v_cmpx_gt_u32_e32 0x43800000, v6
	s_cbranch_execz .LBB31_1819
; %bb.1814:
	v_and_b32_e32 v3, 0xffff, v1
	v_cmp_lt_u32_e32 vcc_lo, 0x3bffffff, v6
	s_mov_b32 s12, 0
                                        ; implicit-def: $vgpr6
	s_and_saveexec_b32 s13, vcc_lo
	s_delay_alu instid0(SALU_CYCLE_1)
	s_xor_b32 s13, exec_lo, s13
	s_cbranch_execz .LBB31_2151
; %bb.1815:
	v_bfe_u32 v6, v3, 4, 1
	s_mov_b32 s12, exec_lo
	s_delay_alu instid0(VALU_DEP_1) | instskip(NEXT) | instid1(VALU_DEP_1)
	v_add3_u32 v6, v7, v6, 0x487ffff
                                        ; implicit-def: $vgpr7
	v_lshrrev_b32_e32 v6, 20, v6
	s_and_not1_saveexec_b32 s13, s13
	s_cbranch_execnz .LBB31_2152
.LBB31_1816:
	s_or_b32 exec_lo, exec_lo, s13
	v_mov_b32_e32 v8, 0
	s_and_saveexec_b32 s13, s12
.LBB31_1817:
	v_lshrrev_b32_e32 v3, 8, v3
	s_delay_alu instid0(VALU_DEP_1)
	v_and_or_b32 v8, 0x80, v3, v6
.LBB31_1818:
	s_or_b32 exec_lo, exec_lo, s13
.LBB31_1819:
	s_delay_alu instid0(SALU_CYCLE_1)
	s_or_b32 exec_lo, exec_lo, s11
	global_store_b8 v[4:5], v8, off
.LBB31_1820:
	s_mov_b32 s11, -1
.LBB31_1821:
	s_mov_b32 s12, 0
.LBB31_1822:
	s_delay_alu instid0(SALU_CYCLE_1)
	s_and_b32 vcc_lo, exec_lo, s12
	s_cbranch_vccz .LBB31_1862
; %bb.1823:
	s_cmp_gt_i32 s1, 22
	s_mov_b32 s7, -1
	s_cbranch_scc0 .LBB31_1855
; %bb.1824:
	s_cmp_lt_i32 s1, 24
	s_cbranch_scc1 .LBB31_1844
; %bb.1825:
	s_cmp_gt_i32 s1, 24
	s_cbranch_scc0 .LBB31_1833
; %bb.1826:
	s_wait_xcnt 0x0
	v_dual_mov_b32 v8, 0x80 :: v_dual_lshlrev_b32 v7, 16, v1
	s_mov_b32 s7, exec_lo
	s_delay_alu instid0(VALU_DEP_1) | instskip(NEXT) | instid1(VALU_DEP_1)
	v_and_b32_e32 v6, 0x7fffffff, v7
	v_cmpx_gt_u32_e32 0x47800000, v6
	s_cbranch_execz .LBB31_1832
; %bb.1827:
	v_and_b32_e32 v3, 0xffff, v1
	v_cmp_lt_u32_e32 vcc_lo, 0x37ffffff, v6
	s_mov_b32 s11, 0
                                        ; implicit-def: $vgpr6
	s_and_saveexec_b32 s12, vcc_lo
	s_delay_alu instid0(SALU_CYCLE_1)
	s_xor_b32 s12, exec_lo, s12
	s_cbranch_execz .LBB31_2154
; %bb.1828:
	v_bfe_u32 v6, v3, 5, 1
	s_mov_b32 s11, exec_lo
	s_delay_alu instid0(VALU_DEP_1) | instskip(NEXT) | instid1(VALU_DEP_1)
	v_add3_u32 v6, v7, v6, 0x88fffff
                                        ; implicit-def: $vgpr7
	v_lshrrev_b32_e32 v6, 21, v6
	s_and_not1_saveexec_b32 s12, s12
	s_cbranch_execnz .LBB31_2155
.LBB31_1829:
	s_or_b32 exec_lo, exec_lo, s12
	v_mov_b32_e32 v8, 0
	s_and_saveexec_b32 s12, s11
.LBB31_1830:
	v_lshrrev_b32_e32 v3, 8, v3
	s_delay_alu instid0(VALU_DEP_1)
	v_and_or_b32 v8, 0x80, v3, v6
.LBB31_1831:
	s_or_b32 exec_lo, exec_lo, s12
.LBB31_1832:
	s_delay_alu instid0(SALU_CYCLE_1)
	s_or_b32 exec_lo, exec_lo, s7
	s_mov_b32 s7, 0
	global_store_b8 v[4:5], v8, off
.LBB31_1833:
	s_and_b32 vcc_lo, exec_lo, s7
	s_cbranch_vccz .LBB31_1843
; %bb.1834:
	s_wait_xcnt 0x0
	v_lshlrev_b32_e32 v7, 16, v1
	v_and_b32_e32 v3, 0xffff, v1
	s_mov_b32 s7, exec_lo
                                        ; implicit-def: $vgpr6
	s_delay_alu instid0(VALU_DEP_2) | instskip(NEXT) | instid1(VALU_DEP_1)
	v_and_b32_e32 v8, 0x7fffffff, v7
	v_cmpx_gt_u32_e32 0x43f00000, v8
	s_xor_b32 s7, exec_lo, s7
	s_cbranch_execz .LBB31_1840
; %bb.1835:
	s_mov_b32 s11, exec_lo
                                        ; implicit-def: $vgpr6
	v_cmpx_lt_u32_e32 0x3c7fffff, v8
	s_xor_b32 s11, exec_lo, s11
; %bb.1836:
	v_bfe_u32 v6, v3, 4, 1
	s_delay_alu instid0(VALU_DEP_1) | instskip(NEXT) | instid1(VALU_DEP_1)
	v_add3_u32 v6, v7, v6, 0x407ffff
	v_and_b32_e32 v7, 0xff00000, v6
	v_lshrrev_b32_e32 v6, 20, v6
	s_delay_alu instid0(VALU_DEP_2) | instskip(NEXT) | instid1(VALU_DEP_2)
	v_cmp_ne_u32_e32 vcc_lo, 0x7f00000, v7
                                        ; implicit-def: $vgpr7
	v_cndmask_b32_e32 v6, 0x7e, v6, vcc_lo
; %bb.1837:
	s_and_not1_saveexec_b32 s11, s11
; %bb.1838:
	v_add_f32_e64 v6, 0x46800000, |v7|
; %bb.1839:
	s_or_b32 exec_lo, exec_lo, s11
                                        ; implicit-def: $vgpr8
.LBB31_1840:
	s_and_not1_saveexec_b32 s7, s7
; %bb.1841:
	v_mov_b32_e32 v6, 0x7f
	v_cmp_lt_u32_e32 vcc_lo, 0x7f800000, v8
	s_delay_alu instid0(VALU_DEP_2)
	v_cndmask_b32_e32 v6, 0x7e, v6, vcc_lo
; %bb.1842:
	s_or_b32 exec_lo, exec_lo, s7
	v_lshrrev_b32_e32 v3, 8, v3
	s_delay_alu instid0(VALU_DEP_1)
	v_and_or_b32 v3, 0x80, v3, v6
	global_store_b8 v[4:5], v3, off
.LBB31_1843:
	s_mov_b32 s7, 0
.LBB31_1844:
	s_delay_alu instid0(SALU_CYCLE_1)
	s_and_not1_b32 vcc_lo, exec_lo, s7
	s_cbranch_vccnz .LBB31_1854
; %bb.1845:
	s_wait_xcnt 0x0
	v_lshlrev_b32_e32 v7, 16, v1
	v_and_b32_e32 v3, 0xffff, v1
	s_mov_b32 s7, exec_lo
                                        ; implicit-def: $vgpr6
	s_delay_alu instid0(VALU_DEP_2) | instskip(NEXT) | instid1(VALU_DEP_1)
	v_and_b32_e32 v8, 0x7fffffff, v7
	v_cmpx_gt_u32_e32 0x47800000, v8
	s_xor_b32 s7, exec_lo, s7
	s_cbranch_execz .LBB31_1851
; %bb.1846:
	s_mov_b32 s11, exec_lo
                                        ; implicit-def: $vgpr6
	v_cmpx_lt_u32_e32 0x387fffff, v8
	s_xor_b32 s11, exec_lo, s11
; %bb.1847:
	v_bfe_u32 v6, v3, 5, 1
	s_delay_alu instid0(VALU_DEP_1) | instskip(NEXT) | instid1(VALU_DEP_1)
	v_add3_u32 v6, v7, v6, 0x80fffff
                                        ; implicit-def: $vgpr7
	v_lshrrev_b32_e32 v6, 21, v6
; %bb.1848:
	s_and_not1_saveexec_b32 s11, s11
; %bb.1849:
	v_add_f32_e64 v6, 0x43000000, |v7|
; %bb.1850:
	s_or_b32 exec_lo, exec_lo, s11
                                        ; implicit-def: $vgpr8
.LBB31_1851:
	s_and_not1_saveexec_b32 s7, s7
; %bb.1852:
	v_mov_b32_e32 v6, 0x7f
	v_cmp_lt_u32_e32 vcc_lo, 0x7f800000, v8
	s_delay_alu instid0(VALU_DEP_2)
	v_cndmask_b32_e32 v6, 0x7c, v6, vcc_lo
; %bb.1853:
	s_or_b32 exec_lo, exec_lo, s7
	v_lshrrev_b32_e32 v3, 8, v3
	s_delay_alu instid0(VALU_DEP_1)
	v_and_or_b32 v3, 0x80, v3, v6
	global_store_b8 v[4:5], v3, off
.LBB31_1854:
	s_mov_b32 s7, 0
	s_mov_b32 s11, -1
.LBB31_1855:
	s_and_not1_b32 vcc_lo, exec_lo, s7
	s_mov_b32 s7, 0
	s_cbranch_vccnz .LBB31_1862
; %bb.1856:
	s_cmp_gt_i32 s1, 14
	s_mov_b32 s7, -1
	s_cbranch_scc0 .LBB31_1860
; %bb.1857:
	s_cmp_eq_u32 s1, 15
	s_mov_b32 s0, -1
	s_cbranch_scc0 .LBB31_1859
; %bb.1858:
	s_mov_b32 s0, 0
	s_mov_b32 s11, -1
	global_store_b16 v[4:5], v1, off
.LBB31_1859:
	s_mov_b32 s7, 0
.LBB31_1860:
	s_delay_alu instid0(SALU_CYCLE_1)
	s_and_b32 vcc_lo, exec_lo, s7
	s_mov_b32 s7, 0
	s_cbranch_vccz .LBB31_1862
; %bb.1861:
	s_cmp_lg_u32 s1, 11
	s_mov_b32 s7, -1
	s_cselect_b32 s0, -1, 0
.LBB31_1862:
	s_delay_alu instid0(SALU_CYCLE_1)
	s_and_b32 vcc_lo, exec_lo, s0
	s_cbranch_vccnz .LBB31_2153
; %bb.1863:
	s_and_not1_b32 vcc_lo, exec_lo, s7
	s_cbranch_vccnz .LBB31_1865
.LBB31_1864:
	s_wait_xcnt 0x0
	v_and_b32_e32 v3, 0x7fff, v1
	s_mov_b32 s11, -1
	s_delay_alu instid0(VALU_DEP_1)
	v_cmp_ne_u16_e32 vcc_lo, 0, v3
	v_cndmask_b32_e64 v3, 0, 1, vcc_lo
	global_store_b8 v[4:5], v3, off
.LBB31_1865:
.LBB31_1866:
	s_and_not1_b32 vcc_lo, exec_lo, s11
	s_cbranch_vccz .LBB31_1906
	s_branch .LBB31_2100
.LBB31_1867:
	s_and_b32 vcc_lo, exec_lo, s0
	s_cbranch_vccz .LBB31_1866
; %bb.1868:
	s_cmp_lt_i32 s1, 5
	s_mov_b32 s0, -1
	s_cbranch_scc1 .LBB31_1889
; %bb.1869:
	s_cmp_lt_i32 s1, 8
	s_cbranch_scc1 .LBB31_1879
; %bb.1870:
	s_cmp_lt_i32 s1, 9
	s_cbranch_scc1 .LBB31_1876
; %bb.1871:
	s_cmp_gt_i32 s1, 9
	s_cbranch_scc0 .LBB31_1873
; %bb.1872:
	s_wait_xcnt 0x0
	v_dual_mov_b32 v8, 0 :: v_dual_lshlrev_b32 v3, 16, v1
	s_mov_b32 s0, 0
	s_delay_alu instid0(VALU_DEP_1) | instskip(NEXT) | instid1(VALU_DEP_2)
	v_cvt_f64_f32_e32 v[6:7], v3
	v_mov_b32_e32 v9, v8
	global_store_b128 v[4:5], v[6:9], off
.LBB31_1873:
	s_and_not1_b32 vcc_lo, exec_lo, s0
	s_cbranch_vccnz .LBB31_1875
; %bb.1874:
	s_wait_xcnt 0x0
	v_dual_mov_b32 v7, 0 :: v_dual_lshlrev_b32 v6, 16, v1
	global_store_b64 v[4:5], v[6:7], off
.LBB31_1875:
	s_mov_b32 s0, 0
.LBB31_1876:
	s_delay_alu instid0(SALU_CYCLE_1)
	s_and_not1_b32 vcc_lo, exec_lo, s0
	s_cbranch_vccnz .LBB31_1878
; %bb.1877:
	s_wait_xcnt 0x0
	v_lshlrev_b32_e32 v3, 16, v1
	s_delay_alu instid0(VALU_DEP_1) | instskip(NEXT) | instid1(VALU_DEP_1)
	v_cvt_f16_f32_e32 v3, v3
	v_and_b32_e32 v3, 0xffff, v3
	global_store_b32 v[4:5], v3, off
.LBB31_1878:
	s_mov_b32 s0, 0
.LBB31_1879:
	s_delay_alu instid0(SALU_CYCLE_1)
	s_and_not1_b32 vcc_lo, exec_lo, s0
	s_cbranch_vccnz .LBB31_1888
; %bb.1880:
	s_cmp_lt_i32 s1, 6
	s_mov_b32 s0, -1
	s_cbranch_scc1 .LBB31_1886
; %bb.1881:
	s_cmp_gt_i32 s1, 6
	s_cbranch_scc0 .LBB31_1883
; %bb.1882:
	s_wait_xcnt 0x0
	v_lshlrev_b32_e32 v3, 16, v1
	s_mov_b32 s0, 0
	s_delay_alu instid0(VALU_DEP_1)
	v_cvt_f64_f32_e32 v[6:7], v3
	global_store_b64 v[4:5], v[6:7], off
.LBB31_1883:
	s_and_not1_b32 vcc_lo, exec_lo, s0
	s_cbranch_vccnz .LBB31_1885
; %bb.1884:
	s_wait_xcnt 0x0
	v_lshlrev_b32_e32 v3, 16, v1
	global_store_b32 v[4:5], v3, off
.LBB31_1885:
	s_mov_b32 s0, 0
.LBB31_1886:
	s_delay_alu instid0(SALU_CYCLE_1)
	s_and_not1_b32 vcc_lo, exec_lo, s0
	s_cbranch_vccnz .LBB31_1888
; %bb.1887:
	s_wait_xcnt 0x0
	v_lshlrev_b32_e32 v3, 16, v1
	s_delay_alu instid0(VALU_DEP_1)
	v_cvt_f16_f32_e32 v3, v3
	global_store_b16 v[4:5], v3, off
.LBB31_1888:
	s_mov_b32 s0, 0
.LBB31_1889:
	s_delay_alu instid0(SALU_CYCLE_1)
	s_and_not1_b32 vcc_lo, exec_lo, s0
	s_cbranch_vccnz .LBB31_1905
; %bb.1890:
	s_cmp_lt_i32 s1, 2
	s_mov_b32 s0, -1
	s_cbranch_scc1 .LBB31_1900
; %bb.1891:
	s_cmp_lt_i32 s1, 3
	s_cbranch_scc1 .LBB31_1897
; %bb.1892:
	s_cmp_gt_i32 s1, 3
	s_cbranch_scc0 .LBB31_1894
; %bb.1893:
	s_wait_xcnt 0x0
	v_lshlrev_b32_e32 v3, 16, v1
	s_mov_b32 s0, 0
	s_delay_alu instid0(VALU_DEP_1) | instskip(NEXT) | instid1(VALU_DEP_1)
	v_trunc_f32_e32 v3, v3
	v_mul_f32_e64 v6, 0x2f800000, |v3|
	s_delay_alu instid0(VALU_DEP_1) | instskip(SKIP_1) | instid1(VALU_DEP_2)
	v_floor_f32_e32 v7, v6
	v_ashrrev_i32_e32 v6, 31, v3
	v_fma_f32 v8, 0xcf800000, v7, |v3|
	v_cvt_u32_f32_e32 v3, v7
	s_delay_alu instid0(VALU_DEP_3) | instskip(NEXT) | instid1(VALU_DEP_3)
	v_mov_b32_e32 v7, v6
	v_cvt_u32_f32_e32 v8, v8
	s_delay_alu instid0(VALU_DEP_3) | instskip(NEXT) | instid1(VALU_DEP_2)
	v_xor_b32_e32 v9, v3, v6
	v_xor_b32_e32 v8, v8, v6
	s_delay_alu instid0(VALU_DEP_1)
	v_sub_nc_u64_e32 v[6:7], v[8:9], v[6:7]
	global_store_b64 v[4:5], v[6:7], off
.LBB31_1894:
	s_and_not1_b32 vcc_lo, exec_lo, s0
	s_cbranch_vccnz .LBB31_1896
; %bb.1895:
	s_wait_xcnt 0x0
	v_lshlrev_b32_e32 v3, 16, v1
	s_delay_alu instid0(VALU_DEP_1)
	v_cvt_i32_f32_e32 v3, v3
	global_store_b32 v[4:5], v3, off
.LBB31_1896:
	s_mov_b32 s0, 0
.LBB31_1897:
	s_delay_alu instid0(SALU_CYCLE_1)
	s_and_not1_b32 vcc_lo, exec_lo, s0
	s_cbranch_vccnz .LBB31_1899
; %bb.1898:
	s_wait_xcnt 0x0
	v_lshlrev_b32_e32 v3, 16, v1
	s_delay_alu instid0(VALU_DEP_1)
	v_cvt_i32_f32_e32 v3, v3
	global_store_b16 v[4:5], v3, off
.LBB31_1899:
	s_mov_b32 s0, 0
.LBB31_1900:
	s_delay_alu instid0(SALU_CYCLE_1)
	s_and_not1_b32 vcc_lo, exec_lo, s0
	s_cbranch_vccnz .LBB31_1905
; %bb.1901:
	s_wait_xcnt 0x0
	v_lshlrev_b32_e32 v1, 16, v1
	s_cmp_gt_i32 s1, 0
	s_mov_b32 s0, -1
	s_cbranch_scc0 .LBB31_1903
; %bb.1902:
	s_delay_alu instid0(VALU_DEP_1)
	v_cvt_i32_f32_e32 v3, v1
	s_mov_b32 s0, 0
	global_store_b8 v[4:5], v3, off
.LBB31_1903:
	s_and_not1_b32 vcc_lo, exec_lo, s0
	s_cbranch_vccnz .LBB31_1905
; %bb.1904:
	v_trunc_f32_e32 v1, v1
	s_wait_xcnt 0x0
	s_delay_alu instid0(VALU_DEP_1) | instskip(NEXT) | instid1(VALU_DEP_1)
	v_mul_f32_e64 v3, 0x2f800000, |v1|
	v_floor_f32_e32 v3, v3
	s_delay_alu instid0(VALU_DEP_1) | instskip(SKIP_1) | instid1(VALU_DEP_2)
	v_fma_f32 v3, 0xcf800000, v3, |v1|
	v_ashrrev_i32_e32 v1, 31, v1
	v_cvt_u32_f32_e32 v3, v3
	s_delay_alu instid0(VALU_DEP_1) | instskip(NEXT) | instid1(VALU_DEP_1)
	v_xor_b32_e32 v3, v3, v1
	v_sub_nc_u32_e32 v1, v3, v1
	global_store_b8 v[4:5], v1, off
.LBB31_1905:
.LBB31_1906:
	s_wait_xcnt 0x0
	v_dual_lshlrev_b32 v1, 16, v12 :: v_dual_mov_b32 v3, 0
	s_mov_b32 s11, 0
	s_delay_alu instid0(VALU_DEP_1) | instskip(SKIP_1) | instid1(VALU_DEP_3)
	v_cmp_nle_f32_e32 vcc_lo, s3, v1
	v_cmp_nge_f32_e64 s0, s2, v1
	v_add_nc_u64_e32 v[2:3], s[4:5], v[2:3]
	s_or_b32 vcc_lo, s0, vcc_lo
	s_cmp_lt_i32 s1, 11
	v_cndmask_b32_e32 v1, 0, v12, vcc_lo
	s_mov_b32 s0, -1
	s_cbranch_scc1 .LBB31_2061
; %bb.1907:
	s_mov_b32 s12, -1
	s_mov_b32 s7, 0
	s_cmp_gt_i32 s1, 25
	s_mov_b32 s0, 0
	s_cbranch_scc0 .LBB31_1940
; %bb.1908:
	s_cmp_gt_i32 s1, 28
	s_cbranch_scc0 .LBB31_1923
; %bb.1909:
	s_cmp_gt_i32 s1, 43
	;; [unrolled: 3-line block ×3, first 2 shown]
	s_cbranch_scc0 .LBB31_1913
; %bb.1911:
	s_mov_b32 s0, -1
	s_mov_b32 s12, 0
	s_cmp_eq_u32 s1, 46
	s_cbranch_scc0 .LBB31_1913
; %bb.1912:
	v_and_b32_e32 v4, 0xffff, v1
	s_mov_b32 s0, 0
	s_mov_b32 s11, -1
	global_store_b32 v[2:3], v4, off
.LBB31_1913:
	s_and_b32 vcc_lo, exec_lo, s12
	s_cbranch_vccz .LBB31_1918
; %bb.1914:
	s_cmp_eq_u32 s1, 44
	s_mov_b32 s0, -1
	s_cbranch_scc0 .LBB31_1918
; %bb.1915:
	s_wait_xcnt 0x0
	v_and_b32_e32 v4, 0xffff, v1
	v_mov_b32_e32 v5, 0xff
	s_mov_b32 s11, exec_lo
	s_delay_alu instid0(VALU_DEP_2) | instskip(NEXT) | instid1(VALU_DEP_1)
	v_bfe_u32 v6, v4, 7, 8
	v_cmpx_ne_u32_e32 0xff, v6
	s_cbranch_execz .LBB31_1917
; %bb.1916:
	v_dual_lshlrev_b32 v5, 16, v4 :: v_dual_bitop2_b32 v7, 64, v4 bitop3:0x40
	v_lshrrev_b32_e32 v4, 7, v4
	s_delay_alu instid0(VALU_DEP_2) | instskip(NEXT) | instid1(VALU_DEP_3)
	v_and_or_b32 v5, 0x3f0000, v5, v6
	v_cmp_ne_u32_e32 vcc_lo, 0, v7
	s_delay_alu instid0(VALU_DEP_2) | instskip(SKIP_1) | instid1(SALU_CYCLE_1)
	v_cmp_ne_u32_e64 s0, 0, v5
	s_and_b32 s0, vcc_lo, s0
	v_cndmask_b32_e64 v5, 0, 1, s0
	s_delay_alu instid0(VALU_DEP_1)
	v_add_nc_u32_e32 v5, v4, v5
.LBB31_1917:
	s_or_b32 exec_lo, exec_lo, s11
	s_mov_b32 s0, 0
	s_mov_b32 s11, -1
	global_store_b8 v[2:3], v5, off
.LBB31_1918:
	s_mov_b32 s12, 0
.LBB31_1919:
	s_delay_alu instid0(SALU_CYCLE_1)
	s_and_b32 vcc_lo, exec_lo, s12
	s_cbranch_vccz .LBB31_1922
; %bb.1920:
	s_cmp_eq_u32 s1, 29
	s_mov_b32 s0, -1
	s_cbranch_scc0 .LBB31_1922
; %bb.1921:
	s_wait_xcnt 0x0
	v_lshlrev_b32_e32 v4, 16, v1
	s_mov_b32 s0, 0
	s_mov_b32 s11, -1
	s_delay_alu instid0(VALU_DEP_1) | instskip(NEXT) | instid1(VALU_DEP_1)
	v_trunc_f32_e32 v4, v4
	v_mul_f32_e32 v5, 0x2f800000, v4
	s_delay_alu instid0(VALU_DEP_1) | instskip(NEXT) | instid1(VALU_DEP_1)
	v_floor_f32_e32 v5, v5
	v_fmamk_f32 v4, v5, 0xcf800000, v4
	v_cvt_u32_f32_e32 v5, v5
	s_delay_alu instid0(VALU_DEP_2)
	v_cvt_u32_f32_e32 v4, v4
	global_store_b64 v[2:3], v[4:5], off
.LBB31_1922:
	s_mov_b32 s12, 0
.LBB31_1923:
	s_delay_alu instid0(SALU_CYCLE_1)
	s_and_b32 vcc_lo, exec_lo, s12
	s_cbranch_vccz .LBB31_1939
; %bb.1924:
	s_cmp_lt_i32 s1, 27
	s_mov_b32 s11, -1
	s_cbranch_scc1 .LBB31_1930
; %bb.1925:
	s_cmp_gt_i32 s1, 27
	s_cbranch_scc0 .LBB31_1927
; %bb.1926:
	s_wait_xcnt 0x0
	v_lshlrev_b32_e32 v4, 16, v1
	s_mov_b32 s11, 0
	s_delay_alu instid0(VALU_DEP_1)
	v_cvt_u32_f32_e32 v4, v4
	global_store_b32 v[2:3], v4, off
.LBB31_1927:
	s_and_not1_b32 vcc_lo, exec_lo, s11
	s_cbranch_vccnz .LBB31_1929
; %bb.1928:
	s_wait_xcnt 0x0
	v_lshlrev_b32_e32 v4, 16, v1
	s_delay_alu instid0(VALU_DEP_1)
	v_cvt_u32_f32_e32 v4, v4
	global_store_b16 v[2:3], v4, off
.LBB31_1929:
	s_mov_b32 s11, 0
.LBB31_1930:
	s_delay_alu instid0(SALU_CYCLE_1)
	s_and_not1_b32 vcc_lo, exec_lo, s11
	s_cbranch_vccnz .LBB31_1938
; %bb.1931:
	v_dual_mov_b32 v7, 0x80 :: v_dual_lshlrev_b32 v6, 16, v1
	s_mov_b32 s11, exec_lo
	s_wait_xcnt 0x0
	s_delay_alu instid0(VALU_DEP_1) | instskip(NEXT) | instid1(VALU_DEP_1)
	v_and_b32_e32 v5, 0x7fffffff, v6
	v_cmpx_gt_u32_e32 0x43800000, v5
	s_cbranch_execz .LBB31_1937
; %bb.1932:
	v_and_b32_e32 v4, 0xffff, v1
	v_cmp_lt_u32_e32 vcc_lo, 0x3bffffff, v5
	s_mov_b32 s12, 0
                                        ; implicit-def: $vgpr5
	s_and_saveexec_b32 s13, vcc_lo
	s_delay_alu instid0(SALU_CYCLE_1)
	s_xor_b32 s13, exec_lo, s13
	s_cbranch_execz .LBB31_2156
; %bb.1933:
	v_bfe_u32 v5, v4, 4, 1
	s_mov_b32 s12, exec_lo
	s_delay_alu instid0(VALU_DEP_1) | instskip(NEXT) | instid1(VALU_DEP_1)
	v_add3_u32 v5, v6, v5, 0x487ffff
                                        ; implicit-def: $vgpr6
	v_lshrrev_b32_e32 v5, 20, v5
	s_and_not1_saveexec_b32 s13, s13
	s_cbranch_execnz .LBB31_2157
.LBB31_1934:
	s_or_b32 exec_lo, exec_lo, s13
	v_mov_b32_e32 v7, 0
	s_and_saveexec_b32 s13, s12
.LBB31_1935:
	v_lshrrev_b32_e32 v4, 8, v4
	s_delay_alu instid0(VALU_DEP_1)
	v_and_or_b32 v7, 0x80, v4, v5
.LBB31_1936:
	s_or_b32 exec_lo, exec_lo, s13
.LBB31_1937:
	s_delay_alu instid0(SALU_CYCLE_1)
	s_or_b32 exec_lo, exec_lo, s11
	global_store_b8 v[2:3], v7, off
.LBB31_1938:
	s_mov_b32 s11, -1
.LBB31_1939:
	s_mov_b32 s12, 0
.LBB31_1940:
	s_delay_alu instid0(SALU_CYCLE_1)
	s_and_b32 vcc_lo, exec_lo, s12
	s_cbranch_vccz .LBB31_1980
; %bb.1941:
	s_cmp_gt_i32 s1, 22
	s_mov_b32 s7, -1
	s_cbranch_scc0 .LBB31_1973
; %bb.1942:
	s_cmp_lt_i32 s1, 24
	s_cbranch_scc1 .LBB31_1962
; %bb.1943:
	s_cmp_gt_i32 s1, 24
	s_cbranch_scc0 .LBB31_1951
; %bb.1944:
	s_wait_xcnt 0x0
	v_dual_mov_b32 v7, 0x80 :: v_dual_lshlrev_b32 v6, 16, v1
	s_mov_b32 s7, exec_lo
	s_delay_alu instid0(VALU_DEP_1) | instskip(NEXT) | instid1(VALU_DEP_1)
	v_and_b32_e32 v5, 0x7fffffff, v6
	v_cmpx_gt_u32_e32 0x47800000, v5
	s_cbranch_execz .LBB31_1950
; %bb.1945:
	v_and_b32_e32 v4, 0xffff, v1
	v_cmp_lt_u32_e32 vcc_lo, 0x37ffffff, v5
	s_mov_b32 s11, 0
                                        ; implicit-def: $vgpr5
	s_and_saveexec_b32 s12, vcc_lo
	s_delay_alu instid0(SALU_CYCLE_1)
	s_xor_b32 s12, exec_lo, s12
	s_cbranch_execz .LBB31_2159
; %bb.1946:
	v_bfe_u32 v5, v4, 5, 1
	s_mov_b32 s11, exec_lo
	s_delay_alu instid0(VALU_DEP_1) | instskip(NEXT) | instid1(VALU_DEP_1)
	v_add3_u32 v5, v6, v5, 0x88fffff
                                        ; implicit-def: $vgpr6
	v_lshrrev_b32_e32 v5, 21, v5
	s_and_not1_saveexec_b32 s12, s12
	s_cbranch_execnz .LBB31_2160
.LBB31_1947:
	s_or_b32 exec_lo, exec_lo, s12
	v_mov_b32_e32 v7, 0
	s_and_saveexec_b32 s12, s11
.LBB31_1948:
	v_lshrrev_b32_e32 v4, 8, v4
	s_delay_alu instid0(VALU_DEP_1)
	v_and_or_b32 v7, 0x80, v4, v5
.LBB31_1949:
	s_or_b32 exec_lo, exec_lo, s12
.LBB31_1950:
	s_delay_alu instid0(SALU_CYCLE_1)
	s_or_b32 exec_lo, exec_lo, s7
	s_mov_b32 s7, 0
	global_store_b8 v[2:3], v7, off
.LBB31_1951:
	s_and_b32 vcc_lo, exec_lo, s7
	s_cbranch_vccz .LBB31_1961
; %bb.1952:
	v_lshlrev_b32_e32 v6, 16, v1
	s_wait_xcnt 0x0
	v_and_b32_e32 v4, 0xffff, v1
	s_mov_b32 s7, exec_lo
                                        ; implicit-def: $vgpr5
	s_delay_alu instid0(VALU_DEP_2) | instskip(NEXT) | instid1(VALU_DEP_1)
	v_and_b32_e32 v7, 0x7fffffff, v6
	v_cmpx_gt_u32_e32 0x43f00000, v7
	s_xor_b32 s7, exec_lo, s7
	s_cbranch_execz .LBB31_1958
; %bb.1953:
	s_mov_b32 s11, exec_lo
                                        ; implicit-def: $vgpr5
	v_cmpx_lt_u32_e32 0x3c7fffff, v7
	s_xor_b32 s11, exec_lo, s11
; %bb.1954:
	v_bfe_u32 v5, v4, 4, 1
	s_delay_alu instid0(VALU_DEP_1) | instskip(NEXT) | instid1(VALU_DEP_1)
	v_add3_u32 v5, v6, v5, 0x407ffff
	v_and_b32_e32 v6, 0xff00000, v5
	v_lshrrev_b32_e32 v5, 20, v5
	s_delay_alu instid0(VALU_DEP_2) | instskip(NEXT) | instid1(VALU_DEP_2)
	v_cmp_ne_u32_e32 vcc_lo, 0x7f00000, v6
                                        ; implicit-def: $vgpr6
	v_cndmask_b32_e32 v5, 0x7e, v5, vcc_lo
; %bb.1955:
	s_and_not1_saveexec_b32 s11, s11
; %bb.1956:
	v_add_f32_e64 v5, 0x46800000, |v6|
; %bb.1957:
	s_or_b32 exec_lo, exec_lo, s11
                                        ; implicit-def: $vgpr7
.LBB31_1958:
	s_and_not1_saveexec_b32 s7, s7
; %bb.1959:
	v_mov_b32_e32 v5, 0x7f
	v_cmp_lt_u32_e32 vcc_lo, 0x7f800000, v7
	s_delay_alu instid0(VALU_DEP_2)
	v_cndmask_b32_e32 v5, 0x7e, v5, vcc_lo
; %bb.1960:
	s_or_b32 exec_lo, exec_lo, s7
	v_lshrrev_b32_e32 v4, 8, v4
	s_delay_alu instid0(VALU_DEP_1)
	v_and_or_b32 v4, 0x80, v4, v5
	global_store_b8 v[2:3], v4, off
.LBB31_1961:
	s_mov_b32 s7, 0
.LBB31_1962:
	s_delay_alu instid0(SALU_CYCLE_1)
	s_and_not1_b32 vcc_lo, exec_lo, s7
	s_cbranch_vccnz .LBB31_1972
; %bb.1963:
	v_lshlrev_b32_e32 v6, 16, v1
	s_wait_xcnt 0x0
	v_and_b32_e32 v4, 0xffff, v1
	s_mov_b32 s7, exec_lo
                                        ; implicit-def: $vgpr5
	s_delay_alu instid0(VALU_DEP_2) | instskip(NEXT) | instid1(VALU_DEP_1)
	v_and_b32_e32 v7, 0x7fffffff, v6
	v_cmpx_gt_u32_e32 0x47800000, v7
	s_xor_b32 s7, exec_lo, s7
	s_cbranch_execz .LBB31_1969
; %bb.1964:
	s_mov_b32 s11, exec_lo
                                        ; implicit-def: $vgpr5
	v_cmpx_lt_u32_e32 0x387fffff, v7
	s_xor_b32 s11, exec_lo, s11
; %bb.1965:
	v_bfe_u32 v5, v4, 5, 1
	s_delay_alu instid0(VALU_DEP_1) | instskip(NEXT) | instid1(VALU_DEP_1)
	v_add3_u32 v5, v6, v5, 0x80fffff
                                        ; implicit-def: $vgpr6
	v_lshrrev_b32_e32 v5, 21, v5
; %bb.1966:
	s_and_not1_saveexec_b32 s11, s11
; %bb.1967:
	v_add_f32_e64 v5, 0x43000000, |v6|
; %bb.1968:
	s_or_b32 exec_lo, exec_lo, s11
                                        ; implicit-def: $vgpr7
.LBB31_1969:
	s_and_not1_saveexec_b32 s7, s7
; %bb.1970:
	v_mov_b32_e32 v5, 0x7f
	v_cmp_lt_u32_e32 vcc_lo, 0x7f800000, v7
	s_delay_alu instid0(VALU_DEP_2)
	v_cndmask_b32_e32 v5, 0x7c, v5, vcc_lo
; %bb.1971:
	s_or_b32 exec_lo, exec_lo, s7
	v_lshrrev_b32_e32 v4, 8, v4
	s_delay_alu instid0(VALU_DEP_1)
	v_and_or_b32 v4, 0x80, v4, v5
	global_store_b8 v[2:3], v4, off
.LBB31_1972:
	s_mov_b32 s7, 0
	s_mov_b32 s11, -1
.LBB31_1973:
	s_and_not1_b32 vcc_lo, exec_lo, s7
	s_mov_b32 s7, 0
	s_cbranch_vccnz .LBB31_1980
; %bb.1974:
	s_cmp_gt_i32 s1, 14
	s_mov_b32 s7, -1
	s_cbranch_scc0 .LBB31_1978
; %bb.1975:
	s_cmp_eq_u32 s1, 15
	s_mov_b32 s0, -1
	s_cbranch_scc0 .LBB31_1977
; %bb.1976:
	s_mov_b32 s0, 0
	s_mov_b32 s11, -1
	global_store_b16 v[2:3], v1, off
.LBB31_1977:
	s_mov_b32 s7, 0
.LBB31_1978:
	s_delay_alu instid0(SALU_CYCLE_1)
	s_and_b32 vcc_lo, exec_lo, s7
	s_mov_b32 s7, 0
	s_cbranch_vccz .LBB31_1980
; %bb.1979:
	s_cmp_lg_u32 s1, 11
	s_mov_b32 s7, -1
	s_cselect_b32 s0, -1, 0
.LBB31_1980:
	s_delay_alu instid0(SALU_CYCLE_1)
	s_and_b32 vcc_lo, exec_lo, s0
	s_cbranch_vccnz .LBB31_2158
; %bb.1981:
	s_and_not1_b32 vcc_lo, exec_lo, s7
	s_cbranch_vccnz .LBB31_1983
.LBB31_1982:
	s_wait_xcnt 0x0
	v_and_b32_e32 v4, 0x7fff, v1
	s_mov_b32 s11, -1
	s_delay_alu instid0(VALU_DEP_1)
	v_cmp_ne_u16_e32 vcc_lo, 0, v4
	v_cndmask_b32_e64 v4, 0, 1, vcc_lo
	global_store_b8 v[2:3], v4, off
.LBB31_1983:
.LBB31_1984:
	s_and_not1_b32 vcc_lo, exec_lo, s11
	s_cbranch_vccnz .LBB31_2100
.LBB31_1985:
	s_wait_xcnt 0x0
	v_dual_mov_b32 v1, 0 :: v_dual_lshlrev_b32 v2, 16, v10
	s_delay_alu instid0(VALU_DEP_1) | instskip(SKIP_1) | instid1(VALU_DEP_3)
	v_cmp_nle_f32_e32 vcc_lo, s3, v2
	v_cmp_nge_f32_e64 s0, s2, v2
	v_add_nc_u64_e32 v[2:3], s[4:5], v[0:1]
	s_mov_b32 s2, 0
	s_or_b32 vcc_lo, s0, vcc_lo
	s_cmp_lt_i32 s1, 11
	v_cndmask_b32_e32 v1, 0, v10, vcc_lo
	s_mov_b32 s0, -1
	s_cbranch_scc1 .LBB31_2101
; %bb.1986:
	s_mov_b32 s3, -1
	s_cmp_gt_i32 s1, 25
	s_mov_b32 s0, 0
	s_cbranch_scc0 .LBB31_2019
; %bb.1987:
	s_cmp_gt_i32 s1, 28
	s_cbranch_scc0 .LBB31_2003
; %bb.1988:
	s_cmp_gt_i32 s1, 43
	;; [unrolled: 3-line block ×3, first 2 shown]
	s_cbranch_scc0 .LBB31_1993
; %bb.1990:
	s_cmp_eq_u32 s1, 46
	s_mov_b32 s0, -1
	s_cbranch_scc0 .LBB31_1992
; %bb.1991:
	v_and_b32_e32 v0, 0xffff, v1
	s_mov_b32 s0, 0
	global_store_b32 v[2:3], v0, off
.LBB31_1992:
	s_mov_b32 s3, 0
.LBB31_1993:
	s_delay_alu instid0(SALU_CYCLE_1)
	s_and_b32 vcc_lo, exec_lo, s3
	s_cbranch_vccz .LBB31_1998
; %bb.1994:
	s_cmp_eq_u32 s1, 44
	s_mov_b32 s0, -1
	s_cbranch_scc0 .LBB31_1998
; %bb.1995:
	s_wait_xcnt 0x0
	v_and_b32_e32 v0, 0xffff, v1
	v_mov_b32_e32 v4, 0xff
	s_mov_b32 s3, exec_lo
	s_delay_alu instid0(VALU_DEP_2) | instskip(NEXT) | instid1(VALU_DEP_1)
	v_bfe_u32 v5, v0, 7, 8
	v_cmpx_ne_u32_e32 0xff, v5
	s_cbranch_execz .LBB31_1997
; %bb.1996:
	v_dual_lshlrev_b32 v4, 16, v0 :: v_dual_bitop2_b32 v6, 64, v0 bitop3:0x40
	v_lshrrev_b32_e32 v0, 7, v0
	s_delay_alu instid0(VALU_DEP_2) | instskip(NEXT) | instid1(VALU_DEP_3)
	v_and_or_b32 v4, 0x3f0000, v4, v5
	v_cmp_ne_u32_e32 vcc_lo, 0, v6
	s_delay_alu instid0(VALU_DEP_2) | instskip(SKIP_1) | instid1(SALU_CYCLE_1)
	v_cmp_ne_u32_e64 s0, 0, v4
	s_and_b32 s0, vcc_lo, s0
	v_cndmask_b32_e64 v4, 0, 1, s0
	s_delay_alu instid0(VALU_DEP_1)
	v_add_nc_u32_e32 v4, v0, v4
.LBB31_1997:
	s_or_b32 exec_lo, exec_lo, s3
	s_mov_b32 s0, 0
	global_store_b8 v[2:3], v4, off
.LBB31_1998:
	s_mov_b32 s3, 0
.LBB31_1999:
	s_delay_alu instid0(SALU_CYCLE_1)
	s_and_b32 vcc_lo, exec_lo, s3
	s_cbranch_vccz .LBB31_2002
; %bb.2000:
	s_cmp_eq_u32 s1, 29
	s_mov_b32 s0, -1
	s_cbranch_scc0 .LBB31_2002
; %bb.2001:
	s_wait_xcnt 0x0
	v_lshlrev_b32_e32 v0, 16, v1
	s_mov_b32 s0, 0
	s_delay_alu instid0(VALU_DEP_1) | instskip(NEXT) | instid1(VALU_DEP_1)
	v_trunc_f32_e32 v0, v0
	v_mul_f32_e32 v4, 0x2f800000, v0
	s_delay_alu instid0(VALU_DEP_1) | instskip(NEXT) | instid1(VALU_DEP_1)
	v_floor_f32_e32 v4, v4
	v_fmamk_f32 v0, v4, 0xcf800000, v0
	v_cvt_u32_f32_e32 v5, v4
	s_delay_alu instid0(VALU_DEP_2)
	v_cvt_u32_f32_e32 v4, v0
	global_store_b64 v[2:3], v[4:5], off
.LBB31_2002:
	s_mov_b32 s3, 0
.LBB31_2003:
	s_delay_alu instid0(SALU_CYCLE_1)
	s_and_b32 vcc_lo, exec_lo, s3
	s_cbranch_vccz .LBB31_2018
; %bb.2004:
	s_cmp_lt_i32 s1, 27
	s_mov_b32 s3, -1
	s_cbranch_scc1 .LBB31_2010
; %bb.2005:
	s_cmp_gt_i32 s1, 27
	s_cbranch_scc0 .LBB31_2007
; %bb.2006:
	s_wait_xcnt 0x0
	v_lshlrev_b32_e32 v0, 16, v1
	s_mov_b32 s3, 0
	s_delay_alu instid0(VALU_DEP_1)
	v_cvt_u32_f32_e32 v0, v0
	global_store_b32 v[2:3], v0, off
.LBB31_2007:
	s_and_not1_b32 vcc_lo, exec_lo, s3
	s_cbranch_vccnz .LBB31_2009
; %bb.2008:
	s_wait_xcnt 0x0
	v_lshlrev_b32_e32 v0, 16, v1
	s_delay_alu instid0(VALU_DEP_1)
	v_cvt_u32_f32_e32 v0, v0
	global_store_b16 v[2:3], v0, off
.LBB31_2009:
	s_mov_b32 s3, 0
.LBB31_2010:
	s_delay_alu instid0(SALU_CYCLE_1)
	s_and_not1_b32 vcc_lo, exec_lo, s3
	s_cbranch_vccnz .LBB31_2018
; %bb.2011:
	s_wait_xcnt 0x0
	v_dual_mov_b32 v6, 0x80 :: v_dual_lshlrev_b32 v5, 16, v1
	s_mov_b32 s3, exec_lo
	s_delay_alu instid0(VALU_DEP_1) | instskip(NEXT) | instid1(VALU_DEP_1)
	v_and_b32_e32 v4, 0x7fffffff, v5
	v_cmpx_gt_u32_e32 0x43800000, v4
	s_cbranch_execz .LBB31_2017
; %bb.2012:
	v_and_b32_e32 v0, 0xffff, v1
	v_cmp_lt_u32_e32 vcc_lo, 0x3bffffff, v4
	s_mov_b32 s4, 0
                                        ; implicit-def: $vgpr4
	s_and_saveexec_b32 s5, vcc_lo
	s_delay_alu instid0(SALU_CYCLE_1)
	s_xor_b32 s5, exec_lo, s5
	s_cbranch_execz .LBB31_2161
; %bb.2013:
	v_bfe_u32 v4, v0, 4, 1
	s_mov_b32 s4, exec_lo
	s_delay_alu instid0(VALU_DEP_1) | instskip(NEXT) | instid1(VALU_DEP_1)
	v_add3_u32 v4, v5, v4, 0x487ffff
                                        ; implicit-def: $vgpr5
	v_lshrrev_b32_e32 v4, 20, v4
	s_and_not1_saveexec_b32 s5, s5
	s_cbranch_execnz .LBB31_2162
.LBB31_2014:
	s_or_b32 exec_lo, exec_lo, s5
	v_mov_b32_e32 v6, 0
	s_and_saveexec_b32 s5, s4
.LBB31_2015:
	v_lshrrev_b32_e32 v0, 8, v0
	s_delay_alu instid0(VALU_DEP_1)
	v_and_or_b32 v6, 0x80, v0, v4
.LBB31_2016:
	s_or_b32 exec_lo, exec_lo, s5
.LBB31_2017:
	s_delay_alu instid0(SALU_CYCLE_1)
	s_or_b32 exec_lo, exec_lo, s3
	global_store_b8 v[2:3], v6, off
.LBB31_2018:
	s_mov_b32 s3, 0
.LBB31_2019:
	s_delay_alu instid0(SALU_CYCLE_1)
	s_and_b32 vcc_lo, exec_lo, s3
	s_cbranch_vccz .LBB31_2059
; %bb.2020:
	s_cmp_gt_i32 s1, 22
	s_mov_b32 s2, -1
	s_cbranch_scc0 .LBB31_2052
; %bb.2021:
	s_cmp_lt_i32 s1, 24
	s_cbranch_scc1 .LBB31_2041
; %bb.2022:
	s_cmp_gt_i32 s1, 24
	s_cbranch_scc0 .LBB31_2030
; %bb.2023:
	s_wait_xcnt 0x0
	v_dual_mov_b32 v6, 0x80 :: v_dual_lshlrev_b32 v5, 16, v1
	s_mov_b32 s2, exec_lo
	s_delay_alu instid0(VALU_DEP_1) | instskip(NEXT) | instid1(VALU_DEP_1)
	v_and_b32_e32 v4, 0x7fffffff, v5
	v_cmpx_gt_u32_e32 0x47800000, v4
	s_cbranch_execz .LBB31_2029
; %bb.2024:
	v_and_b32_e32 v0, 0xffff, v1
	v_cmp_lt_u32_e32 vcc_lo, 0x37ffffff, v4
	s_mov_b32 s3, 0
                                        ; implicit-def: $vgpr4
	s_and_saveexec_b32 s4, vcc_lo
	s_delay_alu instid0(SALU_CYCLE_1)
	s_xor_b32 s4, exec_lo, s4
	s_cbranch_execz .LBB31_2164
; %bb.2025:
	v_bfe_u32 v4, v0, 5, 1
	s_mov_b32 s3, exec_lo
	s_delay_alu instid0(VALU_DEP_1) | instskip(NEXT) | instid1(VALU_DEP_1)
	v_add3_u32 v4, v5, v4, 0x88fffff
                                        ; implicit-def: $vgpr5
	v_lshrrev_b32_e32 v4, 21, v4
	s_and_not1_saveexec_b32 s4, s4
	s_cbranch_execnz .LBB31_2165
.LBB31_2026:
	s_or_b32 exec_lo, exec_lo, s4
	v_mov_b32_e32 v6, 0
	s_and_saveexec_b32 s4, s3
.LBB31_2027:
	v_lshrrev_b32_e32 v0, 8, v0
	s_delay_alu instid0(VALU_DEP_1)
	v_and_or_b32 v6, 0x80, v0, v4
.LBB31_2028:
	s_or_b32 exec_lo, exec_lo, s4
.LBB31_2029:
	s_delay_alu instid0(SALU_CYCLE_1)
	s_or_b32 exec_lo, exec_lo, s2
	s_mov_b32 s2, 0
	global_store_b8 v[2:3], v6, off
.LBB31_2030:
	s_and_b32 vcc_lo, exec_lo, s2
	s_cbranch_vccz .LBB31_2040
; %bb.2031:
	s_wait_xcnt 0x0
	v_lshlrev_b32_e32 v5, 16, v1
	v_and_b32_e32 v0, 0xffff, v1
	s_mov_b32 s2, exec_lo
                                        ; implicit-def: $vgpr4
	s_delay_alu instid0(VALU_DEP_2) | instskip(NEXT) | instid1(VALU_DEP_1)
	v_and_b32_e32 v6, 0x7fffffff, v5
	v_cmpx_gt_u32_e32 0x43f00000, v6
	s_xor_b32 s2, exec_lo, s2
	s_cbranch_execz .LBB31_2037
; %bb.2032:
	s_mov_b32 s3, exec_lo
                                        ; implicit-def: $vgpr4
	v_cmpx_lt_u32_e32 0x3c7fffff, v6
	s_xor_b32 s3, exec_lo, s3
; %bb.2033:
	v_bfe_u32 v4, v0, 4, 1
	s_delay_alu instid0(VALU_DEP_1) | instskip(NEXT) | instid1(VALU_DEP_1)
	v_add3_u32 v4, v5, v4, 0x407ffff
	v_and_b32_e32 v5, 0xff00000, v4
	v_lshrrev_b32_e32 v4, 20, v4
	s_delay_alu instid0(VALU_DEP_2) | instskip(NEXT) | instid1(VALU_DEP_2)
	v_cmp_ne_u32_e32 vcc_lo, 0x7f00000, v5
                                        ; implicit-def: $vgpr5
	v_cndmask_b32_e32 v4, 0x7e, v4, vcc_lo
; %bb.2034:
	s_and_not1_saveexec_b32 s3, s3
; %bb.2035:
	v_add_f32_e64 v4, 0x46800000, |v5|
; %bb.2036:
	s_or_b32 exec_lo, exec_lo, s3
                                        ; implicit-def: $vgpr6
.LBB31_2037:
	s_and_not1_saveexec_b32 s2, s2
; %bb.2038:
	v_mov_b32_e32 v4, 0x7f
	v_cmp_lt_u32_e32 vcc_lo, 0x7f800000, v6
	s_delay_alu instid0(VALU_DEP_2)
	v_cndmask_b32_e32 v4, 0x7e, v4, vcc_lo
; %bb.2039:
	s_or_b32 exec_lo, exec_lo, s2
	v_lshrrev_b32_e32 v0, 8, v0
	s_delay_alu instid0(VALU_DEP_1)
	v_and_or_b32 v0, 0x80, v0, v4
	global_store_b8 v[2:3], v0, off
.LBB31_2040:
	s_mov_b32 s2, 0
.LBB31_2041:
	s_delay_alu instid0(SALU_CYCLE_1)
	s_and_not1_b32 vcc_lo, exec_lo, s2
	s_cbranch_vccnz .LBB31_2051
; %bb.2042:
	s_wait_xcnt 0x0
	v_lshlrev_b32_e32 v5, 16, v1
	v_and_b32_e32 v0, 0xffff, v1
	s_mov_b32 s2, exec_lo
                                        ; implicit-def: $vgpr4
	s_delay_alu instid0(VALU_DEP_2) | instskip(NEXT) | instid1(VALU_DEP_1)
	v_and_b32_e32 v6, 0x7fffffff, v5
	v_cmpx_gt_u32_e32 0x47800000, v6
	s_xor_b32 s2, exec_lo, s2
	s_cbranch_execz .LBB31_2048
; %bb.2043:
	s_mov_b32 s3, exec_lo
                                        ; implicit-def: $vgpr4
	v_cmpx_lt_u32_e32 0x387fffff, v6
	s_xor_b32 s3, exec_lo, s3
; %bb.2044:
	v_bfe_u32 v4, v0, 5, 1
	s_delay_alu instid0(VALU_DEP_1) | instskip(NEXT) | instid1(VALU_DEP_1)
	v_add3_u32 v4, v5, v4, 0x80fffff
                                        ; implicit-def: $vgpr5
	v_lshrrev_b32_e32 v4, 21, v4
; %bb.2045:
	s_and_not1_saveexec_b32 s3, s3
; %bb.2046:
	v_add_f32_e64 v4, 0x43000000, |v5|
; %bb.2047:
	s_or_b32 exec_lo, exec_lo, s3
                                        ; implicit-def: $vgpr6
.LBB31_2048:
	s_and_not1_saveexec_b32 s2, s2
; %bb.2049:
	v_mov_b32_e32 v4, 0x7f
	v_cmp_lt_u32_e32 vcc_lo, 0x7f800000, v6
	s_delay_alu instid0(VALU_DEP_2)
	v_cndmask_b32_e32 v4, 0x7c, v4, vcc_lo
; %bb.2050:
	s_or_b32 exec_lo, exec_lo, s2
	v_lshrrev_b32_e32 v0, 8, v0
	s_delay_alu instid0(VALU_DEP_1)
	v_and_or_b32 v0, 0x80, v0, v4
	global_store_b8 v[2:3], v0, off
.LBB31_2051:
	s_mov_b32 s2, 0
.LBB31_2052:
	s_delay_alu instid0(SALU_CYCLE_1)
	s_and_not1_b32 vcc_lo, exec_lo, s2
	s_mov_b32 s2, 0
	s_cbranch_vccnz .LBB31_2059
; %bb.2053:
	s_cmp_gt_i32 s1, 14
	s_mov_b32 s2, -1
	s_cbranch_scc0 .LBB31_2057
; %bb.2054:
	s_cmp_eq_u32 s1, 15
	s_mov_b32 s0, -1
	s_cbranch_scc0 .LBB31_2056
; %bb.2055:
	s_mov_b32 s0, 0
	global_store_b16 v[2:3], v1, off
.LBB31_2056:
	s_mov_b32 s2, 0
.LBB31_2057:
	s_delay_alu instid0(SALU_CYCLE_1)
	s_and_b32 vcc_lo, exec_lo, s2
	s_mov_b32 s2, 0
	s_cbranch_vccz .LBB31_2059
; %bb.2058:
	s_cmp_lg_u32 s1, 11
	s_mov_b32 s2, -1
	s_cselect_b32 s0, -1, 0
.LBB31_2059:
	s_delay_alu instid0(SALU_CYCLE_1)
	s_and_b32 vcc_lo, exec_lo, s0
	s_cbranch_vccnz .LBB31_2163
.LBB31_2060:
	s_mov_b32 s0, 0
	s_branch .LBB31_2101
.LBB31_2061:
	s_and_b32 vcc_lo, exec_lo, s0
	s_cbranch_vccz .LBB31_1984
; %bb.2062:
	s_cmp_lt_i32 s1, 5
	s_mov_b32 s0, -1
	s_cbranch_scc1 .LBB31_2083
; %bb.2063:
	s_cmp_lt_i32 s1, 8
	s_cbranch_scc1 .LBB31_2073
; %bb.2064:
	s_cmp_lt_i32 s1, 9
	s_cbranch_scc1 .LBB31_2070
; %bb.2065:
	s_cmp_gt_i32 s1, 9
	s_cbranch_scc0 .LBB31_2067
; %bb.2066:
	s_wait_xcnt 0x0
	v_dual_lshlrev_b32 v4, 16, v1 :: v_dual_mov_b32 v6, 0
	s_mov_b32 s0, 0
	s_delay_alu instid0(VALU_DEP_1) | instskip(NEXT) | instid1(VALU_DEP_2)
	v_cvt_f64_f32_e32 v[4:5], v4
	v_mov_b32_e32 v7, v6
	global_store_b128 v[2:3], v[4:7], off
.LBB31_2067:
	s_and_not1_b32 vcc_lo, exec_lo, s0
	s_cbranch_vccnz .LBB31_2069
; %bb.2068:
	s_wait_xcnt 0x0
	v_dual_mov_b32 v5, 0 :: v_dual_lshlrev_b32 v4, 16, v1
	global_store_b64 v[2:3], v[4:5], off
.LBB31_2069:
	s_mov_b32 s0, 0
.LBB31_2070:
	s_delay_alu instid0(SALU_CYCLE_1)
	s_and_not1_b32 vcc_lo, exec_lo, s0
	s_cbranch_vccnz .LBB31_2072
; %bb.2071:
	s_wait_xcnt 0x0
	v_lshlrev_b32_e32 v4, 16, v1
	s_delay_alu instid0(VALU_DEP_1) | instskip(NEXT) | instid1(VALU_DEP_1)
	v_cvt_f16_f32_e32 v4, v4
	v_and_b32_e32 v4, 0xffff, v4
	global_store_b32 v[2:3], v4, off
.LBB31_2072:
	s_mov_b32 s0, 0
.LBB31_2073:
	s_delay_alu instid0(SALU_CYCLE_1)
	s_and_not1_b32 vcc_lo, exec_lo, s0
	s_cbranch_vccnz .LBB31_2082
; %bb.2074:
	s_cmp_lt_i32 s1, 6
	s_mov_b32 s0, -1
	s_cbranch_scc1 .LBB31_2080
; %bb.2075:
	s_cmp_gt_i32 s1, 6
	s_cbranch_scc0 .LBB31_2077
; %bb.2076:
	s_wait_xcnt 0x0
	v_lshlrev_b32_e32 v4, 16, v1
	s_mov_b32 s0, 0
	s_delay_alu instid0(VALU_DEP_1)
	v_cvt_f64_f32_e32 v[4:5], v4
	global_store_b64 v[2:3], v[4:5], off
.LBB31_2077:
	s_and_not1_b32 vcc_lo, exec_lo, s0
	s_cbranch_vccnz .LBB31_2079
; %bb.2078:
	s_wait_xcnt 0x0
	v_lshlrev_b32_e32 v4, 16, v1
	global_store_b32 v[2:3], v4, off
.LBB31_2079:
	s_mov_b32 s0, 0
.LBB31_2080:
	s_delay_alu instid0(SALU_CYCLE_1)
	s_and_not1_b32 vcc_lo, exec_lo, s0
	s_cbranch_vccnz .LBB31_2082
; %bb.2081:
	s_wait_xcnt 0x0
	v_lshlrev_b32_e32 v4, 16, v1
	s_delay_alu instid0(VALU_DEP_1)
	v_cvt_f16_f32_e32 v4, v4
	global_store_b16 v[2:3], v4, off
.LBB31_2082:
	s_mov_b32 s0, 0
.LBB31_2083:
	s_delay_alu instid0(SALU_CYCLE_1)
	s_and_not1_b32 vcc_lo, exec_lo, s0
	s_cbranch_vccnz .LBB31_2099
; %bb.2084:
	s_cmp_lt_i32 s1, 2
	s_mov_b32 s0, -1
	s_cbranch_scc1 .LBB31_2094
; %bb.2085:
	s_cmp_lt_i32 s1, 3
	s_cbranch_scc1 .LBB31_2091
; %bb.2086:
	s_cmp_gt_i32 s1, 3
	s_cbranch_scc0 .LBB31_2088
; %bb.2087:
	s_wait_xcnt 0x0
	v_lshlrev_b32_e32 v4, 16, v1
	s_mov_b32 s0, 0
	s_delay_alu instid0(VALU_DEP_1) | instskip(NEXT) | instid1(VALU_DEP_1)
	v_trunc_f32_e32 v4, v4
	v_mul_f32_e64 v5, 0x2f800000, |v4|
	s_delay_alu instid0(VALU_DEP_1) | instskip(NEXT) | instid1(VALU_DEP_1)
	v_floor_f32_e32 v5, v5
	v_fma_f32 v6, 0xcf800000, v5, |v4|
	v_ashrrev_i32_e32 v4, 31, v4
	v_cvt_u32_f32_e32 v7, v5
	s_delay_alu instid0(VALU_DEP_3) | instskip(NEXT) | instid1(VALU_DEP_2)
	v_cvt_u32_f32_e32 v6, v6
	v_dual_mov_b32 v5, v4 :: v_dual_bitop2_b32 v7, v7, v4 bitop3:0x14
	s_delay_alu instid0(VALU_DEP_2) | instskip(NEXT) | instid1(VALU_DEP_1)
	v_xor_b32_e32 v6, v6, v4
	v_sub_nc_u64_e32 v[4:5], v[6:7], v[4:5]
	global_store_b64 v[2:3], v[4:5], off
.LBB31_2088:
	s_and_not1_b32 vcc_lo, exec_lo, s0
	s_cbranch_vccnz .LBB31_2090
; %bb.2089:
	s_wait_xcnt 0x0
	v_lshlrev_b32_e32 v4, 16, v1
	s_delay_alu instid0(VALU_DEP_1)
	v_cvt_i32_f32_e32 v4, v4
	global_store_b32 v[2:3], v4, off
.LBB31_2090:
	s_mov_b32 s0, 0
.LBB31_2091:
	s_delay_alu instid0(SALU_CYCLE_1)
	s_and_not1_b32 vcc_lo, exec_lo, s0
	s_cbranch_vccnz .LBB31_2093
; %bb.2092:
	s_wait_xcnt 0x0
	v_lshlrev_b32_e32 v4, 16, v1
	s_delay_alu instid0(VALU_DEP_1)
	v_cvt_i32_f32_e32 v4, v4
	global_store_b16 v[2:3], v4, off
.LBB31_2093:
	s_mov_b32 s0, 0
.LBB31_2094:
	s_delay_alu instid0(SALU_CYCLE_1)
	s_and_not1_b32 vcc_lo, exec_lo, s0
	s_cbranch_vccnz .LBB31_2099
; %bb.2095:
	s_cmp_gt_i32 s1, 0
	s_mov_b32 s0, -1
	s_cbranch_scc0 .LBB31_2097
; %bb.2096:
	s_wait_xcnt 0x0
	v_lshlrev_b32_e32 v4, 16, v1
	s_mov_b32 s0, 0
	s_delay_alu instid0(VALU_DEP_1)
	v_cvt_i32_f32_e32 v4, v4
	global_store_b8 v[2:3], v4, off
.LBB31_2097:
	s_and_not1_b32 vcc_lo, exec_lo, s0
	s_cbranch_vccnz .LBB31_2099
; %bb.2098:
	s_wait_xcnt 0x0
	v_lshlrev_b32_e32 v1, 16, v1
	s_delay_alu instid0(VALU_DEP_1) | instskip(NEXT) | instid1(VALU_DEP_1)
	v_trunc_f32_e32 v1, v1
	v_mul_f32_e64 v4, 0x2f800000, |v1|
	s_delay_alu instid0(VALU_DEP_1) | instskip(NEXT) | instid1(VALU_DEP_1)
	v_floor_f32_e32 v4, v4
	v_fma_f32 v4, 0xcf800000, v4, |v1|
	v_ashrrev_i32_e32 v1, 31, v1
	s_delay_alu instid0(VALU_DEP_2) | instskip(NEXT) | instid1(VALU_DEP_1)
	v_cvt_u32_f32_e32 v4, v4
	v_xor_b32_e32 v4, v4, v1
	s_delay_alu instid0(VALU_DEP_1)
	v_sub_nc_u32_e32 v1, v4, v1
	global_store_b8 v[2:3], v1, off
.LBB31_2099:
	s_branch .LBB31_1985
.LBB31_2100:
	s_mov_b32 s0, 0
	s_mov_b32 s2, 0
                                        ; implicit-def: $vgpr2_vgpr3
                                        ; implicit-def: $sgpr6
                                        ; implicit-def: $vgpr1
.LBB31_2101:
	s_and_not1_b32 s1, s8, exec_lo
	s_and_b32 s3, s10, exec_lo
	s_and_b32 s0, s0, exec_lo
	;; [unrolled: 1-line block ×3, first 2 shown]
	s_or_b32 s8, s1, s3
.LBB31_2102:
	s_wait_xcnt 0x0
	s_or_b32 exec_lo, exec_lo, s9
	s_and_saveexec_b32 s1, s8
	s_cbranch_execz .LBB31_2105
; %bb.2103:
	; divergent unreachable
	s_or_b32 exec_lo, exec_lo, s1
	s_and_saveexec_b32 s1, s30
	s_delay_alu instid0(SALU_CYCLE_1)
	s_xor_b32 s1, exec_lo, s1
	s_cbranch_execnz .LBB31_2106
.LBB31_2104:
	s_or_b32 exec_lo, exec_lo, s1
	s_and_saveexec_b32 s1, s0
	s_cbranch_execnz .LBB31_2107
	s_branch .LBB31_2144
.LBB31_2105:
	s_or_b32 exec_lo, exec_lo, s1
	s_and_saveexec_b32 s1, s30
	s_delay_alu instid0(SALU_CYCLE_1)
	s_xor_b32 s1, exec_lo, s1
	s_cbranch_execz .LBB31_2104
.LBB31_2106:
	s_wait_loadcnt 0x0
	v_and_b32_e32 v0, 0x7fff, v1
	s_delay_alu instid0(VALU_DEP_1)
	v_cmp_ne_u16_e32 vcc_lo, 0, v0
	v_cndmask_b32_e64 v0, 0, 1, vcc_lo
	global_store_b8 v[2:3], v0, off
	s_wait_xcnt 0x0
	s_or_b32 exec_lo, exec_lo, s1
	s_and_saveexec_b32 s1, s0
	s_cbranch_execz .LBB31_2144
.LBB31_2107:
	s_sext_i32_i16 s1, s6
	s_mov_b32 s0, -1
	s_cmp_lt_i32 s1, 5
	s_cbranch_scc1 .LBB31_2128
; %bb.2108:
	s_cmp_lt_i32 s1, 8
	s_cbranch_scc1 .LBB31_2118
; %bb.2109:
	;; [unrolled: 3-line block ×3, first 2 shown]
	s_cmp_gt_i32 s1, 9
	s_cbranch_scc0 .LBB31_2112
; %bb.2111:
	s_wait_loadcnt 0x0
	v_dual_lshlrev_b32 v0, 16, v1 :: v_dual_mov_b32 v6, 0
	s_mov_b32 s0, 0
	s_delay_alu instid0(VALU_DEP_1) | instskip(NEXT) | instid1(VALU_DEP_2)
	v_cvt_f64_f32_e32 v[4:5], v0
	v_mov_b32_e32 v7, v6
	global_store_b128 v[2:3], v[4:7], off
.LBB31_2112:
	s_and_not1_b32 vcc_lo, exec_lo, s0
	s_cbranch_vccnz .LBB31_2114
; %bb.2113:
	s_wait_loadcnt 0x0
	v_dual_mov_b32 v5, 0 :: v_dual_lshlrev_b32 v4, 16, v1
	global_store_b64 v[2:3], v[4:5], off
.LBB31_2114:
	s_mov_b32 s0, 0
.LBB31_2115:
	s_delay_alu instid0(SALU_CYCLE_1)
	s_and_not1_b32 vcc_lo, exec_lo, s0
	s_cbranch_vccnz .LBB31_2117
; %bb.2116:
	s_wait_loadcnt 0x0
	v_lshlrev_b32_e32 v0, 16, v1
	s_delay_alu instid0(VALU_DEP_1) | instskip(NEXT) | instid1(VALU_DEP_1)
	v_cvt_f16_f32_e32 v0, v0
	v_and_b32_e32 v0, 0xffff, v0
	global_store_b32 v[2:3], v0, off
.LBB31_2117:
	s_mov_b32 s0, 0
.LBB31_2118:
	s_delay_alu instid0(SALU_CYCLE_1)
	s_and_not1_b32 vcc_lo, exec_lo, s0
	s_cbranch_vccnz .LBB31_2127
; %bb.2119:
	s_sext_i32_i16 s1, s6
	s_mov_b32 s0, -1
	s_cmp_lt_i32 s1, 6
	s_cbranch_scc1 .LBB31_2125
; %bb.2120:
	s_cmp_gt_i32 s1, 6
	s_cbranch_scc0 .LBB31_2122
; %bb.2121:
	s_wait_loadcnt 0x0
	v_lshlrev_b32_e32 v0, 16, v1
	s_mov_b32 s0, 0
	s_delay_alu instid0(VALU_DEP_1)
	v_cvt_f64_f32_e32 v[4:5], v0
	global_store_b64 v[2:3], v[4:5], off
.LBB31_2122:
	s_and_not1_b32 vcc_lo, exec_lo, s0
	s_cbranch_vccnz .LBB31_2124
; %bb.2123:
	s_wait_loadcnt 0x0
	v_lshlrev_b32_e32 v0, 16, v1
	global_store_b32 v[2:3], v0, off
.LBB31_2124:
	s_mov_b32 s0, 0
.LBB31_2125:
	s_delay_alu instid0(SALU_CYCLE_1)
	s_and_not1_b32 vcc_lo, exec_lo, s0
	s_cbranch_vccnz .LBB31_2127
; %bb.2126:
	s_wait_loadcnt 0x0
	v_lshlrev_b32_e32 v0, 16, v1
	s_delay_alu instid0(VALU_DEP_1)
	v_cvt_f16_f32_e32 v0, v0
	global_store_b16 v[2:3], v0, off
.LBB31_2127:
	s_mov_b32 s0, 0
.LBB31_2128:
	s_delay_alu instid0(SALU_CYCLE_1)
	s_and_not1_b32 vcc_lo, exec_lo, s0
	s_cbranch_vccnz .LBB31_2144
; %bb.2129:
	s_sext_i32_i16 s1, s6
	s_mov_b32 s0, -1
	s_cmp_lt_i32 s1, 2
	s_cbranch_scc1 .LBB31_2139
; %bb.2130:
	s_cmp_lt_i32 s1, 3
	s_cbranch_scc1 .LBB31_2136
; %bb.2131:
	s_cmp_gt_i32 s1, 3
	s_cbranch_scc0 .LBB31_2133
; %bb.2132:
	s_wait_loadcnt 0x0
	v_lshlrev_b32_e32 v0, 16, v1
	s_mov_b32 s0, 0
	s_delay_alu instid0(VALU_DEP_1) | instskip(NEXT) | instid1(VALU_DEP_1)
	v_trunc_f32_e32 v0, v0
	v_mul_f32_e64 v4, 0x2f800000, |v0|
	s_delay_alu instid0(VALU_DEP_1) | instskip(SKIP_1) | instid1(VALU_DEP_2)
	v_floor_f32_e32 v5, v4
	v_ashrrev_i32_e32 v4, 31, v0
	v_fma_f32 v6, 0xcf800000, v5, |v0|
	v_cvt_u32_f32_e32 v0, v5
	s_delay_alu instid0(VALU_DEP_3) | instskip(NEXT) | instid1(VALU_DEP_3)
	v_mov_b32_e32 v5, v4
	v_cvt_u32_f32_e32 v6, v6
	s_delay_alu instid0(VALU_DEP_3) | instskip(NEXT) | instid1(VALU_DEP_2)
	v_xor_b32_e32 v7, v0, v4
	v_xor_b32_e32 v6, v6, v4
	s_delay_alu instid0(VALU_DEP_1)
	v_sub_nc_u64_e32 v[4:5], v[6:7], v[4:5]
	global_store_b64 v[2:3], v[4:5], off
.LBB31_2133:
	s_and_not1_b32 vcc_lo, exec_lo, s0
	s_cbranch_vccnz .LBB31_2135
; %bb.2134:
	s_wait_loadcnt 0x0
	v_lshlrev_b32_e32 v0, 16, v1
	s_delay_alu instid0(VALU_DEP_1)
	v_cvt_i32_f32_e32 v0, v0
	global_store_b32 v[2:3], v0, off
.LBB31_2135:
	s_mov_b32 s0, 0
.LBB31_2136:
	s_delay_alu instid0(SALU_CYCLE_1)
	s_and_not1_b32 vcc_lo, exec_lo, s0
	s_cbranch_vccnz .LBB31_2138
; %bb.2137:
	s_wait_loadcnt 0x0
	v_lshlrev_b32_e32 v0, 16, v1
	s_delay_alu instid0(VALU_DEP_1)
	v_cvt_i32_f32_e32 v0, v0
	global_store_b16 v[2:3], v0, off
.LBB31_2138:
	s_mov_b32 s0, 0
.LBB31_2139:
	s_delay_alu instid0(SALU_CYCLE_1)
	s_and_not1_b32 vcc_lo, exec_lo, s0
	s_cbranch_vccnz .LBB31_2144
; %bb.2140:
	s_sext_i32_i16 s0, s6
	s_delay_alu instid0(SALU_CYCLE_1)
	s_cmp_gt_i32 s0, 0
	s_mov_b32 s0, -1
	s_cbranch_scc0 .LBB31_2142
; %bb.2141:
	s_wait_loadcnt 0x0
	v_lshlrev_b32_e32 v0, 16, v1
	s_mov_b32 s0, 0
	s_delay_alu instid0(VALU_DEP_1)
	v_cvt_i32_f32_e32 v0, v0
	global_store_b8 v[2:3], v0, off
.LBB31_2142:
	s_and_not1_b32 vcc_lo, exec_lo, s0
	s_cbranch_vccnz .LBB31_2144
; %bb.2143:
	s_wait_loadcnt 0x0
	v_lshlrev_b32_e32 v0, 16, v1
	s_delay_alu instid0(VALU_DEP_1) | instskip(NEXT) | instid1(VALU_DEP_1)
	v_trunc_f32_e32 v0, v0
	v_mul_f32_e64 v1, 0x2f800000, |v0|
	s_delay_alu instid0(VALU_DEP_1) | instskip(NEXT) | instid1(VALU_DEP_1)
	v_floor_f32_e32 v1, v1
	v_fma_f32 v1, 0xcf800000, v1, |v0|
	v_ashrrev_i32_e32 v0, 31, v0
	s_delay_alu instid0(VALU_DEP_2) | instskip(NEXT) | instid1(VALU_DEP_1)
	v_cvt_u32_f32_e32 v1, v1
	v_xor_b32_e32 v1, v1, v0
	s_delay_alu instid0(VALU_DEP_1)
	v_sub_nc_u32_e32 v0, v1, v0
	global_store_b8 v[2:3], v0, off
	s_endpgm
.LBB31_2144:
	s_endpgm
.LBB31_2145:
	s_or_b32 s10, s10, exec_lo
	s_trap 2
	s_cbranch_execz .LBB31_1618
	s_branch .LBB31_1619
.LBB31_2146:
	s_and_not1_saveexec_b32 s13, s13
	s_cbranch_execz .LBB31_1698
.LBB31_2147:
	v_add_f32_e64 v8, 0x46000000, |v9|
	s_and_not1_b32 s12, s12, exec_lo
	s_delay_alu instid0(VALU_DEP_1) | instskip(NEXT) | instid1(VALU_DEP_1)
	v_and_b32_e32 v8, 0xff, v8
	v_cmp_ne_u32_e32 vcc_lo, 0, v8
	s_and_b32 s14, vcc_lo, exec_lo
	s_delay_alu instid0(SALU_CYCLE_1)
	s_or_b32 s12, s12, s14
	s_or_b32 exec_lo, exec_lo, s13
	v_mov_b32_e32 v11, 0
	s_and_saveexec_b32 s13, s12
	s_cbranch_execnz .LBB31_1699
	s_branch .LBB31_1700
.LBB31_2148:
	s_or_b32 s10, s10, exec_lo
	s_trap 2
	s_cbranch_execz .LBB31_1746
	s_branch .LBB31_1747
.LBB31_2149:
	s_and_not1_saveexec_b32 s12, s12
	s_cbranch_execz .LBB31_1711
.LBB31_2150:
	v_add_f32_e64 v8, 0x42800000, |v9|
	s_and_not1_b32 s11, s11, exec_lo
	s_delay_alu instid0(VALU_DEP_1) | instskip(NEXT) | instid1(VALU_DEP_1)
	v_and_b32_e32 v8, 0xff, v8
	v_cmp_ne_u32_e32 vcc_lo, 0, v8
	s_and_b32 s13, vcc_lo, exec_lo
	s_delay_alu instid0(SALU_CYCLE_1)
	s_or_b32 s11, s11, s13
	s_or_b32 exec_lo, exec_lo, s12
	v_mov_b32_e32 v11, 0
	s_and_saveexec_b32 s12, s11
	s_cbranch_execnz .LBB31_1712
	s_branch .LBB31_1713
.LBB31_2151:
	s_and_not1_saveexec_b32 s13, s13
	s_cbranch_execz .LBB31_1816
.LBB31_2152:
	v_add_f32_e64 v6, 0x46000000, |v7|
	s_and_not1_b32 s12, s12, exec_lo
	s_delay_alu instid0(VALU_DEP_1) | instskip(NEXT) | instid1(VALU_DEP_1)
	v_and_b32_e32 v6, 0xff, v6
	v_cmp_ne_u32_e32 vcc_lo, 0, v6
	s_and_b32 s14, vcc_lo, exec_lo
	s_delay_alu instid0(SALU_CYCLE_1)
	s_or_b32 s12, s12, s14
	s_or_b32 exec_lo, exec_lo, s13
	v_mov_b32_e32 v8, 0
	s_and_saveexec_b32 s13, s12
	s_cbranch_execnz .LBB31_1817
	s_branch .LBB31_1818
.LBB31_2153:
	s_or_b32 s10, s10, exec_lo
	s_trap 2
	s_cbranch_execz .LBB31_1864
	s_branch .LBB31_1865
.LBB31_2154:
	s_and_not1_saveexec_b32 s12, s12
	s_cbranch_execz .LBB31_1829
.LBB31_2155:
	v_add_f32_e64 v6, 0x42800000, |v7|
	s_and_not1_b32 s11, s11, exec_lo
	s_delay_alu instid0(VALU_DEP_1) | instskip(NEXT) | instid1(VALU_DEP_1)
	v_and_b32_e32 v6, 0xff, v6
	v_cmp_ne_u32_e32 vcc_lo, 0, v6
	s_and_b32 s13, vcc_lo, exec_lo
	s_delay_alu instid0(SALU_CYCLE_1)
	s_or_b32 s11, s11, s13
	s_or_b32 exec_lo, exec_lo, s12
	v_mov_b32_e32 v8, 0
	s_and_saveexec_b32 s12, s11
	s_cbranch_execnz .LBB31_1830
	s_branch .LBB31_1831
.LBB31_2156:
	s_and_not1_saveexec_b32 s13, s13
	s_cbranch_execz .LBB31_1934
.LBB31_2157:
	v_add_f32_e64 v5, 0x46000000, |v6|
	s_and_not1_b32 s12, s12, exec_lo
	s_delay_alu instid0(VALU_DEP_1) | instskip(NEXT) | instid1(VALU_DEP_1)
	v_and_b32_e32 v5, 0xff, v5
	v_cmp_ne_u32_e32 vcc_lo, 0, v5
	s_and_b32 s14, vcc_lo, exec_lo
	s_delay_alu instid0(SALU_CYCLE_1)
	s_or_b32 s12, s12, s14
	s_or_b32 exec_lo, exec_lo, s13
	v_mov_b32_e32 v7, 0
	s_and_saveexec_b32 s13, s12
	s_cbranch_execnz .LBB31_1935
	s_branch .LBB31_1936
.LBB31_2158:
	s_or_b32 s10, s10, exec_lo
	s_trap 2
	s_cbranch_execz .LBB31_1982
	s_branch .LBB31_1983
.LBB31_2159:
	s_and_not1_saveexec_b32 s12, s12
	s_cbranch_execz .LBB31_1947
.LBB31_2160:
	v_add_f32_e64 v5, 0x42800000, |v6|
	s_and_not1_b32 s11, s11, exec_lo
	s_delay_alu instid0(VALU_DEP_1) | instskip(NEXT) | instid1(VALU_DEP_1)
	v_and_b32_e32 v5, 0xff, v5
	v_cmp_ne_u32_e32 vcc_lo, 0, v5
	s_and_b32 s13, vcc_lo, exec_lo
	s_delay_alu instid0(SALU_CYCLE_1)
	s_or_b32 s11, s11, s13
	s_or_b32 exec_lo, exec_lo, s12
	v_mov_b32_e32 v7, 0
	s_and_saveexec_b32 s12, s11
	s_cbranch_execnz .LBB31_1948
	s_branch .LBB31_1949
.LBB31_2161:
	s_and_not1_saveexec_b32 s5, s5
	s_cbranch_execz .LBB31_2014
.LBB31_2162:
	v_add_f32_e64 v4, 0x46000000, |v5|
	s_and_not1_b32 s4, s4, exec_lo
	s_delay_alu instid0(VALU_DEP_1) | instskip(NEXT) | instid1(VALU_DEP_1)
	v_and_b32_e32 v4, 0xff, v4
	v_cmp_ne_u32_e32 vcc_lo, 0, v4
	s_and_b32 s7, vcc_lo, exec_lo
	s_delay_alu instid0(SALU_CYCLE_1)
	s_or_b32 s4, s4, s7
	s_or_b32 exec_lo, exec_lo, s5
	v_mov_b32_e32 v6, 0
	s_and_saveexec_b32 s5, s4
	s_cbranch_execnz .LBB31_2015
	s_branch .LBB31_2016
.LBB31_2163:
	s_mov_b32 s2, 0
	s_or_b32 s10, s10, exec_lo
	s_trap 2
	s_branch .LBB31_2060
.LBB31_2164:
	s_and_not1_saveexec_b32 s4, s4
	s_cbranch_execz .LBB31_2026
.LBB31_2165:
	v_add_f32_e64 v4, 0x42800000, |v5|
	s_and_not1_b32 s3, s3, exec_lo
	s_delay_alu instid0(VALU_DEP_1) | instskip(NEXT) | instid1(VALU_DEP_1)
	v_and_b32_e32 v4, 0xff, v4
	v_cmp_ne_u32_e32 vcc_lo, 0, v4
	s_and_b32 s5, vcc_lo, exec_lo
	s_delay_alu instid0(SALU_CYCLE_1)
	s_or_b32 s3, s3, s5
	s_or_b32 exec_lo, exec_lo, s4
	v_mov_b32_e32 v6, 0
	s_and_saveexec_b32 s4, s3
	s_cbranch_execnz .LBB31_2027
	s_branch .LBB31_2028
	.section	.rodata,"a",@progbits
	.p2align	6, 0x0
	.amdhsa_kernel _ZN2at6native32elementwise_kernel_manual_unrollILi128ELi4EZNS0_15gpu_kernel_implIZZZNS0_12_GLOBAL__N_117hardshrink_kernelERNS_18TensorIteratorBaseERKN3c106ScalarEENKUlvE_clEvENKUlvE2_clEvEUlNS6_8BFloat16EE_EEvS5_RKT_EUlibE0_EEviT1_
		.amdhsa_group_segment_fixed_size 0
		.amdhsa_private_segment_fixed_size 0
		.amdhsa_kernarg_size 360
		.amdhsa_user_sgpr_count 2
		.amdhsa_user_sgpr_dispatch_ptr 0
		.amdhsa_user_sgpr_queue_ptr 0
		.amdhsa_user_sgpr_kernarg_segment_ptr 1
		.amdhsa_user_sgpr_dispatch_id 0
		.amdhsa_user_sgpr_kernarg_preload_length 0
		.amdhsa_user_sgpr_kernarg_preload_offset 0
		.amdhsa_user_sgpr_private_segment_size 0
		.amdhsa_wavefront_size32 1
		.amdhsa_uses_dynamic_stack 0
		.amdhsa_enable_private_segment 0
		.amdhsa_system_sgpr_workgroup_id_x 1
		.amdhsa_system_sgpr_workgroup_id_y 0
		.amdhsa_system_sgpr_workgroup_id_z 0
		.amdhsa_system_sgpr_workgroup_info 0
		.amdhsa_system_vgpr_workitem_id 0
		.amdhsa_next_free_vgpr 18
		.amdhsa_next_free_sgpr 68
		.amdhsa_named_barrier_count 0
		.amdhsa_reserve_vcc 1
		.amdhsa_float_round_mode_32 0
		.amdhsa_float_round_mode_16_64 0
		.amdhsa_float_denorm_mode_32 3
		.amdhsa_float_denorm_mode_16_64 3
		.amdhsa_fp16_overflow 0
		.amdhsa_memory_ordered 1
		.amdhsa_forward_progress 1
		.amdhsa_inst_pref_size 255
		.amdhsa_round_robin_scheduling 0
		.amdhsa_exception_fp_ieee_invalid_op 0
		.amdhsa_exception_fp_denorm_src 0
		.amdhsa_exception_fp_ieee_div_zero 0
		.amdhsa_exception_fp_ieee_overflow 0
		.amdhsa_exception_fp_ieee_underflow 0
		.amdhsa_exception_fp_ieee_inexact 0
		.amdhsa_exception_int_div_zero 0
	.end_amdhsa_kernel
	.section	.text._ZN2at6native32elementwise_kernel_manual_unrollILi128ELi4EZNS0_15gpu_kernel_implIZZZNS0_12_GLOBAL__N_117hardshrink_kernelERNS_18TensorIteratorBaseERKN3c106ScalarEENKUlvE_clEvENKUlvE2_clEvEUlNS6_8BFloat16EE_EEvS5_RKT_EUlibE0_EEviT1_,"axG",@progbits,_ZN2at6native32elementwise_kernel_manual_unrollILi128ELi4EZNS0_15gpu_kernel_implIZZZNS0_12_GLOBAL__N_117hardshrink_kernelERNS_18TensorIteratorBaseERKN3c106ScalarEENKUlvE_clEvENKUlvE2_clEvEUlNS6_8BFloat16EE_EEvS5_RKT_EUlibE0_EEviT1_,comdat
.Lfunc_end31:
	.size	_ZN2at6native32elementwise_kernel_manual_unrollILi128ELi4EZNS0_15gpu_kernel_implIZZZNS0_12_GLOBAL__N_117hardshrink_kernelERNS_18TensorIteratorBaseERKN3c106ScalarEENKUlvE_clEvENKUlvE2_clEvEUlNS6_8BFloat16EE_EEvS5_RKT_EUlibE0_EEviT1_, .Lfunc_end31-_ZN2at6native32elementwise_kernel_manual_unrollILi128ELi4EZNS0_15gpu_kernel_implIZZZNS0_12_GLOBAL__N_117hardshrink_kernelERNS_18TensorIteratorBaseERKN3c106ScalarEENKUlvE_clEvENKUlvE2_clEvEUlNS6_8BFloat16EE_EEvS5_RKT_EUlibE0_EEviT1_
                                        ; -- End function
	.set _ZN2at6native32elementwise_kernel_manual_unrollILi128ELi4EZNS0_15gpu_kernel_implIZZZNS0_12_GLOBAL__N_117hardshrink_kernelERNS_18TensorIteratorBaseERKN3c106ScalarEENKUlvE_clEvENKUlvE2_clEvEUlNS6_8BFloat16EE_EEvS5_RKT_EUlibE0_EEviT1_.num_vgpr, 18
	.set _ZN2at6native32elementwise_kernel_manual_unrollILi128ELi4EZNS0_15gpu_kernel_implIZZZNS0_12_GLOBAL__N_117hardshrink_kernelERNS_18TensorIteratorBaseERKN3c106ScalarEENKUlvE_clEvENKUlvE2_clEvEUlNS6_8BFloat16EE_EEvS5_RKT_EUlibE0_EEviT1_.num_agpr, 0
	.set _ZN2at6native32elementwise_kernel_manual_unrollILi128ELi4EZNS0_15gpu_kernel_implIZZZNS0_12_GLOBAL__N_117hardshrink_kernelERNS_18TensorIteratorBaseERKN3c106ScalarEENKUlvE_clEvENKUlvE2_clEvEUlNS6_8BFloat16EE_EEvS5_RKT_EUlibE0_EEviT1_.numbered_sgpr, 68
	.set _ZN2at6native32elementwise_kernel_manual_unrollILi128ELi4EZNS0_15gpu_kernel_implIZZZNS0_12_GLOBAL__N_117hardshrink_kernelERNS_18TensorIteratorBaseERKN3c106ScalarEENKUlvE_clEvENKUlvE2_clEvEUlNS6_8BFloat16EE_EEvS5_RKT_EUlibE0_EEviT1_.num_named_barrier, 0
	.set _ZN2at6native32elementwise_kernel_manual_unrollILi128ELi4EZNS0_15gpu_kernel_implIZZZNS0_12_GLOBAL__N_117hardshrink_kernelERNS_18TensorIteratorBaseERKN3c106ScalarEENKUlvE_clEvENKUlvE2_clEvEUlNS6_8BFloat16EE_EEvS5_RKT_EUlibE0_EEviT1_.private_seg_size, 0
	.set _ZN2at6native32elementwise_kernel_manual_unrollILi128ELi4EZNS0_15gpu_kernel_implIZZZNS0_12_GLOBAL__N_117hardshrink_kernelERNS_18TensorIteratorBaseERKN3c106ScalarEENKUlvE_clEvENKUlvE2_clEvEUlNS6_8BFloat16EE_EEvS5_RKT_EUlibE0_EEviT1_.uses_vcc, 1
	.set _ZN2at6native32elementwise_kernel_manual_unrollILi128ELi4EZNS0_15gpu_kernel_implIZZZNS0_12_GLOBAL__N_117hardshrink_kernelERNS_18TensorIteratorBaseERKN3c106ScalarEENKUlvE_clEvENKUlvE2_clEvEUlNS6_8BFloat16EE_EEvS5_RKT_EUlibE0_EEviT1_.uses_flat_scratch, 0
	.set _ZN2at6native32elementwise_kernel_manual_unrollILi128ELi4EZNS0_15gpu_kernel_implIZZZNS0_12_GLOBAL__N_117hardshrink_kernelERNS_18TensorIteratorBaseERKN3c106ScalarEENKUlvE_clEvENKUlvE2_clEvEUlNS6_8BFloat16EE_EEvS5_RKT_EUlibE0_EEviT1_.has_dyn_sized_stack, 0
	.set _ZN2at6native32elementwise_kernel_manual_unrollILi128ELi4EZNS0_15gpu_kernel_implIZZZNS0_12_GLOBAL__N_117hardshrink_kernelERNS_18TensorIteratorBaseERKN3c106ScalarEENKUlvE_clEvENKUlvE2_clEvEUlNS6_8BFloat16EE_EEvS5_RKT_EUlibE0_EEviT1_.has_recursion, 0
	.set _ZN2at6native32elementwise_kernel_manual_unrollILi128ELi4EZNS0_15gpu_kernel_implIZZZNS0_12_GLOBAL__N_117hardshrink_kernelERNS_18TensorIteratorBaseERKN3c106ScalarEENKUlvE_clEvENKUlvE2_clEvEUlNS6_8BFloat16EE_EEvS5_RKT_EUlibE0_EEviT1_.has_indirect_call, 0
	.section	.AMDGPU.csdata,"",@progbits
; Kernel info:
; codeLenInByte = 50032
; TotalNumSgprs: 70
; NumVgprs: 18
; ScratchSize: 0
; MemoryBound: 0
; FloatMode: 240
; IeeeMode: 1
; LDSByteSize: 0 bytes/workgroup (compile time only)
; SGPRBlocks: 0
; VGPRBlocks: 1
; NumSGPRsForWavesPerEU: 70
; NumVGPRsForWavesPerEU: 18
; NamedBarCnt: 0
; Occupancy: 16
; WaveLimiterHint : 1
; COMPUTE_PGM_RSRC2:SCRATCH_EN: 0
; COMPUTE_PGM_RSRC2:USER_SGPR: 2
; COMPUTE_PGM_RSRC2:TRAP_HANDLER: 0
; COMPUTE_PGM_RSRC2:TGID_X_EN: 1
; COMPUTE_PGM_RSRC2:TGID_Y_EN: 0
; COMPUTE_PGM_RSRC2:TGID_Z_EN: 0
; COMPUTE_PGM_RSRC2:TIDIG_COMP_CNT: 0
	.section	.AMDGPU.gpr_maximums,"",@progbits
	.set amdgpu.max_num_vgpr, 0
	.set amdgpu.max_num_agpr, 0
	.set amdgpu.max_num_sgpr, 0
	.section	.AMDGPU.csdata,"",@progbits
	.type	__hip_cuid_bb66bae3bbd5fcf0,@object ; @__hip_cuid_bb66bae3bbd5fcf0
	.section	.bss,"aw",@nobits
	.globl	__hip_cuid_bb66bae3bbd5fcf0
__hip_cuid_bb66bae3bbd5fcf0:
	.byte	0                               ; 0x0
	.size	__hip_cuid_bb66bae3bbd5fcf0, 1

	.ident	"AMD clang version 22.0.0git (https://github.com/RadeonOpenCompute/llvm-project roc-7.2.4 26084 f58b06dce1f9c15707c5f808fd002e18c2accf7e)"
	.section	".note.GNU-stack","",@progbits
	.addrsig
	.addrsig_sym __hip_cuid_bb66bae3bbd5fcf0
	.amdgpu_metadata
---
amdhsa.kernels:
  - .args:
      - .offset:         0
        .size:           4
        .value_kind:     by_value
      - .offset:         8
        .size:           8
        .value_kind:     by_value
      - .offset:         16
        .size:           16
        .value_kind:     by_value
    .group_segment_fixed_size: 0
    .kernarg_segment_align: 8
    .kernarg_segment_size: 32
    .language:       OpenCL C
    .language_version:
      - 2
      - 0
    .max_flat_workgroup_size: 256
    .name:           _ZN2at6native29vectorized_elementwise_kernelILi16EZZZNS0_12_GLOBAL__N_117hardshrink_kernelERNS_18TensorIteratorBaseERKN3c106ScalarEENKUlvE_clEvENKUlvE_clEvEUldE_St5arrayIPcLm2EEEEviT0_T1_
    .private_segment_fixed_size: 0
    .sgpr_count:     19
    .sgpr_spill_count: 0
    .symbol:         _ZN2at6native29vectorized_elementwise_kernelILi16EZZZNS0_12_GLOBAL__N_117hardshrink_kernelERNS_18TensorIteratorBaseERKN3c106ScalarEENKUlvE_clEvENKUlvE_clEvEUldE_St5arrayIPcLm2EEEEviT0_T1_.kd
    .uniform_work_group_size: 1
    .uses_dynamic_stack: false
    .vgpr_count:     15
    .vgpr_spill_count: 0
    .wavefront_size: 32
  - .args:
      - .offset:         0
        .size:           4
        .value_kind:     by_value
      - .offset:         8
        .size:           8
        .value_kind:     by_value
      - .offset:         16
        .size:           16
        .value_kind:     by_value
    .group_segment_fixed_size: 0
    .kernarg_segment_align: 8
    .kernarg_segment_size: 32
    .language:       OpenCL C
    .language_version:
      - 2
      - 0
    .max_flat_workgroup_size: 256
    .name:           _ZN2at6native29vectorized_elementwise_kernelILi8EZZZNS0_12_GLOBAL__N_117hardshrink_kernelERNS_18TensorIteratorBaseERKN3c106ScalarEENKUlvE_clEvENKUlvE_clEvEUldE_St5arrayIPcLm2EEEEviT0_T1_
    .private_segment_fixed_size: 0
    .sgpr_count:     19
    .sgpr_spill_count: 0
    .symbol:         _ZN2at6native29vectorized_elementwise_kernelILi8EZZZNS0_12_GLOBAL__N_117hardshrink_kernelERNS_18TensorIteratorBaseERKN3c106ScalarEENKUlvE_clEvENKUlvE_clEvEUldE_St5arrayIPcLm2EEEEviT0_T1_.kd
    .uniform_work_group_size: 1
    .uses_dynamic_stack: false
    .vgpr_count:     15
    .vgpr_spill_count: 0
    .wavefront_size: 32
  - .args:
      - .offset:         0
        .size:           4
        .value_kind:     by_value
      - .offset:         8
        .size:           8
        .value_kind:     by_value
      - .offset:         16
        .size:           16
        .value_kind:     by_value
    .group_segment_fixed_size: 0
    .kernarg_segment_align: 8
    .kernarg_segment_size: 32
    .language:       OpenCL C
    .language_version:
      - 2
      - 0
    .max_flat_workgroup_size: 256
    .name:           _ZN2at6native29vectorized_elementwise_kernelILi4EZZZNS0_12_GLOBAL__N_117hardshrink_kernelERNS_18TensorIteratorBaseERKN3c106ScalarEENKUlvE_clEvENKUlvE_clEvEUldE_St5arrayIPcLm2EEEEviT0_T1_
    .private_segment_fixed_size: 0
    .sgpr_count:     19
    .sgpr_spill_count: 0
    .symbol:         _ZN2at6native29vectorized_elementwise_kernelILi4EZZZNS0_12_GLOBAL__N_117hardshrink_kernelERNS_18TensorIteratorBaseERKN3c106ScalarEENKUlvE_clEvENKUlvE_clEvEUldE_St5arrayIPcLm2EEEEviT0_T1_.kd
    .uniform_work_group_size: 1
    .uses_dynamic_stack: false
    .vgpr_count:     15
    .vgpr_spill_count: 0
    .wavefront_size: 32
  - .args:
      - .offset:         0
        .size:           4
        .value_kind:     by_value
      - .offset:         8
        .size:           8
        .value_kind:     by_value
      - .offset:         16
        .size:           16
        .value_kind:     by_value
    .group_segment_fixed_size: 0
    .kernarg_segment_align: 8
    .kernarg_segment_size: 32
    .language:       OpenCL C
    .language_version:
      - 2
      - 0
    .max_flat_workgroup_size: 256
    .name:           _ZN2at6native29vectorized_elementwise_kernelILi2EZZZNS0_12_GLOBAL__N_117hardshrink_kernelERNS_18TensorIteratorBaseERKN3c106ScalarEENKUlvE_clEvENKUlvE_clEvEUldE_St5arrayIPcLm2EEEEviT0_T1_
    .private_segment_fixed_size: 0
    .sgpr_count:     19
    .sgpr_spill_count: 0
    .symbol:         _ZN2at6native29vectorized_elementwise_kernelILi2EZZZNS0_12_GLOBAL__N_117hardshrink_kernelERNS_18TensorIteratorBaseERKN3c106ScalarEENKUlvE_clEvENKUlvE_clEvEUldE_St5arrayIPcLm2EEEEviT0_T1_.kd
    .uniform_work_group_size: 1
    .uses_dynamic_stack: false
    .vgpr_count:     15
    .vgpr_spill_count: 0
    .wavefront_size: 32
  - .args:
      - .offset:         0
        .size:           4
        .value_kind:     by_value
      - .offset:         8
        .size:           8
        .value_kind:     by_value
      - .offset:         16
        .size:           16
        .value_kind:     by_value
      - .offset:         32
        .size:           1
        .value_kind:     by_value
      - .offset:         33
        .size:           1
        .value_kind:     by_value
      - .offset:         34
        .size:           1
        .value_kind:     by_value
      - .offset:         35
        .size:           1
        .value_kind:     by_value
    .group_segment_fixed_size: 0
    .kernarg_segment_align: 8
    .kernarg_segment_size: 36
    .language:       OpenCL C
    .language_version:
      - 2
      - 0
    .max_flat_workgroup_size: 256
    .name:           _ZN2at6native27unrolled_elementwise_kernelIZZZNS0_12_GLOBAL__N_117hardshrink_kernelERNS_18TensorIteratorBaseERKN3c106ScalarEENKUlvE_clEvENKUlvE_clEvEUldE_St5arrayIPcLm2EELi4E23TrivialOffsetCalculatorILi1EjESG_NS0_6memory15LoadWithoutCastENSH_16StoreWithoutCastEEEviT_T0_T2_T3_T4_T5_
    .private_segment_fixed_size: 0
    .sgpr_count:     19
    .sgpr_spill_count: 0
    .symbol:         _ZN2at6native27unrolled_elementwise_kernelIZZZNS0_12_GLOBAL__N_117hardshrink_kernelERNS_18TensorIteratorBaseERKN3c106ScalarEENKUlvE_clEvENKUlvE_clEvEUldE_St5arrayIPcLm2EELi4E23TrivialOffsetCalculatorILi1EjESG_NS0_6memory15LoadWithoutCastENSH_16StoreWithoutCastEEEviT_T0_T2_T3_T4_T5_.kd
    .uniform_work_group_size: 1
    .uses_dynamic_stack: false
    .vgpr_count:     15
    .vgpr_spill_count: 0
    .wavefront_size: 32
  - .args:
      - .offset:         0
        .size:           4
        .value_kind:     by_value
      - .offset:         8
        .size:           352
        .value_kind:     by_value
    .group_segment_fixed_size: 0
    .kernarg_segment_align: 8
    .kernarg_segment_size: 360
    .language:       OpenCL C
    .language_version:
      - 2
      - 0
    .max_flat_workgroup_size: 128
    .name:           _ZN2at6native32elementwise_kernel_manual_unrollILi128ELi4EZNS0_22gpu_kernel_impl_nocastIZZZNS0_12_GLOBAL__N_117hardshrink_kernelERNS_18TensorIteratorBaseERKN3c106ScalarEENKUlvE_clEvENKUlvE_clEvEUldE_EEvS5_RKT_EUlibE_EEviT1_
    .private_segment_fixed_size: 0
    .sgpr_count:     62
    .sgpr_spill_count: 0
    .symbol:         _ZN2at6native32elementwise_kernel_manual_unrollILi128ELi4EZNS0_22gpu_kernel_impl_nocastIZZZNS0_12_GLOBAL__N_117hardshrink_kernelERNS_18TensorIteratorBaseERKN3c106ScalarEENKUlvE_clEvENKUlvE_clEvEUldE_EEvS5_RKT_EUlibE_EEviT1_.kd
    .uniform_work_group_size: 1
    .uses_dynamic_stack: false
    .vgpr_count:     16
    .vgpr_spill_count: 0
    .wavefront_size: 32
  - .args:
      - .offset:         0
        .size:           4
        .value_kind:     by_value
      - .offset:         8
        .size:           40
        .value_kind:     by_value
    .group_segment_fixed_size: 0
    .kernarg_segment_align: 8
    .kernarg_segment_size: 48
    .language:       OpenCL C
    .language_version:
      - 2
      - 0
    .max_flat_workgroup_size: 128
    .name:           _ZN2at6native32elementwise_kernel_manual_unrollILi128ELi4EZNS0_15gpu_kernel_implIZZZNS0_12_GLOBAL__N_117hardshrink_kernelERNS_18TensorIteratorBaseERKN3c106ScalarEENKUlvE_clEvENKUlvE_clEvEUldE_EEvS5_RKT_EUlibE_EEviT1_
    .private_segment_fixed_size: 0
    .sgpr_count:     30
    .sgpr_spill_count: 0
    .symbol:         _ZN2at6native32elementwise_kernel_manual_unrollILi128ELi4EZNS0_15gpu_kernel_implIZZZNS0_12_GLOBAL__N_117hardshrink_kernelERNS_18TensorIteratorBaseERKN3c106ScalarEENKUlvE_clEvENKUlvE_clEvEUldE_EEvS5_RKT_EUlibE_EEviT1_.kd
    .uniform_work_group_size: 1
    .uses_dynamic_stack: false
    .vgpr_count:     16
    .vgpr_spill_count: 0
    .wavefront_size: 32
  - .args:
      - .offset:         0
        .size:           4
        .value_kind:     by_value
      - .offset:         8
        .size:           360
        .value_kind:     by_value
    .group_segment_fixed_size: 0
    .kernarg_segment_align: 8
    .kernarg_segment_size: 368
    .language:       OpenCL C
    .language_version:
      - 2
      - 0
    .max_flat_workgroup_size: 128
    .name:           _ZN2at6native32elementwise_kernel_manual_unrollILi128ELi4EZNS0_15gpu_kernel_implIZZZNS0_12_GLOBAL__N_117hardshrink_kernelERNS_18TensorIteratorBaseERKN3c106ScalarEENKUlvE_clEvENKUlvE_clEvEUldE_EEvS5_RKT_EUlibE0_EEviT1_
    .private_segment_fixed_size: 0
    .sgpr_count:     70
    .sgpr_spill_count: 0
    .symbol:         _ZN2at6native32elementwise_kernel_manual_unrollILi128ELi4EZNS0_15gpu_kernel_implIZZZNS0_12_GLOBAL__N_117hardshrink_kernelERNS_18TensorIteratorBaseERKN3c106ScalarEENKUlvE_clEvENKUlvE_clEvEUldE_EEvS5_RKT_EUlibE0_EEviT1_.kd
    .uniform_work_group_size: 1
    .uses_dynamic_stack: false
    .vgpr_count:     20
    .vgpr_spill_count: 0
    .wavefront_size: 32
  - .args:
      - .offset:         0
        .size:           4
        .value_kind:     by_value
      - .offset:         4
        .size:           4
        .value_kind:     by_value
      - .offset:         8
        .size:           16
        .value_kind:     by_value
    .group_segment_fixed_size: 0
    .kernarg_segment_align: 8
    .kernarg_segment_size: 24
    .language:       OpenCL C
    .language_version:
      - 2
      - 0
    .max_flat_workgroup_size: 256
    .name:           _ZN2at6native29vectorized_elementwise_kernelILi16EZZZNS0_12_GLOBAL__N_117hardshrink_kernelERNS_18TensorIteratorBaseERKN3c106ScalarEENKUlvE_clEvENKUlvE0_clEvEUlfE_St5arrayIPcLm2EEEEviT0_T1_
    .private_segment_fixed_size: 0
    .sgpr_count:     18
    .sgpr_spill_count: 0
    .symbol:         _ZN2at6native29vectorized_elementwise_kernelILi16EZZZNS0_12_GLOBAL__N_117hardshrink_kernelERNS_18TensorIteratorBaseERKN3c106ScalarEENKUlvE_clEvENKUlvE0_clEvEUlfE_St5arrayIPcLm2EEEEviT0_T1_.kd
    .uniform_work_group_size: 1
    .uses_dynamic_stack: false
    .vgpr_count:     10
    .vgpr_spill_count: 0
    .wavefront_size: 32
  - .args:
      - .offset:         0
        .size:           4
        .value_kind:     by_value
      - .offset:         4
        .size:           4
        .value_kind:     by_value
      - .offset:         8
        .size:           16
        .value_kind:     by_value
    .group_segment_fixed_size: 0
    .kernarg_segment_align: 8
    .kernarg_segment_size: 24
    .language:       OpenCL C
    .language_version:
      - 2
      - 0
    .max_flat_workgroup_size: 256
    .name:           _ZN2at6native29vectorized_elementwise_kernelILi8EZZZNS0_12_GLOBAL__N_117hardshrink_kernelERNS_18TensorIteratorBaseERKN3c106ScalarEENKUlvE_clEvENKUlvE0_clEvEUlfE_St5arrayIPcLm2EEEEviT0_T1_
    .private_segment_fixed_size: 0
    .sgpr_count:     18
    .sgpr_spill_count: 0
    .symbol:         _ZN2at6native29vectorized_elementwise_kernelILi8EZZZNS0_12_GLOBAL__N_117hardshrink_kernelERNS_18TensorIteratorBaseERKN3c106ScalarEENKUlvE_clEvENKUlvE0_clEvEUlfE_St5arrayIPcLm2EEEEviT0_T1_.kd
    .uniform_work_group_size: 1
    .uses_dynamic_stack: false
    .vgpr_count:     10
    .vgpr_spill_count: 0
    .wavefront_size: 32
  - .args:
      - .offset:         0
        .size:           4
        .value_kind:     by_value
      - .offset:         4
        .size:           4
        .value_kind:     by_value
      - .offset:         8
        .size:           16
        .value_kind:     by_value
    .group_segment_fixed_size: 0
    .kernarg_segment_align: 8
    .kernarg_segment_size: 24
    .language:       OpenCL C
    .language_version:
      - 2
      - 0
    .max_flat_workgroup_size: 256
    .name:           _ZN2at6native29vectorized_elementwise_kernelILi4EZZZNS0_12_GLOBAL__N_117hardshrink_kernelERNS_18TensorIteratorBaseERKN3c106ScalarEENKUlvE_clEvENKUlvE0_clEvEUlfE_St5arrayIPcLm2EEEEviT0_T1_
    .private_segment_fixed_size: 0
    .sgpr_count:     18
    .sgpr_spill_count: 0
    .symbol:         _ZN2at6native29vectorized_elementwise_kernelILi4EZZZNS0_12_GLOBAL__N_117hardshrink_kernelERNS_18TensorIteratorBaseERKN3c106ScalarEENKUlvE_clEvENKUlvE0_clEvEUlfE_St5arrayIPcLm2EEEEviT0_T1_.kd
    .uniform_work_group_size: 1
    .uses_dynamic_stack: false
    .vgpr_count:     10
    .vgpr_spill_count: 0
    .wavefront_size: 32
  - .args:
      - .offset:         0
        .size:           4
        .value_kind:     by_value
      - .offset:         4
        .size:           4
        .value_kind:     by_value
      - .offset:         8
        .size:           16
        .value_kind:     by_value
    .group_segment_fixed_size: 0
    .kernarg_segment_align: 8
    .kernarg_segment_size: 24
    .language:       OpenCL C
    .language_version:
      - 2
      - 0
    .max_flat_workgroup_size: 256
    .name:           _ZN2at6native29vectorized_elementwise_kernelILi2EZZZNS0_12_GLOBAL__N_117hardshrink_kernelERNS_18TensorIteratorBaseERKN3c106ScalarEENKUlvE_clEvENKUlvE0_clEvEUlfE_St5arrayIPcLm2EEEEviT0_T1_
    .private_segment_fixed_size: 0
    .sgpr_count:     18
    .sgpr_spill_count: 0
    .symbol:         _ZN2at6native29vectorized_elementwise_kernelILi2EZZZNS0_12_GLOBAL__N_117hardshrink_kernelERNS_18TensorIteratorBaseERKN3c106ScalarEENKUlvE_clEvENKUlvE0_clEvEUlfE_St5arrayIPcLm2EEEEviT0_T1_.kd
    .uniform_work_group_size: 1
    .uses_dynamic_stack: false
    .vgpr_count:     10
    .vgpr_spill_count: 0
    .wavefront_size: 32
  - .args:
      - .offset:         0
        .size:           4
        .value_kind:     by_value
      - .offset:         4
        .size:           4
        .value_kind:     by_value
      - .offset:         8
        .size:           16
        .value_kind:     by_value
      - .offset:         24
        .size:           1
        .value_kind:     by_value
      - .offset:         25
        .size:           1
        .value_kind:     by_value
      - .offset:         26
        .size:           1
        .value_kind:     by_value
      - .offset:         27
        .size:           1
        .value_kind:     by_value
    .group_segment_fixed_size: 0
    .kernarg_segment_align: 8
    .kernarg_segment_size: 28
    .language:       OpenCL C
    .language_version:
      - 2
      - 0
    .max_flat_workgroup_size: 256
    .name:           _ZN2at6native27unrolled_elementwise_kernelIZZZNS0_12_GLOBAL__N_117hardshrink_kernelERNS_18TensorIteratorBaseERKN3c106ScalarEENKUlvE_clEvENKUlvE0_clEvEUlfE_St5arrayIPcLm2EELi4E23TrivialOffsetCalculatorILi1EjESG_NS0_6memory15LoadWithoutCastENSH_16StoreWithoutCastEEEviT_T0_T2_T3_T4_T5_
    .private_segment_fixed_size: 0
    .sgpr_count:     11
    .sgpr_spill_count: 0
    .symbol:         _ZN2at6native27unrolled_elementwise_kernelIZZZNS0_12_GLOBAL__N_117hardshrink_kernelERNS_18TensorIteratorBaseERKN3c106ScalarEENKUlvE_clEvENKUlvE0_clEvEUlfE_St5arrayIPcLm2EELi4E23TrivialOffsetCalculatorILi1EjESG_NS0_6memory15LoadWithoutCastENSH_16StoreWithoutCastEEEviT_T0_T2_T3_T4_T5_.kd
    .uniform_work_group_size: 1
    .uses_dynamic_stack: false
    .vgpr_count:     10
    .vgpr_spill_count: 0
    .wavefront_size: 32
  - .args:
      - .offset:         0
        .size:           4
        .value_kind:     by_value
      - .offset:         8
        .size:           352
        .value_kind:     by_value
    .group_segment_fixed_size: 0
    .kernarg_segment_align: 8
    .kernarg_segment_size: 360
    .language:       OpenCL C
    .language_version:
      - 2
      - 0
    .max_flat_workgroup_size: 128
    .name:           _ZN2at6native32elementwise_kernel_manual_unrollILi128ELi4EZNS0_22gpu_kernel_impl_nocastIZZZNS0_12_GLOBAL__N_117hardshrink_kernelERNS_18TensorIteratorBaseERKN3c106ScalarEENKUlvE_clEvENKUlvE0_clEvEUlfE_EEvS5_RKT_EUlibE_EEviT1_
    .private_segment_fixed_size: 0
    .sgpr_count:     62
    .sgpr_spill_count: 0
    .symbol:         _ZN2at6native32elementwise_kernel_manual_unrollILi128ELi4EZNS0_22gpu_kernel_impl_nocastIZZZNS0_12_GLOBAL__N_117hardshrink_kernelERNS_18TensorIteratorBaseERKN3c106ScalarEENKUlvE_clEvENKUlvE0_clEvEUlfE_EEvS5_RKT_EUlibE_EEviT1_.kd
    .uniform_work_group_size: 1
    .uses_dynamic_stack: false
    .vgpr_count:     15
    .vgpr_spill_count: 0
    .wavefront_size: 32
  - .args:
      - .offset:         0
        .size:           4
        .value_kind:     by_value
      - .offset:         8
        .size:           32
        .value_kind:     by_value
    .group_segment_fixed_size: 0
    .kernarg_segment_align: 8
    .kernarg_segment_size: 40
    .language:       OpenCL C
    .language_version:
      - 2
      - 0
    .max_flat_workgroup_size: 128
    .name:           _ZN2at6native32elementwise_kernel_manual_unrollILi128ELi4EZNS0_15gpu_kernel_implIZZZNS0_12_GLOBAL__N_117hardshrink_kernelERNS_18TensorIteratorBaseERKN3c106ScalarEENKUlvE_clEvENKUlvE0_clEvEUlfE_EEvS5_RKT_EUlibE_EEviT1_
    .private_segment_fixed_size: 0
    .sgpr_count:     29
    .sgpr_spill_count: 0
    .symbol:         _ZN2at6native32elementwise_kernel_manual_unrollILi128ELi4EZNS0_15gpu_kernel_implIZZZNS0_12_GLOBAL__N_117hardshrink_kernelERNS_18TensorIteratorBaseERKN3c106ScalarEENKUlvE_clEvENKUlvE0_clEvEUlfE_EEvS5_RKT_EUlibE_EEviT1_.kd
    .uniform_work_group_size: 1
    .uses_dynamic_stack: false
    .vgpr_count:     14
    .vgpr_spill_count: 0
    .wavefront_size: 32
  - .args:
      - .offset:         0
        .size:           4
        .value_kind:     by_value
      - .offset:         8
        .size:           352
        .value_kind:     by_value
    .group_segment_fixed_size: 0
    .kernarg_segment_align: 8
    .kernarg_segment_size: 360
    .language:       OpenCL C
    .language_version:
      - 2
      - 0
    .max_flat_workgroup_size: 128
    .name:           _ZN2at6native32elementwise_kernel_manual_unrollILi128ELi4EZNS0_15gpu_kernel_implIZZZNS0_12_GLOBAL__N_117hardshrink_kernelERNS_18TensorIteratorBaseERKN3c106ScalarEENKUlvE_clEvENKUlvE0_clEvEUlfE_EEvS5_RKT_EUlibE0_EEviT1_
    .private_segment_fixed_size: 0
    .sgpr_count:     70
    .sgpr_spill_count: 0
    .symbol:         _ZN2at6native32elementwise_kernel_manual_unrollILi128ELi4EZNS0_15gpu_kernel_implIZZZNS0_12_GLOBAL__N_117hardshrink_kernelERNS_18TensorIteratorBaseERKN3c106ScalarEENKUlvE_clEvENKUlvE0_clEvEUlfE_EEvS5_RKT_EUlibE0_EEviT1_.kd
    .uniform_work_group_size: 1
    .uses_dynamic_stack: false
    .vgpr_count:     18
    .vgpr_spill_count: 0
    .wavefront_size: 32
  - .args:
      - .offset:         0
        .size:           4
        .value_kind:     by_value
      - .offset:         4
        .size:           2
        .value_kind:     by_value
      - .offset:         8
        .size:           16
        .value_kind:     by_value
    .group_segment_fixed_size: 0
    .kernarg_segment_align: 8
    .kernarg_segment_size: 24
    .language:       OpenCL C
    .language_version:
      - 2
      - 0
    .max_flat_workgroup_size: 256
    .name:           _ZN2at6native29vectorized_elementwise_kernelILi16EZZZNS0_12_GLOBAL__N_117hardshrink_kernelERNS_18TensorIteratorBaseERKN3c106ScalarEENKUlvE_clEvENKUlvE1_clEvEUlNS5_4HalfEE_St5arrayIPcLm2EEEEviT0_T1_
    .private_segment_fixed_size: 0
    .sgpr_count:     20
    .sgpr_spill_count: 0
    .symbol:         _ZN2at6native29vectorized_elementwise_kernelILi16EZZZNS0_12_GLOBAL__N_117hardshrink_kernelERNS_18TensorIteratorBaseERKN3c106ScalarEENKUlvE_clEvENKUlvE1_clEvEUlNS5_4HalfEE_St5arrayIPcLm2EEEEviT0_T1_.kd
    .uniform_work_group_size: 1
    .uses_dynamic_stack: false
    .vgpr_count:     12
    .vgpr_spill_count: 0
    .wavefront_size: 32
  - .args:
      - .offset:         0
        .size:           4
        .value_kind:     by_value
      - .offset:         4
        .size:           2
        .value_kind:     by_value
      - .offset:         8
        .size:           16
        .value_kind:     by_value
    .group_segment_fixed_size: 0
    .kernarg_segment_align: 8
    .kernarg_segment_size: 24
    .language:       OpenCL C
    .language_version:
      - 2
      - 0
    .max_flat_workgroup_size: 256
    .name:           _ZN2at6native29vectorized_elementwise_kernelILi8EZZZNS0_12_GLOBAL__N_117hardshrink_kernelERNS_18TensorIteratorBaseERKN3c106ScalarEENKUlvE_clEvENKUlvE1_clEvEUlNS5_4HalfEE_St5arrayIPcLm2EEEEviT0_T1_
    .private_segment_fixed_size: 0
    .sgpr_count:     20
    .sgpr_spill_count: 0
    .symbol:         _ZN2at6native29vectorized_elementwise_kernelILi8EZZZNS0_12_GLOBAL__N_117hardshrink_kernelERNS_18TensorIteratorBaseERKN3c106ScalarEENKUlvE_clEvENKUlvE1_clEvEUlNS5_4HalfEE_St5arrayIPcLm2EEEEviT0_T1_.kd
    .uniform_work_group_size: 1
    .uses_dynamic_stack: false
    .vgpr_count:     12
    .vgpr_spill_count: 0
    .wavefront_size: 32
  - .args:
      - .offset:         0
        .size:           4
        .value_kind:     by_value
      - .offset:         4
        .size:           2
        .value_kind:     by_value
      - .offset:         8
        .size:           16
        .value_kind:     by_value
    .group_segment_fixed_size: 0
    .kernarg_segment_align: 8
    .kernarg_segment_size: 24
    .language:       OpenCL C
    .language_version:
      - 2
      - 0
    .max_flat_workgroup_size: 256
    .name:           _ZN2at6native29vectorized_elementwise_kernelILi4EZZZNS0_12_GLOBAL__N_117hardshrink_kernelERNS_18TensorIteratorBaseERKN3c106ScalarEENKUlvE_clEvENKUlvE1_clEvEUlNS5_4HalfEE_St5arrayIPcLm2EEEEviT0_T1_
    .private_segment_fixed_size: 0
    .sgpr_count:     20
    .sgpr_spill_count: 0
    .symbol:         _ZN2at6native29vectorized_elementwise_kernelILi4EZZZNS0_12_GLOBAL__N_117hardshrink_kernelERNS_18TensorIteratorBaseERKN3c106ScalarEENKUlvE_clEvENKUlvE1_clEvEUlNS5_4HalfEE_St5arrayIPcLm2EEEEviT0_T1_.kd
    .uniform_work_group_size: 1
    .uses_dynamic_stack: false
    .vgpr_count:     13
    .vgpr_spill_count: 0
    .wavefront_size: 32
  - .args:
      - .offset:         0
        .size:           4
        .value_kind:     by_value
      - .offset:         4
        .size:           2
        .value_kind:     by_value
      - .offset:         8
        .size:           16
        .value_kind:     by_value
    .group_segment_fixed_size: 0
    .kernarg_segment_align: 8
    .kernarg_segment_size: 24
    .language:       OpenCL C
    .language_version:
      - 2
      - 0
    .max_flat_workgroup_size: 256
    .name:           _ZN2at6native29vectorized_elementwise_kernelILi2EZZZNS0_12_GLOBAL__N_117hardshrink_kernelERNS_18TensorIteratorBaseERKN3c106ScalarEENKUlvE_clEvENKUlvE1_clEvEUlNS5_4HalfEE_St5arrayIPcLm2EEEEviT0_T1_
    .private_segment_fixed_size: 0
    .sgpr_count:     18
    .sgpr_spill_count: 0
    .symbol:         _ZN2at6native29vectorized_elementwise_kernelILi2EZZZNS0_12_GLOBAL__N_117hardshrink_kernelERNS_18TensorIteratorBaseERKN3c106ScalarEENKUlvE_clEvENKUlvE1_clEvEUlNS5_4HalfEE_St5arrayIPcLm2EEEEviT0_T1_.kd
    .uniform_work_group_size: 1
    .uses_dynamic_stack: false
    .vgpr_count:     13
    .vgpr_spill_count: 0
    .wavefront_size: 32
  - .args:
      - .offset:         0
        .size:           4
        .value_kind:     by_value
      - .offset:         4
        .size:           2
        .value_kind:     by_value
      - .offset:         8
        .size:           16
        .value_kind:     by_value
      - .offset:         24
        .size:           1
        .value_kind:     by_value
      - .offset:         25
        .size:           1
        .value_kind:     by_value
      - .offset:         26
        .size:           1
        .value_kind:     by_value
      - .offset:         27
        .size:           1
        .value_kind:     by_value
    .group_segment_fixed_size: 0
    .kernarg_segment_align: 8
    .kernarg_segment_size: 28
    .language:       OpenCL C
    .language_version:
      - 2
      - 0
    .max_flat_workgroup_size: 256
    .name:           _ZN2at6native27unrolled_elementwise_kernelIZZZNS0_12_GLOBAL__N_117hardshrink_kernelERNS_18TensorIteratorBaseERKN3c106ScalarEENKUlvE_clEvENKUlvE1_clEvEUlNS5_4HalfEE_St5arrayIPcLm2EELi4E23TrivialOffsetCalculatorILi1EjESH_NS0_6memory15LoadWithoutCastENSI_16StoreWithoutCastEEEviT_T0_T2_T3_T4_T5_
    .private_segment_fixed_size: 0
    .sgpr_count:     11
    .sgpr_spill_count: 0
    .symbol:         _ZN2at6native27unrolled_elementwise_kernelIZZZNS0_12_GLOBAL__N_117hardshrink_kernelERNS_18TensorIteratorBaseERKN3c106ScalarEENKUlvE_clEvENKUlvE1_clEvEUlNS5_4HalfEE_St5arrayIPcLm2EELi4E23TrivialOffsetCalculatorILi1EjESH_NS0_6memory15LoadWithoutCastENSI_16StoreWithoutCastEEEviT_T0_T2_T3_T4_T5_.kd
    .uniform_work_group_size: 1
    .uses_dynamic_stack: false
    .vgpr_count:     8
    .vgpr_spill_count: 0
    .wavefront_size: 32
  - .args:
      - .offset:         0
        .size:           4
        .value_kind:     by_value
      - .offset:         8
        .size:           352
        .value_kind:     by_value
    .group_segment_fixed_size: 0
    .kernarg_segment_align: 8
    .kernarg_segment_size: 360
    .language:       OpenCL C
    .language_version:
      - 2
      - 0
    .max_flat_workgroup_size: 128
    .name:           _ZN2at6native32elementwise_kernel_manual_unrollILi128ELi8EZNS0_22gpu_kernel_impl_nocastIZZZNS0_12_GLOBAL__N_117hardshrink_kernelERNS_18TensorIteratorBaseERKN3c106ScalarEENKUlvE_clEvENKUlvE1_clEvEUlNS6_4HalfEE_EEvS5_RKT_EUlibE_EEviT1_
    .private_segment_fixed_size: 0
    .sgpr_count:     62
    .sgpr_spill_count: 0
    .symbol:         _ZN2at6native32elementwise_kernel_manual_unrollILi128ELi8EZNS0_22gpu_kernel_impl_nocastIZZZNS0_12_GLOBAL__N_117hardshrink_kernelERNS_18TensorIteratorBaseERKN3c106ScalarEENKUlvE_clEvENKUlvE1_clEvEUlNS6_4HalfEE_EEvS5_RKT_EUlibE_EEviT1_.kd
    .uniform_work_group_size: 1
    .uses_dynamic_stack: false
    .vgpr_count:     24
    .vgpr_spill_count: 0
    .wavefront_size: 32
  - .args:
      - .offset:         0
        .size:           4
        .value_kind:     by_value
      - .offset:         8
        .size:           32
        .value_kind:     by_value
    .group_segment_fixed_size: 0
    .kernarg_segment_align: 8
    .kernarg_segment_size: 40
    .language:       OpenCL C
    .language_version:
      - 2
      - 0
    .max_flat_workgroup_size: 128
    .name:           _ZN2at6native32elementwise_kernel_manual_unrollILi128ELi4EZNS0_15gpu_kernel_implIZZZNS0_12_GLOBAL__N_117hardshrink_kernelERNS_18TensorIteratorBaseERKN3c106ScalarEENKUlvE_clEvENKUlvE1_clEvEUlNS6_4HalfEE_EEvS5_RKT_EUlibE_EEviT1_
    .private_segment_fixed_size: 0
    .sgpr_count:     29
    .sgpr_spill_count: 0
    .symbol:         _ZN2at6native32elementwise_kernel_manual_unrollILi128ELi4EZNS0_15gpu_kernel_implIZZZNS0_12_GLOBAL__N_117hardshrink_kernelERNS_18TensorIteratorBaseERKN3c106ScalarEENKUlvE_clEvENKUlvE1_clEvEUlNS6_4HalfEE_EEvS5_RKT_EUlibE_EEviT1_.kd
    .uniform_work_group_size: 1
    .uses_dynamic_stack: false
    .vgpr_count:     14
    .vgpr_spill_count: 0
    .wavefront_size: 32
  - .args:
      - .offset:         0
        .size:           4
        .value_kind:     by_value
      - .offset:         8
        .size:           352
        .value_kind:     by_value
    .group_segment_fixed_size: 0
    .kernarg_segment_align: 8
    .kernarg_segment_size: 360
    .language:       OpenCL C
    .language_version:
      - 2
      - 0
    .max_flat_workgroup_size: 128
    .name:           _ZN2at6native32elementwise_kernel_manual_unrollILi128ELi4EZNS0_15gpu_kernel_implIZZZNS0_12_GLOBAL__N_117hardshrink_kernelERNS_18TensorIteratorBaseERKN3c106ScalarEENKUlvE_clEvENKUlvE1_clEvEUlNS6_4HalfEE_EEvS5_RKT_EUlibE0_EEviT1_
    .private_segment_fixed_size: 0
    .sgpr_count:     70
    .sgpr_spill_count: 0
    .symbol:         _ZN2at6native32elementwise_kernel_manual_unrollILi128ELi4EZNS0_15gpu_kernel_implIZZZNS0_12_GLOBAL__N_117hardshrink_kernelERNS_18TensorIteratorBaseERKN3c106ScalarEENKUlvE_clEvENKUlvE1_clEvEUlNS6_4HalfEE_EEvS5_RKT_EUlibE0_EEviT1_.kd
    .uniform_work_group_size: 1
    .uses_dynamic_stack: false
    .vgpr_count:     18
    .vgpr_spill_count: 0
    .wavefront_size: 32
  - .args:
      - .offset:         0
        .size:           4
        .value_kind:     by_value
      - .offset:         4
        .size:           2
        .value_kind:     by_value
      - .offset:         8
        .size:           16
        .value_kind:     by_value
    .group_segment_fixed_size: 0
    .kernarg_segment_align: 8
    .kernarg_segment_size: 24
    .language:       OpenCL C
    .language_version:
      - 2
      - 0
    .max_flat_workgroup_size: 256
    .name:           _ZN2at6native29vectorized_elementwise_kernelILi16EZZZNS0_12_GLOBAL__N_117hardshrink_kernelERNS_18TensorIteratorBaseERKN3c106ScalarEENKUlvE_clEvENKUlvE2_clEvEUlNS5_8BFloat16EE_St5arrayIPcLm2EEEEviT0_T1_
    .private_segment_fixed_size: 0
    .sgpr_count:     28
    .sgpr_spill_count: 0
    .symbol:         _ZN2at6native29vectorized_elementwise_kernelILi16EZZZNS0_12_GLOBAL__N_117hardshrink_kernelERNS_18TensorIteratorBaseERKN3c106ScalarEENKUlvE_clEvENKUlvE2_clEvEUlNS5_8BFloat16EE_St5arrayIPcLm2EEEEviT0_T1_.kd
    .uniform_work_group_size: 1
    .uses_dynamic_stack: false
    .vgpr_count:     17
    .vgpr_spill_count: 0
    .wavefront_size: 32
  - .args:
      - .offset:         0
        .size:           4
        .value_kind:     by_value
      - .offset:         4
        .size:           2
        .value_kind:     by_value
      - .offset:         8
        .size:           16
        .value_kind:     by_value
    .group_segment_fixed_size: 0
    .kernarg_segment_align: 8
    .kernarg_segment_size: 24
    .language:       OpenCL C
    .language_version:
      - 2
      - 0
    .max_flat_workgroup_size: 256
    .name:           _ZN2at6native29vectorized_elementwise_kernelILi8EZZZNS0_12_GLOBAL__N_117hardshrink_kernelERNS_18TensorIteratorBaseERKN3c106ScalarEENKUlvE_clEvENKUlvE2_clEvEUlNS5_8BFloat16EE_St5arrayIPcLm2EEEEviT0_T1_
    .private_segment_fixed_size: 0
    .sgpr_count:     28
    .sgpr_spill_count: 0
    .symbol:         _ZN2at6native29vectorized_elementwise_kernelILi8EZZZNS0_12_GLOBAL__N_117hardshrink_kernelERNS_18TensorIteratorBaseERKN3c106ScalarEENKUlvE_clEvENKUlvE2_clEvEUlNS5_8BFloat16EE_St5arrayIPcLm2EEEEviT0_T1_.kd
    .uniform_work_group_size: 1
    .uses_dynamic_stack: false
    .vgpr_count:     17
    .vgpr_spill_count: 0
    .wavefront_size: 32
  - .args:
      - .offset:         0
        .size:           4
        .value_kind:     by_value
      - .offset:         4
        .size:           2
        .value_kind:     by_value
      - .offset:         8
        .size:           16
        .value_kind:     by_value
    .group_segment_fixed_size: 0
    .kernarg_segment_align: 8
    .kernarg_segment_size: 24
    .language:       OpenCL C
    .language_version:
      - 2
      - 0
    .max_flat_workgroup_size: 256
    .name:           _ZN2at6native29vectorized_elementwise_kernelILi4EZZZNS0_12_GLOBAL__N_117hardshrink_kernelERNS_18TensorIteratorBaseERKN3c106ScalarEENKUlvE_clEvENKUlvE2_clEvEUlNS5_8BFloat16EE_St5arrayIPcLm2EEEEviT0_T1_
    .private_segment_fixed_size: 0
    .sgpr_count:     27
    .sgpr_spill_count: 0
    .symbol:         _ZN2at6native29vectorized_elementwise_kernelILi4EZZZNS0_12_GLOBAL__N_117hardshrink_kernelERNS_18TensorIteratorBaseERKN3c106ScalarEENKUlvE_clEvENKUlvE2_clEvEUlNS5_8BFloat16EE_St5arrayIPcLm2EEEEviT0_T1_.kd
    .uniform_work_group_size: 1
    .uses_dynamic_stack: false
    .vgpr_count:     13
    .vgpr_spill_count: 0
    .wavefront_size: 32
  - .args:
      - .offset:         0
        .size:           4
        .value_kind:     by_value
      - .offset:         4
        .size:           2
        .value_kind:     by_value
      - .offset:         8
        .size:           16
        .value_kind:     by_value
    .group_segment_fixed_size: 0
    .kernarg_segment_align: 8
    .kernarg_segment_size: 24
    .language:       OpenCL C
    .language_version:
      - 2
      - 0
    .max_flat_workgroup_size: 256
    .name:           _ZN2at6native29vectorized_elementwise_kernelILi2EZZZNS0_12_GLOBAL__N_117hardshrink_kernelERNS_18TensorIteratorBaseERKN3c106ScalarEENKUlvE_clEvENKUlvE2_clEvEUlNS5_8BFloat16EE_St5arrayIPcLm2EEEEviT0_T1_
    .private_segment_fixed_size: 0
    .sgpr_count:     28
    .sgpr_spill_count: 0
    .symbol:         _ZN2at6native29vectorized_elementwise_kernelILi2EZZZNS0_12_GLOBAL__N_117hardshrink_kernelERNS_18TensorIteratorBaseERKN3c106ScalarEENKUlvE_clEvENKUlvE2_clEvEUlNS5_8BFloat16EE_St5arrayIPcLm2EEEEviT0_T1_.kd
    .uniform_work_group_size: 1
    .uses_dynamic_stack: false
    .vgpr_count:     13
    .vgpr_spill_count: 0
    .wavefront_size: 32
  - .args:
      - .offset:         0
        .size:           4
        .value_kind:     by_value
      - .offset:         4
        .size:           2
        .value_kind:     by_value
      - .offset:         8
        .size:           16
        .value_kind:     by_value
      - .offset:         24
        .size:           1
        .value_kind:     by_value
      - .offset:         25
        .size:           1
        .value_kind:     by_value
      - .offset:         26
        .size:           1
        .value_kind:     by_value
      - .offset:         27
        .size:           1
        .value_kind:     by_value
    .group_segment_fixed_size: 0
    .kernarg_segment_align: 8
    .kernarg_segment_size: 28
    .language:       OpenCL C
    .language_version:
      - 2
      - 0
    .max_flat_workgroup_size: 256
    .name:           _ZN2at6native27unrolled_elementwise_kernelIZZZNS0_12_GLOBAL__N_117hardshrink_kernelERNS_18TensorIteratorBaseERKN3c106ScalarEENKUlvE_clEvENKUlvE2_clEvEUlNS5_8BFloat16EE_St5arrayIPcLm2EELi4E23TrivialOffsetCalculatorILi1EjESH_NS0_6memory15LoadWithoutCastENSI_16StoreWithoutCastEEEviT_T0_T2_T3_T4_T5_
    .private_segment_fixed_size: 0
    .sgpr_count:     11
    .sgpr_spill_count: 0
    .symbol:         _ZN2at6native27unrolled_elementwise_kernelIZZZNS0_12_GLOBAL__N_117hardshrink_kernelERNS_18TensorIteratorBaseERKN3c106ScalarEENKUlvE_clEvENKUlvE2_clEvEUlNS5_8BFloat16EE_St5arrayIPcLm2EELi4E23TrivialOffsetCalculatorILi1EjESH_NS0_6memory15LoadWithoutCastENSI_16StoreWithoutCastEEEviT_T0_T2_T3_T4_T5_.kd
    .uniform_work_group_size: 1
    .uses_dynamic_stack: false
    .vgpr_count:     8
    .vgpr_spill_count: 0
    .wavefront_size: 32
  - .args:
      - .offset:         0
        .size:           4
        .value_kind:     by_value
      - .offset:         8
        .size:           352
        .value_kind:     by_value
    .group_segment_fixed_size: 0
    .kernarg_segment_align: 8
    .kernarg_segment_size: 360
    .language:       OpenCL C
    .language_version:
      - 2
      - 0
    .max_flat_workgroup_size: 128
    .name:           _ZN2at6native32elementwise_kernel_manual_unrollILi128ELi8EZNS0_22gpu_kernel_impl_nocastIZZZNS0_12_GLOBAL__N_117hardshrink_kernelERNS_18TensorIteratorBaseERKN3c106ScalarEENKUlvE_clEvENKUlvE2_clEvEUlNS6_8BFloat16EE_EEvS5_RKT_EUlibE_EEviT1_
    .private_segment_fixed_size: 0
    .sgpr_count:     62
    .sgpr_spill_count: 0
    .symbol:         _ZN2at6native32elementwise_kernel_manual_unrollILi128ELi8EZNS0_22gpu_kernel_impl_nocastIZZZNS0_12_GLOBAL__N_117hardshrink_kernelERNS_18TensorIteratorBaseERKN3c106ScalarEENKUlvE_clEvENKUlvE2_clEvEUlNS6_8BFloat16EE_EEvS5_RKT_EUlibE_EEviT1_.kd
    .uniform_work_group_size: 1
    .uses_dynamic_stack: false
    .vgpr_count:     24
    .vgpr_spill_count: 0
    .wavefront_size: 32
  - .args:
      - .offset:         0
        .size:           4
        .value_kind:     by_value
      - .offset:         8
        .size:           32
        .value_kind:     by_value
    .group_segment_fixed_size: 0
    .kernarg_segment_align: 8
    .kernarg_segment_size: 40
    .language:       OpenCL C
    .language_version:
      - 2
      - 0
    .max_flat_workgroup_size: 128
    .name:           _ZN2at6native32elementwise_kernel_manual_unrollILi128ELi4EZNS0_15gpu_kernel_implIZZZNS0_12_GLOBAL__N_117hardshrink_kernelERNS_18TensorIteratorBaseERKN3c106ScalarEENKUlvE_clEvENKUlvE2_clEvEUlNS6_8BFloat16EE_EEvS5_RKT_EUlibE_EEviT1_
    .private_segment_fixed_size: 0
    .sgpr_count:     31
    .sgpr_spill_count: 0
    .symbol:         _ZN2at6native32elementwise_kernel_manual_unrollILi128ELi4EZNS0_15gpu_kernel_implIZZZNS0_12_GLOBAL__N_117hardshrink_kernelERNS_18TensorIteratorBaseERKN3c106ScalarEENKUlvE_clEvENKUlvE2_clEvEUlNS6_8BFloat16EE_EEvS5_RKT_EUlibE_EEviT1_.kd
    .uniform_work_group_size: 1
    .uses_dynamic_stack: false
    .vgpr_count:     14
    .vgpr_spill_count: 0
    .wavefront_size: 32
  - .args:
      - .offset:         0
        .size:           4
        .value_kind:     by_value
      - .offset:         8
        .size:           352
        .value_kind:     by_value
    .group_segment_fixed_size: 0
    .kernarg_segment_align: 8
    .kernarg_segment_size: 360
    .language:       OpenCL C
    .language_version:
      - 2
      - 0
    .max_flat_workgroup_size: 128
    .name:           _ZN2at6native32elementwise_kernel_manual_unrollILi128ELi4EZNS0_15gpu_kernel_implIZZZNS0_12_GLOBAL__N_117hardshrink_kernelERNS_18TensorIteratorBaseERKN3c106ScalarEENKUlvE_clEvENKUlvE2_clEvEUlNS6_8BFloat16EE_EEvS5_RKT_EUlibE0_EEviT1_
    .private_segment_fixed_size: 0
    .sgpr_count:     70
    .sgpr_spill_count: 0
    .symbol:         _ZN2at6native32elementwise_kernel_manual_unrollILi128ELi4EZNS0_15gpu_kernel_implIZZZNS0_12_GLOBAL__N_117hardshrink_kernelERNS_18TensorIteratorBaseERKN3c106ScalarEENKUlvE_clEvENKUlvE2_clEvEUlNS6_8BFloat16EE_EEvS5_RKT_EUlibE0_EEviT1_.kd
    .uniform_work_group_size: 1
    .uses_dynamic_stack: false
    .vgpr_count:     18
    .vgpr_spill_count: 0
    .wavefront_size: 32
amdhsa.target:   amdgcn-amd-amdhsa--gfx1250
amdhsa.version:
  - 1
  - 2
...

	.end_amdgpu_metadata
